;; amdgpu-corpus repo=pytorch/pytorch kind=compiled arch=gfx906 opt=O3
	.amdgcn_target "amdgcn-amd-amdhsa--gfx906"
	.amdhsa_code_object_version 6
	.text
	.p2align	2                               ; -- Begin function _ZN2at6native25elementwise_kernel_helperILb0EZZZNS0_12_GLOBAL__N_121bessel_j0_kernel_cudaERNS_18TensorIteratorBaseEENKUlvE_clEvENKUlvE_clEvEUldE_NS0_6memory8policies11unroll_baseILi256ESt5arrayIPcLm2EE23TrivialOffsetCalculatorILi1EjESF_NS8_15LoadWithoutCastENS8_16StoreWithoutCastELi4ELi1EEEEEvT0_T1_
	.type	_ZN2at6native25elementwise_kernel_helperILb0EZZZNS0_12_GLOBAL__N_121bessel_j0_kernel_cudaERNS_18TensorIteratorBaseEENKUlvE_clEvENKUlvE_clEvEUldE_NS0_6memory8policies11unroll_baseILi256ESt5arrayIPcLm2EE23TrivialOffsetCalculatorILi1EjESF_NS8_15LoadWithoutCastENS8_16StoreWithoutCastELi4ELi1EEEEEvT0_T1_,@function
_ZN2at6native25elementwise_kernel_helperILb0EZZZNS0_12_GLOBAL__N_121bessel_j0_kernel_cudaERNS_18TensorIteratorBaseEENKUlvE_clEvENKUlvE_clEvEUldE_NS0_6memory8policies11unroll_baseILi256ESt5arrayIPcLm2EE23TrivialOffsetCalculatorILi1EjESF_NS8_15LoadWithoutCastENS8_16StoreWithoutCastELi4ELi1EEEEEvT0_T1_: ; @_ZN2at6native25elementwise_kernel_helperILb0EZZZNS0_12_GLOBAL__N_121bessel_j0_kernel_cudaERNS_18TensorIteratorBaseEENKUlvE_clEvENKUlvE_clEvEUldE_NS0_6memory8policies11unroll_baseILi256ESt5arrayIPcLm2EE23TrivialOffsetCalculatorILi1EjESF_NS8_15LoadWithoutCastENS8_16StoreWithoutCastELi4ELi1EEEEEvT0_T1_
; %bb.0:
	s_waitcnt vmcnt(0) expcnt(0) lgkmcnt(0)
	v_and_b32_e32 v34, 0x3ff, v31
	s_lshl_b32 s42, s12, 10
	v_mov_b32_e32 v16, 0
	v_mov_b32_e32 v18, 0
	v_cmp_lt_i32_e64 s[4:5], v34, v4
	v_mov_b32_e32 v17, 0
	v_or_b32_e32 v5, s42, v34
	v_mov_b32_e32 v19, 0
	v_mov_b32_e32 v10, v34
	s_and_saveexec_b64 s[6:7], s[4:5]
	s_cbranch_execz .LBB0_2
; %bb.1:
	v_mov_b32_e32 v6, 0
	v_lshlrev_b64 v[6:7], 3, v[5:6]
	v_add_u32_e32 v10, 0x100, v34
	v_add_co_u32_e32 v6, vcc, v2, v6
	v_addc_co_u32_e32 v7, vcc, v3, v7, vcc
	flat_load_dwordx2 v[18:19], v[6:7]
.LBB0_2:
	s_or_b64 exec, exec, s[6:7]
	v_cmp_lt_i32_e32 vcc, v10, v4
	s_and_saveexec_b64 s[6:7], vcc
	s_cbranch_execz .LBB0_4
; %bb.3:
	v_add_u32_e32 v6, s42, v10
	v_mov_b32_e32 v7, 0
	v_lshlrev_b64 v[6:7], 3, v[6:7]
	v_add_u32_e32 v10, 0x100, v10
	v_add_co_u32_e32 v6, vcc, v2, v6
	v_addc_co_u32_e32 v7, vcc, v3, v7, vcc
	flat_load_dwordx2 v[16:17], v[6:7]
.LBB0_4:
	s_or_b64 exec, exec, s[6:7]
	v_mov_b32_e32 v6, 0
	v_mov_b32_e32 v8, 0
	;; [unrolled: 1-line block ×4, first 2 shown]
	v_cmp_lt_i32_e32 vcc, v10, v4
	s_and_saveexec_b64 s[6:7], vcc
	s_cbranch_execz .LBB0_6
; %bb.5:
	v_add_u32_e32 v8, s42, v10
	v_mov_b32_e32 v9, 0
	v_lshlrev_b64 v[8:9], 3, v[8:9]
	v_add_u32_e32 v10, 0x100, v10
	v_add_co_u32_e32 v8, vcc, v2, v8
	v_addc_co_u32_e32 v9, vcc, v3, v9, vcc
	flat_load_dwordx2 v[8:9], v[8:9]
.LBB0_6:
	s_or_b64 exec, exec, s[6:7]
	v_cmp_lt_i32_e32 vcc, v10, v4
	s_and_saveexec_b64 s[6:7], vcc
	s_cbranch_execz .LBB0_8
; %bb.7:
	v_add_u32_e32 v6, s42, v10
	v_mov_b32_e32 v7, 0
	v_lshlrev_b64 v[6:7], 3, v[6:7]
	v_add_co_u32_e32 v2, vcc, v2, v6
	v_addc_co_u32_e32 v3, vcc, v3, v7, vcc
	flat_load_dwordx2 v[6:7], v[2:3]
.LBB0_8:
	s_or_b64 exec, exec, s[6:7]
	v_mov_b32_e32 v2, 0
	v_mov_b32_e32 v3, v2
	;; [unrolled: 1-line block ×8, first 2 shown]
	s_and_saveexec_b64 s[8:9], s[4:5]
	s_cbranch_execz .LBB0_26
; %bb.9:
	s_waitcnt vmcnt(0) lgkmcnt(0)
	v_cmp_gt_f64_e32 vcc, 0, v[18:19]
	v_xor_b32_e32 v2, 0x80000000, v19
	s_mov_b32 s6, 0
	s_mov_b32 s7, 0x40140000
	v_cndmask_b32_e32 v19, v19, v2, vcc
	v_cmp_ge_f64_e32 vcc, s[6:7], v[18:19]
	v_mul_f64 v[14:15], v[18:19], v[18:19]
                                        ; implicit-def: $vgpr2_vgpr3
	s_and_saveexec_b64 s[6:7], vcc
	s_xor_b64 s[6:7], exec, s[6:7]
	s_cbranch_execz .LBB0_15
; %bb.10:
	s_mov_b32 s10, 0x88e368f1
	s_mov_b32 s11, 0x3ee4f8b5
	v_cmp_ngt_f64_e32 vcc, s[10:11], v[18:19]
                                        ; implicit-def: $vgpr2_vgpr3
	s_and_saveexec_b64 s[10:11], vcc
	s_xor_b64 s[10:11], exec, s[10:11]
	s_cbranch_execz .LBB0_12
; %bb.11:
	v_mov_b32_e32 v2, 0xa696b78c
	v_mov_b32_e32 v3, 0x407f3902
	v_fma_f64 v[2:3], v[14:15], 0, v[2:3]
	s_mov_b32 s12, 0x36a21a67
	s_mov_b32 s13, 0x410536cb
	s_mov_b32 s14, 0x9444914
	v_mov_b32_e32 v10, 0xad1c8325
	v_mov_b32_e32 v11, 0xc1f1dc53
	s_mov_b32 s15, 0x4204d5b0
	v_fma_f64 v[10:11], v[14:15], 0, v[10:11]
	v_fma_f64 v[2:3], v[14:15], v[2:3], s[12:13]
	s_mov_b32 s12, 0x2eac0634
	s_mov_b32 s13, 0x41871934
	;; [unrolled: 1-line block ×6, first 2 shown]
	v_fma_f64 v[2:3], v[14:15], v[2:3], s[12:13]
	s_mov_b32 s12, 0xc772990d
	s_mov_b32 s13, 0x427c7751
	v_fma_f64 v[10:11], v[14:15], v[10:11], s[12:13]
	s_mov_b32 s12, 0x80462bbb
	s_mov_b32 s13, 0xc01721fb
	v_add_f64 v[12:13], v[14:15], s[12:13]
	s_mov_b32 s12, 0x7e7b2e9c
	v_fma_f64 v[2:3], v[14:15], v[2:3], s[14:15]
	s_mov_b32 s14, 0xe0d900f7
	s_mov_b32 s15, 0xc2ec5614
	v_fma_f64 v[10:11], v[14:15], v[10:11], s[14:15]
	s_mov_b32 s14, 0x69ff5fb4
	s_mov_b32 s13, 0x435c4141
	s_mov_b32 s15, 0x43413ef8
	v_fma_f64 v[2:3], v[14:15], v[2:3], s[16:17]
	s_mov_b32 s16, 0xa621dd6f
	s_mov_b32 s17, 0xc03e78a4
	v_add_f64 v[18:19], v[14:15], s[16:17]
	v_fma_f64 v[10:11], v[14:15], v[10:11], s[14:15]
	v_fma_f64 v[2:3], v[14:15], v[2:3], s[18:19]
	v_mul_f64 v[12:13], v[12:13], v[18:19]
	v_fma_f64 v[2:3], v[14:15], v[2:3], s[12:13]
	s_mov_b32 s12, 0xc7b662cc
	s_mov_b32 s13, 0x43b7be34
	v_mul_f64 v[10:11], v[12:13], v[10:11]
	v_fma_f64 v[2:3], v[14:15], v[2:3], s[12:13]
	v_div_scale_f64 v[12:13], s[12:13], v[2:3], v[2:3], v[10:11]
	v_div_scale_f64 v[20:21], vcc, v[10:11], v[2:3], v[10:11]
	v_rcp_f64_e32 v[14:15], v[12:13]
	v_fma_f64 v[18:19], -v[12:13], v[14:15], 1.0
	v_fma_f64 v[14:15], v[14:15], v[18:19], v[14:15]
	v_fma_f64 v[18:19], -v[12:13], v[14:15], 1.0
	v_fma_f64 v[14:15], v[14:15], v[18:19], v[14:15]
	v_mul_f64 v[18:19], v[20:21], v[14:15]
	v_fma_f64 v[12:13], -v[12:13], v[18:19], v[20:21]
	v_div_fmas_f64 v[12:13], v[12:13], v[14:15], v[18:19]
                                        ; implicit-def: $vgpr14_vgpr15
	v_div_fixup_f64 v[2:3], v[12:13], v[2:3], v[10:11]
.LBB0_12:
	s_andn2_saveexec_b64 s[10:11], s[10:11]
	s_cbranch_execz .LBB0_14
; %bb.13:
	s_mov_b32 s12, 0
	s_mov_b32 s13, 0xbfd00000
	v_fma_f64 v[2:3], v[14:15], s[12:13], 1.0
.LBB0_14:
	s_or_b64 exec, exec, s[10:11]
                                        ; implicit-def: $vgpr14_vgpr15
                                        ; implicit-def: $vgpr18_vgpr19
.LBB0_15:
	s_andn2_saveexec_b64 s[10:11], s[6:7]
	s_cbranch_execz .LBB0_25
; %bb.16:
	s_mov_b32 s15, 0xbfe921fb
	s_mov_b32 s14, 0x54442d18
	v_add_f64 v[2:3], v[18:19], s[14:15]
	s_mov_b32 s6, 0
	s_mov_b32 s7, 0x41d00000
                                        ; implicit-def: $vgpr31
                                        ; implicit-def: $vgpr20_vgpr21
                                        ; implicit-def: $vgpr22_vgpr23
	v_trig_preop_f64 v[28:29], |v[2:3]|, 0
	v_trig_preop_f64 v[26:27], |v[2:3]|, 1
	v_trig_preop_f64 v[24:25], |v[2:3]|, 2
	v_cmp_nlt_f64_e64 s[12:13], |v[2:3]|, s[6:7]
	s_and_saveexec_b64 s[6:7], s[12:13]
	s_xor_b64 s[16:17], exec, s[6:7]
	s_cbranch_execz .LBB0_18
; %bb.17:
	s_mov_b32 s6, 0
	s_mov_b32 s7, 0x7b000000
	s_movk_i32 s15, 0xff80
	v_ldexp_f64 v[10:11], |v[2:3]|, s15
	v_cmp_ge_f64_e64 vcc, |v[2:3]|, s[6:7]
	v_and_b32_e32 v12, 0x7fffffff, v3
	s_mov_b32 s6, 0
	s_mov_b32 s7, 0x7ff00000
	v_mov_b32_e32 v39, 0x40100000
	v_mov_b32_e32 v52, 0
	s_mov_b32 s15, 0x3ff921fb
	v_cndmask_b32_e32 v11, v12, v11, vcc
	v_cndmask_b32_e32 v10, v2, v10, vcc
	v_mul_f64 v[12:13], v[28:29], v[10:11]
	v_mul_f64 v[20:21], v[26:27], v[10:11]
	;; [unrolled: 1-line block ×3, first 2 shown]
	v_fma_f64 v[22:23], v[28:29], v[10:11], -v[12:13]
	v_fma_f64 v[48:49], v[26:27], v[10:11], -v[20:21]
	;; [unrolled: 1-line block ×3, first 2 shown]
	v_add_f64 v[30:31], v[20:21], v[22:23]
	v_add_f64 v[32:33], v[30:31], -v[20:21]
	v_add_f64 v[50:51], v[12:13], v[30:31]
	v_add_f64 v[35:36], v[30:31], -v[32:33]
	v_add_f64 v[22:23], v[22:23], -v[32:33]
	v_add_f64 v[32:33], v[37:38], v[48:49]
	v_add_f64 v[12:13], v[50:51], -v[12:13]
	v_add_f64 v[20:21], v[20:21], -v[35:36]
	v_ldexp_f64 v[35:36], v[50:51], -2
	v_add_f64 v[54:55], v[32:33], -v[37:38]
	v_add_f64 v[12:13], v[30:31], -v[12:13]
	v_add_f64 v[20:21], v[22:23], v[20:21]
	v_fract_f64_e32 v[22:23], v[35:36]
	v_cmp_neq_f64_e64 vcc, |v[35:36]|, s[6:7]
	v_add_f64 v[48:49], v[48:49], -v[54:55]
	v_add_f64 v[30:31], v[32:33], v[20:21]
	v_ldexp_f64 v[22:23], v[22:23], 2
	v_add_f64 v[35:36], v[12:13], v[30:31]
	v_cndmask_b32_e32 v23, 0, v23, vcc
	v_cndmask_b32_e32 v22, 0, v22, vcc
	v_add_f64 v[64:65], v[30:31], -v[32:33]
	v_add_f64 v[50:51], v[35:36], v[22:23]
	v_add_f64 v[12:13], v[35:36], -v[12:13]
	v_add_f64 v[66:67], v[30:31], -v[64:65]
	;; [unrolled: 1-line block ×3, first 2 shown]
	v_cmp_gt_f64_e32 vcc, 0, v[50:51]
	v_add_f64 v[50:51], v[32:33], -v[54:55]
	v_add_f64 v[12:13], v[30:31], -v[12:13]
	;; [unrolled: 1-line block ×3, first 2 shown]
	v_cndmask_b32_e32 v53, 0, v39, vcc
	v_add_f64 v[22:23], v[22:23], v[52:53]
	v_add_f64 v[50:51], v[37:38], -v[50:51]
	v_add_f64 v[20:21], v[20:21], v[32:33]
	v_add_f64 v[68:69], v[35:36], v[22:23]
	;; [unrolled: 1-line block ×3, first 2 shown]
	v_cvt_i32_f64_e32 v39, v[68:69]
	v_add_f64 v[20:21], v[48:49], v[20:21]
	v_cvt_f64_i32_e32 v[53:54], v39
	v_add_f64 v[22:23], v[22:23], -v[53:54]
	v_add_f64 v[10:11], v[10:11], v[20:21]
	v_add_f64 v[32:33], v[35:36], v[22:23]
	;; [unrolled: 1-line block ×3, first 2 shown]
	v_add_f64 v[20:21], v[32:33], -v[22:23]
	v_cmp_le_f64_e32 vcc, 0.5, v[32:33]
	v_add_f64 v[12:13], v[35:36], -v[20:21]
	v_mov_b32_e32 v20, 0x3ff00000
	v_cndmask_b32_e32 v53, 0, v20, vcc
	v_addc_co_u32_e64 v31, s[6:7], 0, v39, vcc
	s_mov_b32 s6, 0x33145c07
	s_mov_b32 s7, 0x3c91a626
	v_add_f64 v[10:11], v[10:11], v[12:13]
	v_add_f64 v[12:13], v[32:33], -v[52:53]
	v_add_f64 v[20:21], v[12:13], v[10:11]
	v_mul_f64 v[22:23], v[20:21], s[14:15]
	v_add_f64 v[12:13], v[20:21], -v[12:13]
	v_fma_f64 v[32:33], v[20:21], s[14:15], -v[22:23]
	v_add_f64 v[10:11], v[10:11], -v[12:13]
	v_fma_f64 v[12:13], v[20:21], s[6:7], v[32:33]
	v_fma_f64 v[10:11], v[10:11], s[14:15], v[12:13]
	v_add_f64 v[20:21], v[22:23], v[10:11]
	v_add_f64 v[12:13], v[20:21], -v[22:23]
	v_add_f64 v[22:23], v[10:11], -v[12:13]
	s_andn2_saveexec_b64 s[6:7], s[16:17]
	s_cbranch_execz .LBB0_20
	s_branch .LBB0_19
.LBB0_18:
	s_andn2_saveexec_b64 s[6:7], s[16:17]
	s_cbranch_execz .LBB0_20
.LBB0_19:
	s_mov_b32 s14, 0x6dc9c883
	s_mov_b32 s15, 0x3fe45f30
	v_mul_f64 v[10:11], |v[2:3]|, s[14:15]
	s_mov_b32 s14, 0x54442d18
	s_mov_b32 s15, 0xbff921fb
	;; [unrolled: 1-line block ×4, first 2 shown]
	v_rndne_f64_e32 v[10:11], v[10:11]
	v_fma_f64 v[12:13], v[10:11], s[14:15], |v[2:3]|
	v_mul_f64 v[20:21], v[10:11], s[16:17]
	s_mov_b32 s14, 0x252049c0
	s_mov_b32 s15, 0xb97b839a
	v_add_f64 v[22:23], v[12:13], v[20:21]
	v_add_f64 v[30:31], v[12:13], -v[22:23]
	v_fma_f64 v[12:13], v[10:11], s[16:17], v[12:13]
	s_mov_b32 s17, 0x3c91a626
	v_add_f64 v[30:31], v[30:31], v[20:21]
	v_add_f64 v[22:23], v[22:23], -v[12:13]
	v_fma_f64 v[20:21], v[10:11], s[16:17], v[20:21]
	v_add_f64 v[22:23], v[22:23], v[30:31]
	v_cvt_i32_f64_e32 v31, v[10:11]
	v_add_f64 v[20:21], v[22:23], -v[20:21]
	v_fma_f64 v[22:23], v[10:11], s[14:15], v[20:21]
	v_add_f64 v[20:21], v[12:13], v[22:23]
	v_add_f64 v[12:13], v[20:21], -v[12:13]
	v_add_f64 v[22:23], v[22:23], -v[12:13]
.LBB0_20:
	s_or_b64 exec, exec, s[6:7]
                                        ; implicit-def: $vgpr30
                                        ; implicit-def: $vgpr10_vgpr11
                                        ; implicit-def: $vgpr12_vgpr13
	s_and_saveexec_b64 s[6:7], s[12:13]
	s_xor_b64 s[12:13], exec, s[6:7]
	s_cbranch_execz .LBB0_22
; %bb.21:
	s_mov_b32 s6, 0
	s_mov_b32 s7, 0x7b000000
	v_cmp_ge_f64_e64 vcc, |v[2:3]|, s[6:7]
	s_movk_i32 s6, 0xff80
	v_ldexp_f64 v[10:11], |v[2:3]|, s6
	v_and_b32_e32 v12, 0x7fffffff, v3
	s_mov_b32 s6, 0
	s_mov_b32 s7, 0x7ff00000
	;; [unrolled: 1-line block ×4, first 2 shown]
	v_cndmask_b32_e32 v11, v12, v11, vcc
	v_cndmask_b32_e32 v10, v2, v10, vcc
	v_mul_f64 v[32:33], v[28:29], v[10:11]
	v_mul_f64 v[12:13], v[26:27], v[10:11]
	v_fma_f64 v[28:29], v[28:29], v[10:11], -v[32:33]
	v_add_f64 v[35:36], v[12:13], v[28:29]
	v_add_f64 v[52:53], v[35:36], -v[12:13]
	v_add_f64 v[37:38], v[32:33], v[35:36]
	v_add_f64 v[28:29], v[28:29], -v[52:53]
	v_add_f64 v[52:53], v[35:36], -v[52:53]
	v_ldexp_f64 v[48:49], v[37:38], -2
	v_add_f64 v[32:33], v[37:38], -v[32:33]
	v_add_f64 v[52:53], v[12:13], -v[52:53]
	v_fma_f64 v[12:13], v[26:27], v[10:11], -v[12:13]
	v_mul_f64 v[26:27], v[24:25], v[10:11]
	v_fract_f64_e32 v[50:51], v[48:49]
	v_add_f64 v[32:33], v[35:36], -v[32:33]
	v_cmp_neq_f64_e64 vcc, |v[48:49]|, s[6:7]
	v_add_f64 v[28:29], v[28:29], v[52:53]
	v_add_f64 v[52:53], v[26:27], v[12:13]
	v_fma_f64 v[10:11], v[24:25], v[10:11], -v[26:27]
	v_add_f64 v[54:55], v[52:53], v[28:29]
	v_add_f64 v[37:38], v[54:55], -v[52:53]
	v_add_f64 v[35:36], v[32:33], v[54:55]
	v_add_f64 v[28:29], v[28:29], -v[37:38]
	v_add_f64 v[37:38], v[54:55], -v[37:38]
	;; [unrolled: 1-line block ×5, first 2 shown]
	v_add_f64 v[28:29], v[28:29], v[37:38]
	v_add_f64 v[37:38], v[52:53], -v[26:27]
	v_add_f64 v[12:13], v[12:13], -v[37:38]
	;; [unrolled: 1-line block ×4, first 2 shown]
	v_add_f64 v[12:13], v[12:13], v[37:38]
	v_add_f64 v[12:13], v[12:13], v[28:29]
	;; [unrolled: 1-line block ×3, first 2 shown]
	v_ldexp_f64 v[12:13], v[50:51], 2
	v_add_f64 v[10:11], v[32:33], v[10:11]
	v_cndmask_b32_e32 v13, 0, v13, vcc
	v_cndmask_b32_e32 v12, 0, v12, vcc
	v_add_f64 v[24:25], v[35:36], v[12:13]
	v_cmp_gt_f64_e32 vcc, 0, v[24:25]
	v_mov_b32_e32 v24, 0x40100000
	v_cndmask_b32_e32 v25, 0, v24, vcc
	v_mov_b32_e32 v24, 0
	v_add_f64 v[12:13], v[12:13], v[24:25]
	v_add_f64 v[25:26], v[35:36], v[12:13]
	v_cvt_i32_f64_e32 v28, v[25:26]
	v_cvt_f64_i32_e32 v[25:26], v28
	v_add_f64 v[12:13], v[12:13], -v[25:26]
	v_add_f64 v[26:27], v[35:36], v[12:13]
	v_add_f64 v[12:13], v[26:27], -v[12:13]
	v_cmp_le_f64_e32 vcc, 0.5, v[26:27]
	v_add_f64 v[12:13], v[35:36], -v[12:13]
	v_addc_co_u32_e64 v30, s[6:7], 0, v28, vcc
	s_mov_b32 s6, 0x54442d18
	s_mov_b32 s7, 0x3ff921fb
	v_add_f64 v[10:11], v[10:11], v[12:13]
	v_mov_b32_e32 v12, 0x3ff00000
	v_cndmask_b32_e32 v25, 0, v12, vcc
	v_add_f64 v[12:13], v[26:27], -v[24:25]
	v_add_f64 v[24:25], v[12:13], v[10:11]
	v_add_f64 v[12:13], v[24:25], -v[12:13]
	v_add_f64 v[10:11], v[10:11], -v[12:13]
	v_mul_f64 v[12:13], v[24:25], s[6:7]
	v_fma_f64 v[26:27], v[24:25], s[6:7], -v[12:13]
	v_fma_f64 v[24:25], v[24:25], s[14:15], v[26:27]
	v_fma_f64 v[24:25], v[10:11], s[6:7], v[24:25]
	v_add_f64 v[10:11], v[12:13], v[24:25]
	v_add_f64 v[12:13], v[10:11], -v[12:13]
	v_add_f64 v[12:13], v[24:25], -v[12:13]
	s_andn2_saveexec_b64 s[6:7], s[12:13]
	s_cbranch_execnz .LBB0_23
	s_branch .LBB0_24
.LBB0_22:
	s_andn2_saveexec_b64 s[6:7], s[12:13]
	s_cbranch_execz .LBB0_24
.LBB0_23:
	s_mov_b32 s12, 0x6dc9c883
	s_mov_b32 s13, 0x3fe45f30
	v_mul_f64 v[10:11], |v[2:3]|, s[12:13]
	s_mov_b32 s12, 0x54442d18
	s_mov_b32 s13, 0xbff921fb
	s_mov_b32 s15, 0xbc91a626
	s_mov_b32 s14, 0x33145c00
	v_rndne_f64_e32 v[24:25], v[10:11]
	v_fma_f64 v[10:11], v[24:25], s[12:13], |v[2:3]|
	v_mul_f64 v[12:13], v[24:25], s[14:15]
	s_mov_b32 s12, 0x252049c0
	s_mov_b32 s13, 0xb97b839a
	v_cvt_i32_f64_e32 v30, v[24:25]
	v_fma_f64 v[32:33], v[24:25], s[14:15], v[10:11]
	v_add_f64 v[26:27], v[10:11], v[12:13]
	s_mov_b32 s15, 0x3c91a626
	v_add_f64 v[28:29], v[10:11], -v[26:27]
	v_add_f64 v[26:27], v[26:27], -v[32:33]
	v_add_f64 v[10:11], v[28:29], v[12:13]
	v_fma_f64 v[12:13], v[24:25], s[14:15], v[12:13]
	v_add_f64 v[10:11], v[26:27], v[10:11]
	v_add_f64 v[10:11], v[10:11], -v[12:13]
	v_fma_f64 v[12:13], v[24:25], s[12:13], v[10:11]
	v_add_f64 v[10:11], v[32:33], v[12:13]
	v_add_f64 v[26:27], v[10:11], -v[32:33]
	v_add_f64 v[12:13], v[12:13], -v[26:27]
.LBB0_24:
	s_or_b64 exec, exec, s[6:7]
	s_mov_b32 s6, 0
	s_mov_b32 s7, 0x40390000
	v_div_scale_f64 v[24:25], s[12:13], v[14:15], v[14:15], s[6:7]
	s_mov_b32 s12, 0x46cc5e42
	s_mov_b32 s13, 0xbda907db
	;; [unrolled: 1-line block ×14, first 2 shown]
	v_rcp_f64_e32 v[26:27], v[24:25]
	s_mov_b32 s26, 0x19e83e5c
	s_mov_b32 s27, 0xbf2a01a0
	;; [unrolled: 1-line block ×4, first 2 shown]
	v_mul_f64 v[52:53], v[22:23], 0.5
	s_mov_b32 s41, 0xbfc55555
	s_mov_b32 s40, s20
	;; [unrolled: 1-line block ×4, first 2 shown]
	v_mov_b32_e32 v39, 0x7ff80000
	v_fma_f64 v[28:29], -v[24:25], v[26:27], 1.0
	v_fma_f64 v[26:27], v[26:27], v[28:29], v[26:27]
	v_fma_f64 v[28:29], -v[24:25], v[26:27], 1.0
	v_fma_f64 v[26:27], v[26:27], v[28:29], v[26:27]
	v_div_scale_f64 v[28:29], vcc, s[6:7], v[14:15], s[6:7]
	v_mul_f64 v[32:33], v[28:29], v[26:27]
	v_fma_f64 v[24:25], -v[24:25], v[32:33], v[28:29]
	v_mov_b32_e32 v28, 0x38a5384a
	v_mov_b32_e32 v29, 0xbf874742
	v_div_fmas_f64 v[24:25], v[24:25], v[26:27], v[32:33]
	v_mov_b32_e32 v26, 0xce039737
	v_mov_b32_e32 v27, 0x3f4e4a80
	;; [unrolled: 1-line block ×4, first 2 shown]
	v_div_fixup_f64 v[14:15], v[24:25], v[14:15], s[6:7]
	v_mov_b32_e32 v24, 0x983b6b27
	v_mov_b32_e32 v25, 0x3f4a1d30
	s_mov_b32 s6, 0xb35dd1cf
	s_mov_b32 s7, 0x3fb534b0
	v_fma_f64 v[24:25], v[14:15], 0, v[24:25]
	v_fma_f64 v[26:27], v[14:15], 0, v[26:27]
	;; [unrolled: 1-line block ×5, first 2 shown]
	s_mov_b32 s6, 0x4e680b98
	s_mov_b32 s7, 0x3ff3d521
	v_fma_f64 v[24:25], v[14:15], v[24:25], s[6:7]
	s_mov_b32 s6, 0xe97a0956
	s_mov_b32 s7, 0x4015c9fb
	v_fma_f64 v[24:25], v[14:15], v[24:25], s[6:7]
	;; [unrolled: 3-line block ×10, first 2 shown]
	s_mov_b32 s6, 0xf50e2c0c
	s_mov_b32 s7, 0xc0338dcf
	v_fma_f64 v[26:27], v[14:15], v[26:27], 1.0
	v_fma_f64 v[28:29], v[14:15], v[28:29], s[6:7]
	s_mov_b32 s6, 0x5a6de8c4
	s_mov_b32 s7, 0xc0574d2f
	v_fma_f64 v[28:29], v[14:15], v[28:29], s[6:7]
	s_mov_b32 s6, 0x20cae8ea
	s_mov_b32 s7, 0xc06635cc
	;; [unrolled: 3-line block ×11, first 2 shown]
	v_fma_f64 v[32:33], v[14:15], v[32:33], s[6:7]
	v_fma_f64 v[14:15], v[14:15], v[24:25], 1.0
	v_div_scale_f64 v[24:25], s[6:7], v[26:27], v[26:27], v[14:15]
	s_mov_b32 s6, 0x9037ab78
	s_mov_b32 s7, 0x3e21eeb6
	v_rcp_f64_e32 v[35:36], v[24:25]
	v_fma_f64 v[37:38], -v[24:25], v[35:36], 1.0
	v_fma_f64 v[35:36], v[35:36], v[37:38], v[35:36]
	v_fma_f64 v[37:38], -v[24:25], v[35:36], 1.0
	v_fma_f64 v[35:36], v[35:36], v[37:38], v[35:36]
	v_div_scale_f64 v[37:38], vcc, v[14:15], v[26:27], v[14:15]
	v_mul_f64 v[48:49], v[37:38], v[35:36]
	v_fma_f64 v[24:25], -v[24:25], v[48:49], v[37:38]
	s_nop 1
	v_div_fmas_f64 v[24:25], v[24:25], v[35:36], v[48:49]
	v_mov_b32_e32 v49, s7
	v_mov_b32_e32 v48, s6
	s_mov_b32 s6, 0xb42fdfa7
	s_mov_b32 s7, 0xbe5ae600
	v_div_fixup_f64 v[14:15], v[24:25], v[26:27], v[14:15]
	v_mul_f64 v[24:25], v[20:21], v[20:21]
	v_mul_f64 v[26:27], v[24:25], 0.5
	v_fma_f64 v[50:51], v[24:25], s[12:13], v[48:49]
	v_add_f64 v[35:36], -v[26:27], 1.0
	v_fma_f64 v[50:51], v[24:25], v[50:51], s[14:15]
	v_add_f64 v[37:38], -v[35:36], 1.0
	v_fma_f64 v[50:51], v[24:25], v[50:51], s[16:17]
	v_add_f64 v[26:27], v[37:38], -v[26:27]
	v_fma_f64 v[50:51], v[24:25], v[50:51], s[18:19]
	v_mul_f64 v[37:38], v[24:25], v[24:25]
	v_fma_f64 v[26:27], v[20:21], -v[22:23], v[26:27]
	v_fma_f64 v[50:51], v[24:25], v[50:51], s[20:21]
	v_fma_f64 v[26:27], v[37:38], v[50:51], v[26:27]
	v_mul_f64 v[50:51], v[20:21], -v[24:25]
	v_add_f64 v[26:27], v[35:36], v[26:27]
	v_mov_b32_e32 v36, s7
	v_mov_b32_e32 v35, s6
	v_fma_f64 v[37:38], v[24:25], s[22:23], v[35:36]
	s_movk_i32 s6, 0x1f8
	v_cmp_class_f64_e64 s[6:7], v[2:3], s6
	v_and_b32_e32 v2, 1, v30
	v_fma_f64 v[37:38], v[24:25], v[37:38], s[24:25]
	v_fma_f64 v[37:38], v[24:25], v[37:38], s[26:27]
	;; [unrolled: 1-line block ×4, first 2 shown]
	v_fma_f64 v[22:23], v[24:25], v[37:38], -v[22:23]
	v_fma_f64 v[22:23], v[50:51], s[40:41], v[22:23]
	v_add_f64 v[20:21], v[20:21], -v[22:23]
	v_and_b32_e32 v22, 1, v31
	v_cmp_eq_u32_e32 vcc, 0, v22
	v_lshlrev_b32_e32 v22, 30, v31
	v_and_b32_e32 v22, 0x80000000, v22
	v_xor_b32_e32 v21, 0x80000000, v21
	v_cndmask_b32_e32 v21, v21, v27, vcc
	v_xor_b32_e32 v21, v21, v22
	v_div_scale_f64 v[22:23], s[46:47], v[18:19], v[18:19], s[44:45]
	v_cndmask_b32_e32 v20, v20, v26, vcc
	v_cndmask_b32_e64 v20, 0, v20, s[6:7]
	v_cndmask_b32_e64 v21, v39, v21, s[6:7]
	v_rcp_f64_e32 v[24:25], v[22:23]
	v_fma_f64 v[26:27], -v[22:23], v[24:25], 1.0
	v_fma_f64 v[24:25], v[24:25], v[26:27], v[24:25]
	v_fma_f64 v[26:27], -v[22:23], v[24:25], 1.0
	v_fma_f64 v[24:25], v[24:25], v[26:27], v[24:25]
	v_div_scale_f64 v[26:27], vcc, s[44:45], v[18:19], s[44:45]
	v_mul_f64 v[37:38], v[26:27], v[24:25]
	v_fma_f64 v[22:23], -v[22:23], v[37:38], v[26:27]
	s_nop 1
	v_div_fmas_f64 v[22:23], v[22:23], v[24:25], v[37:38]
	v_div_fixup_f64 v[22:23], v[22:23], v[18:19], s[44:45]
	v_div_scale_f64 v[24:25], s[44:45], v[32:33], v[32:33], v[28:29]
	v_rcp_f64_e32 v[26:27], v[24:25]
	v_fma_f64 v[37:38], -v[24:25], v[26:27], 1.0
	v_fma_f64 v[26:27], v[26:27], v[37:38], v[26:27]
	v_fma_f64 v[37:38], -v[24:25], v[26:27], 1.0
	v_fma_f64 v[26:27], v[26:27], v[37:38], v[26:27]
	v_div_scale_f64 v[37:38], vcc, v[28:29], v[32:33], v[28:29]
	v_mul_f64 v[50:51], v[37:38], v[26:27]
	v_fma_f64 v[24:25], -v[24:25], v[50:51], v[37:38]
	s_nop 1
	v_div_fmas_f64 v[24:25], v[24:25], v[26:27], v[50:51]
	v_cmp_eq_u32_e32 vcc, 0, v2
	v_div_fixup_f64 v[24:25], v[24:25], v[32:33], v[28:29]
	v_mul_f64 v[22:23], v[22:23], v[24:25]
	v_mul_f64 v[24:25], v[10:11], v[10:11]
	v_mul_f64 v[26:27], v[24:25], 0.5
	v_fma_f64 v[37:38], v[24:25], s[12:13], v[48:49]
	v_add_f64 v[28:29], -v[26:27], 1.0
	v_fma_f64 v[37:38], v[24:25], v[37:38], s[14:15]
	v_add_f64 v[31:32], -v[28:29], 1.0
	v_fma_f64 v[37:38], v[24:25], v[37:38], s[16:17]
	v_add_f64 v[26:27], v[31:32], -v[26:27]
	v_fma_f64 v[37:38], v[24:25], v[37:38], s[18:19]
	v_mul_f64 v[31:32], v[24:25], v[24:25]
	v_fma_f64 v[26:27], v[10:11], -v[12:13], v[26:27]
	v_fma_f64 v[37:38], v[24:25], v[37:38], s[20:21]
	v_fma_f64 v[26:27], v[31:32], v[37:38], v[26:27]
	v_mul_f64 v[31:32], v[10:11], -v[24:25]
	v_add_f64 v[26:27], v[28:29], v[26:27]
	v_fma_f64 v[28:29], v[24:25], s[22:23], v[35:36]
	v_mul_f64 v[35:36], v[12:13], 0.5
	v_fma_f64 v[28:29], v[24:25], v[28:29], s[24:25]
	v_fma_f64 v[28:29], v[24:25], v[28:29], s[26:27]
	;; [unrolled: 1-line block ×4, first 2 shown]
	v_fma_f64 v[12:13], v[24:25], v[28:29], -v[12:13]
	v_fma_f64 v[12:13], v[31:32], s[40:41], v[12:13]
	v_add_f64 v[10:11], v[10:11], -v[12:13]
	v_cndmask_b32_e32 v2, v26, v10, vcc
	v_cndmask_b32_e32 v10, v27, v11, vcc
	v_lshlrev_b32_e32 v11, 30, v30
	v_xor_b32_e32 v3, v11, v3
	v_and_b32_e32 v3, 0x80000000, v3
	v_xor_b32_e32 v3, v10, v3
	v_cndmask_b32_e64 v2, 0, v2, s[6:7]
	v_cndmask_b32_e64 v3, v39, v3, s[6:7]
	v_mul_f64 v[2:3], v[22:23], v[2:3]
	s_mov_b32 s6, 0x33d43651
	s_mov_b32 s7, 0x3fe98845
	v_mov_b32_e32 v10, 0x100
	v_fma_f64 v[2:3], v[14:15], v[20:21], v[2:3]
	v_mul_f64 v[2:3], v[2:3], s[6:7]
	s_mov_b32 s6, 0
	s_brev_b32 s7, 8
	v_cmp_gt_f64_e32 vcc, s[6:7], v[18:19]
	v_cndmask_b32_e32 v10, 0, v10, vcc
	v_ldexp_f64 v[10:11], v[18:19], v10
	v_rsq_f64_e32 v[12:13], v[10:11]
	v_mul_f64 v[14:15], v[10:11], v[12:13]
	v_mul_f64 v[12:13], v[12:13], 0.5
	v_fma_f64 v[18:19], -v[12:13], v[14:15], 0.5
	v_fma_f64 v[14:15], v[14:15], v[18:19], v[14:15]
	v_fma_f64 v[12:13], v[12:13], v[18:19], v[12:13]
	v_fma_f64 v[20:21], -v[14:15], v[14:15], v[10:11]
	v_fma_f64 v[14:15], v[20:21], v[12:13], v[14:15]
	v_fma_f64 v[18:19], -v[14:15], v[14:15], v[10:11]
	v_fma_f64 v[12:13], v[18:19], v[12:13], v[14:15]
	v_mov_b32_e32 v14, 0xffffff80
	v_cndmask_b32_e32 v14, 0, v14, vcc
	v_ldexp_f64 v[12:13], v[12:13], v14
	v_mov_b32_e32 v14, 0x260
	v_cmp_class_f64_e32 vcc, v[10:11], v14
	v_cndmask_b32_e32 v11, v13, v11, vcc
	v_cndmask_b32_e32 v10, v12, v10, vcc
	v_div_scale_f64 v[12:13], s[6:7], v[10:11], v[10:11], v[2:3]
	v_rcp_f64_e32 v[14:15], v[12:13]
	v_fma_f64 v[18:19], -v[12:13], v[14:15], 1.0
	v_fma_f64 v[14:15], v[14:15], v[18:19], v[14:15]
	v_fma_f64 v[18:19], -v[12:13], v[14:15], 1.0
	v_fma_f64 v[14:15], v[14:15], v[18:19], v[14:15]
	v_div_scale_f64 v[18:19], vcc, v[2:3], v[10:11], v[2:3]
	v_mul_f64 v[20:21], v[18:19], v[14:15]
	v_fma_f64 v[12:13], -v[12:13], v[20:21], v[18:19]
	s_nop 1
	v_div_fmas_f64 v[12:13], v[12:13], v[14:15], v[20:21]
	v_div_fixup_f64 v[2:3], v[12:13], v[10:11], v[2:3]
.LBB0_25:
	s_or_b64 exec, exec, s[10:11]
	v_mov_b32_e32 v14, 0
	v_mov_b32_e32 v15, v14
	;; [unrolled: 1-line block ×6, first 2 shown]
.LBB0_26:
	s_or_b64 exec, exec, s[8:9]
	v_add_u32_e32 v35, 0x100, v34
	v_cmp_lt_i32_e32 vcc, v35, v4
	s_and_saveexec_b64 s[8:9], vcc
	s_cbranch_execz .LBB0_44
; %bb.27:
	s_waitcnt vmcnt(0) lgkmcnt(0)
	v_cmp_gt_f64_e32 vcc, 0, v[16:17]
	v_xor_b32_e32 v14, 0x80000000, v17
	s_mov_b32 s6, 0
	s_mov_b32 s7, 0x40140000
	v_cndmask_b32_e32 v17, v17, v14, vcc
	v_cmp_ge_f64_e32 vcc, s[6:7], v[16:17]
	v_mul_f64 v[26:27], v[16:17], v[16:17]
	s_and_saveexec_b64 s[6:7], vcc
	s_xor_b64 s[6:7], exec, s[6:7]
                                        ; implicit-def: $vgpr14_vgpr15
	s_cbranch_execz .LBB0_33
; %bb.28:
	s_mov_b32 s10, 0x88e368f1
	s_mov_b32 s11, 0x3ee4f8b5
	v_cmp_ngt_f64_e32 vcc, s[10:11], v[16:17]
	s_and_saveexec_b64 s[10:11], vcc
	s_xor_b64 s[10:11], exec, s[10:11]
                                        ; implicit-def: $vgpr14_vgpr15
	s_cbranch_execz .LBB0_30
; %bb.29:
	v_mov_b32_e32 v14, 0xa696b78c
	v_mov_b32_e32 v15, 0x407f3902
	v_fma_f64 v[14:15], v[26:27], 0, v[14:15]
	s_mov_b32 s12, 0x36a21a67
	s_mov_b32 s13, 0x410536cb
	;; [unrolled: 1-line block ×3, first 2 shown]
	v_mov_b32_e32 v16, 0xad1c8325
	v_mov_b32_e32 v17, 0xc1f1dc53
	s_mov_b32 s15, 0x4204d5b0
	v_fma_f64 v[16:17], v[26:27], 0, v[16:17]
	v_fma_f64 v[14:15], v[26:27], v[14:15], s[12:13]
	s_mov_b32 s12, 0x2eac0634
	s_mov_b32 s13, 0x41871934
	;; [unrolled: 1-line block ×6, first 2 shown]
	v_fma_f64 v[14:15], v[26:27], v[14:15], s[12:13]
	s_mov_b32 s12, 0xc772990d
	s_mov_b32 s13, 0x427c7751
	v_fma_f64 v[16:17], v[26:27], v[16:17], s[12:13]
	s_mov_b32 s12, 0x80462bbb
	s_mov_b32 s13, 0xc01721fb
	v_add_f64 v[18:19], v[26:27], s[12:13]
	s_mov_b32 s12, 0x7e7b2e9c
	v_fma_f64 v[14:15], v[26:27], v[14:15], s[14:15]
	s_mov_b32 s14, 0xe0d900f7
	s_mov_b32 s15, 0xc2ec5614
	v_fma_f64 v[16:17], v[26:27], v[16:17], s[14:15]
	s_mov_b32 s14, 0x69ff5fb4
	s_mov_b32 s13, 0x435c4141
	;; [unrolled: 1-line block ×3, first 2 shown]
	v_fma_f64 v[14:15], v[26:27], v[14:15], s[16:17]
	s_mov_b32 s16, 0xa621dd6f
	s_mov_b32 s17, 0xc03e78a4
	v_add_f64 v[20:21], v[26:27], s[16:17]
	v_fma_f64 v[16:17], v[26:27], v[16:17], s[14:15]
	v_fma_f64 v[14:15], v[26:27], v[14:15], s[18:19]
	v_mul_f64 v[18:19], v[18:19], v[20:21]
	v_fma_f64 v[14:15], v[26:27], v[14:15], s[12:13]
	s_mov_b32 s12, 0xc7b662cc
	s_mov_b32 s13, 0x43b7be34
	v_mul_f64 v[16:17], v[18:19], v[16:17]
	v_fma_f64 v[14:15], v[26:27], v[14:15], s[12:13]
                                        ; implicit-def: $vgpr26_vgpr27
	v_div_scale_f64 v[18:19], s[12:13], v[14:15], v[14:15], v[16:17]
	v_div_scale_f64 v[24:25], vcc, v[16:17], v[14:15], v[16:17]
	v_rcp_f64_e32 v[20:21], v[18:19]
	v_fma_f64 v[22:23], -v[18:19], v[20:21], 1.0
	v_fma_f64 v[20:21], v[20:21], v[22:23], v[20:21]
	v_fma_f64 v[22:23], -v[18:19], v[20:21], 1.0
	v_fma_f64 v[20:21], v[20:21], v[22:23], v[20:21]
	v_mul_f64 v[22:23], v[24:25], v[20:21]
	v_fma_f64 v[18:19], -v[18:19], v[22:23], v[24:25]
	v_div_fmas_f64 v[18:19], v[18:19], v[20:21], v[22:23]
	v_div_fixup_f64 v[14:15], v[18:19], v[14:15], v[16:17]
.LBB0_30:
	s_andn2_saveexec_b64 s[10:11], s[10:11]
	s_cbranch_execz .LBB0_32
; %bb.31:
	s_mov_b32 s12, 0
	s_mov_b32 s13, 0xbfd00000
	v_fma_f64 v[14:15], v[26:27], s[12:13], 1.0
.LBB0_32:
	s_or_b64 exec, exec, s[10:11]
                                        ; implicit-def: $vgpr26_vgpr27
                                        ; implicit-def: $vgpr16_vgpr17
.LBB0_33:
	s_andn2_saveexec_b64 s[10:11], s[6:7]
	s_cbranch_execz .LBB0_43
; %bb.34:
	s_mov_b32 s13, 0xbfe921fb
	s_mov_b32 s12, 0x54442d18
	v_add_f64 v[14:15], v[16:17], s[12:13]
	s_mov_b32 s6, 0
	s_mov_b32 s7, 0x41d00000
                                        ; implicit-def: $vgpr37
                                        ; implicit-def: $vgpr22_vgpr23
                                        ; implicit-def: $vgpr24_vgpr25
	v_trig_preop_f64 v[32:33], |v[14:15]|, 0
	v_trig_preop_f64 v[30:31], |v[14:15]|, 1
	;; [unrolled: 1-line block ×3, first 2 shown]
	v_cmp_nlt_f64_e64 s[6:7], |v[14:15]|, s[6:7]
	s_and_saveexec_b64 s[14:15], s[6:7]
	s_xor_b64 s[14:15], exec, s[14:15]
	s_cbranch_execz .LBB0_36
; %bb.35:
	s_mov_b32 s16, 0
	s_mov_b32 s17, 0x7b000000
	s_movk_i32 s13, 0xff80
	v_ldexp_f64 v[18:19], |v[14:15]|, s13
	v_cmp_ge_f64_e64 vcc, |v[14:15]|, s[16:17]
	v_and_b32_e32 v20, 0x7fffffff, v15
	s_mov_b32 s16, 0
	s_mov_b32 s17, 0x7ff00000
	v_mov_b32_e32 v65, 0x40100000
	v_mov_b32_e32 v64, 0
	s_mov_b32 s13, 0x3ff921fb
	v_cndmask_b32_e32 v19, v20, v19, vcc
	v_cndmask_b32_e32 v18, v14, v18, vcc
	v_mul_f64 v[20:21], v[32:33], v[18:19]
	v_mul_f64 v[22:23], v[30:31], v[18:19]
	;; [unrolled: 1-line block ×3, first 2 shown]
	v_fma_f64 v[24:25], v[32:33], v[18:19], -v[20:21]
	v_fma_f64 v[52:53], v[30:31], v[18:19], -v[22:23]
	;; [unrolled: 1-line block ×3, first 2 shown]
	v_add_f64 v[36:37], v[22:23], v[24:25]
	v_add_f64 v[38:39], v[36:37], -v[22:23]
	v_add_f64 v[54:55], v[20:21], v[36:37]
	v_add_f64 v[48:49], v[36:37], -v[38:39]
	v_add_f64 v[24:25], v[24:25], -v[38:39]
	v_add_f64 v[38:39], v[50:51], v[52:53]
	v_add_f64 v[20:21], v[54:55], -v[20:21]
	v_add_f64 v[22:23], v[22:23], -v[48:49]
	v_ldexp_f64 v[48:49], v[54:55], -2
	v_add_f64 v[66:67], v[38:39], -v[50:51]
	v_add_f64 v[20:21], v[36:37], -v[20:21]
	v_add_f64 v[22:23], v[24:25], v[22:23]
	v_fract_f64_e32 v[24:25], v[48:49]
	v_cmp_neq_f64_e64 vcc, |v[48:49]|, s[16:17]
	v_add_f64 v[52:53], v[52:53], -v[66:67]
	s_mov_b32 s16, 0x33145c07
	s_mov_b32 s17, 0x3c91a626
	v_add_f64 v[36:37], v[38:39], v[22:23]
	v_ldexp_f64 v[24:25], v[24:25], 2
	v_add_f64 v[48:49], v[20:21], v[36:37]
	v_cndmask_b32_e32 v25, 0, v25, vcc
	v_cndmask_b32_e32 v24, 0, v24, vcc
	v_add_f64 v[68:69], v[36:37], -v[38:39]
	v_add_f64 v[54:55], v[48:49], v[24:25]
	v_add_f64 v[20:21], v[48:49], -v[20:21]
	v_add_f64 v[70:71], v[36:37], -v[68:69]
	v_add_f64 v[22:23], v[22:23], -v[68:69]
	v_cmp_gt_f64_e32 vcc, 0, v[54:55]
	v_add_f64 v[54:55], v[38:39], -v[66:67]
	v_add_f64 v[20:21], v[36:37], -v[20:21]
	;; [unrolled: 1-line block ×3, first 2 shown]
	v_cndmask_b32_e32 v65, 0, v65, vcc
	v_add_f64 v[24:25], v[24:25], v[64:65]
	v_add_f64 v[54:55], v[50:51], -v[54:55]
	v_add_f64 v[22:23], v[22:23], v[38:39]
	v_add_f64 v[80:81], v[48:49], v[24:25]
	;; [unrolled: 1-line block ×3, first 2 shown]
	v_cvt_i32_f64_e32 v67, v[80:81]
	v_add_f64 v[22:23], v[52:53], v[22:23]
	v_cvt_f64_i32_e32 v[65:66], v67
	v_add_f64 v[24:25], v[24:25], -v[65:66]
	v_add_f64 v[18:19], v[18:19], v[22:23]
	v_add_f64 v[38:39], v[48:49], v[24:25]
	v_add_f64 v[18:19], v[20:21], v[18:19]
	v_add_f64 v[22:23], v[38:39], -v[24:25]
	v_cmp_le_f64_e32 vcc, 0.5, v[38:39]
	v_add_f64 v[20:21], v[48:49], -v[22:23]
	v_mov_b32_e32 v22, 0x3ff00000
	v_cndmask_b32_e32 v65, 0, v22, vcc
	v_add_f64 v[18:19], v[18:19], v[20:21]
	v_add_f64 v[20:21], v[38:39], -v[64:65]
	v_add_f64 v[22:23], v[20:21], v[18:19]
	v_mul_f64 v[24:25], v[22:23], s[12:13]
	v_add_f64 v[20:21], v[22:23], -v[20:21]
	v_fma_f64 v[36:37], v[22:23], s[12:13], -v[24:25]
	v_add_f64 v[18:19], v[18:19], -v[20:21]
	v_fma_f64 v[20:21], v[22:23], s[16:17], v[36:37]
	v_addc_co_u32_e32 v37, vcc, 0, v67, vcc
	v_fma_f64 v[18:19], v[18:19], s[12:13], v[20:21]
	v_add_f64 v[22:23], v[24:25], v[18:19]
	v_add_f64 v[20:21], v[22:23], -v[24:25]
	v_add_f64 v[24:25], v[18:19], -v[20:21]
	s_andn2_saveexec_b64 s[12:13], s[14:15]
	s_cbranch_execz .LBB0_38
	s_branch .LBB0_37
.LBB0_36:
	s_andn2_saveexec_b64 s[12:13], s[14:15]
	s_cbranch_execz .LBB0_38
.LBB0_37:
	s_mov_b32 s14, 0x6dc9c883
	s_mov_b32 s15, 0x3fe45f30
	v_mul_f64 v[18:19], |v[14:15]|, s[14:15]
	s_mov_b32 s14, 0x54442d18
	s_mov_b32 s15, 0xbff921fb
	;; [unrolled: 1-line block ×4, first 2 shown]
	v_rndne_f64_e32 v[18:19], v[18:19]
	v_fma_f64 v[20:21], v[18:19], s[14:15], |v[14:15]|
	v_mul_f64 v[22:23], v[18:19], s[16:17]
	s_mov_b32 s14, 0x252049c0
	s_mov_b32 s15, 0xb97b839a
	v_add_f64 v[24:25], v[20:21], v[22:23]
	v_add_f64 v[36:37], v[20:21], -v[24:25]
	v_fma_f64 v[20:21], v[18:19], s[16:17], v[20:21]
	s_mov_b32 s17, 0x3c91a626
	v_add_f64 v[36:37], v[36:37], v[22:23]
	v_add_f64 v[24:25], v[24:25], -v[20:21]
	v_fma_f64 v[22:23], v[18:19], s[16:17], v[22:23]
	v_add_f64 v[24:25], v[24:25], v[36:37]
	v_cvt_i32_f64_e32 v37, v[18:19]
	v_add_f64 v[22:23], v[24:25], -v[22:23]
	v_fma_f64 v[24:25], v[18:19], s[14:15], v[22:23]
	v_add_f64 v[22:23], v[20:21], v[24:25]
	v_add_f64 v[20:21], v[22:23], -v[20:21]
	v_add_f64 v[24:25], v[24:25], -v[20:21]
.LBB0_38:
	s_or_b64 exec, exec, s[12:13]
                                        ; implicit-def: $vgpr36
                                        ; implicit-def: $vgpr18_vgpr19
                                        ; implicit-def: $vgpr20_vgpr21
	s_and_saveexec_b64 s[12:13], s[6:7]
	s_xor_b64 s[12:13], exec, s[12:13]
	s_cbranch_execz .LBB0_40
; %bb.39:
	s_mov_b32 s6, 0
	s_mov_b32 s7, 0x7b000000
	s_movk_i32 s14, 0xff80
	v_ldexp_f64 v[18:19], |v[14:15]|, s14
	v_cmp_ge_f64_e64 vcc, |v[14:15]|, s[6:7]
	v_and_b32_e32 v20, 0x7fffffff, v15
	s_mov_b32 s6, 0
	s_mov_b32 s7, 0x7ff00000
	v_mov_b32_e32 v36, 0x40100000
	v_mov_b32_e32 v66, 0
	s_mov_b32 s14, 0x33145c07
	s_mov_b32 s15, 0x3c91a626
	v_cndmask_b32_e32 v19, v20, v19, vcc
	v_cndmask_b32_e32 v18, v14, v18, vcc
	v_mul_f64 v[20:21], v[32:33], v[18:19]
	v_mul_f64 v[38:39], v[30:31], v[18:19]
	v_mul_f64 v[54:55], v[28:29], v[18:19]
	v_fma_f64 v[32:33], v[32:33], v[18:19], -v[20:21]
	v_fma_f64 v[30:31], v[30:31], v[18:19], -v[38:39]
	v_fma_f64 v[18:19], v[28:29], v[18:19], -v[54:55]
	v_add_f64 v[48:49], v[38:39], v[32:33]
	v_add_f64 v[50:51], v[48:49], -v[38:39]
	v_add_f64 v[64:65], v[20:21], v[48:49]
	v_add_f64 v[52:53], v[48:49], -v[50:51]
	v_add_f64 v[32:33], v[32:33], -v[50:51]
	v_add_f64 v[50:51], v[54:55], v[30:31]
	v_add_f64 v[20:21], v[64:65], -v[20:21]
	v_add_f64 v[38:39], v[38:39], -v[52:53]
	v_ldexp_f64 v[52:53], v[64:65], -2
	v_add_f64 v[68:69], v[50:51], -v[54:55]
	v_add_f64 v[20:21], v[48:49], -v[20:21]
	v_add_f64 v[32:33], v[32:33], v[38:39]
	v_fract_f64_e32 v[38:39], v[52:53]
	v_cmp_neq_f64_e64 vcc, |v[52:53]|, s[6:7]
	v_add_f64 v[30:31], v[30:31], -v[68:69]
	v_add_f64 v[48:49], v[50:51], v[32:33]
	v_ldexp_f64 v[38:39], v[38:39], 2
	v_add_f64 v[52:53], v[20:21], v[48:49]
	v_cndmask_b32_e32 v39, 0, v39, vcc
	v_cndmask_b32_e32 v38, 0, v38, vcc
	v_add_f64 v[70:71], v[48:49], -v[50:51]
	v_add_f64 v[64:65], v[52:53], v[38:39]
	v_add_f64 v[20:21], v[52:53], -v[20:21]
	v_add_f64 v[80:81], v[48:49], -v[70:71]
	;; [unrolled: 1-line block ×3, first 2 shown]
	v_cmp_gt_f64_e32 vcc, 0, v[64:65]
	v_add_f64 v[64:65], v[50:51], -v[68:69]
	v_add_f64 v[20:21], v[48:49], -v[20:21]
	v_add_f64 v[50:51], v[50:51], -v[80:81]
	v_cndmask_b32_e32 v67, 0, v36, vcc
	v_add_f64 v[38:39], v[38:39], v[66:67]
	v_add_f64 v[64:65], v[54:55], -v[64:65]
	v_add_f64 v[32:33], v[32:33], v[50:51]
	v_add_f64 v[82:83], v[52:53], v[38:39]
	;; [unrolled: 1-line block ×3, first 2 shown]
	v_cvt_i32_f64_e32 v36, v[82:83]
	v_add_f64 v[28:29], v[30:31], v[32:33]
	v_cvt_f64_i32_e32 v[67:68], v36
	v_add_f64 v[38:39], v[38:39], -v[67:68]
	v_add_f64 v[18:19], v[18:19], v[28:29]
	v_add_f64 v[30:31], v[52:53], v[38:39]
	;; [unrolled: 1-line block ×3, first 2 shown]
	v_add_f64 v[28:29], v[30:31], -v[38:39]
	v_cmp_le_f64_e32 vcc, 0.5, v[30:31]
	v_add_f64 v[20:21], v[52:53], -v[28:29]
	v_mov_b32_e32 v28, 0x3ff00000
	v_cndmask_b32_e32 v67, 0, v28, vcc
	v_addc_co_u32_e64 v36, s[6:7], 0, v36, vcc
	s_mov_b32 s6, 0x54442d18
	s_mov_b32 s7, 0x3ff921fb
	v_add_f64 v[18:19], v[18:19], v[20:21]
	v_add_f64 v[20:21], v[30:31], -v[66:67]
	v_add_f64 v[28:29], v[20:21], v[18:19]
	v_mul_f64 v[30:31], v[28:29], s[6:7]
	v_add_f64 v[20:21], v[28:29], -v[20:21]
	v_fma_f64 v[32:33], v[28:29], s[6:7], -v[30:31]
	v_add_f64 v[18:19], v[18:19], -v[20:21]
	v_fma_f64 v[20:21], v[28:29], s[14:15], v[32:33]
	v_fma_f64 v[20:21], v[18:19], s[6:7], v[20:21]
	v_add_f64 v[18:19], v[30:31], v[20:21]
	v_add_f64 v[28:29], v[18:19], -v[30:31]
	v_add_f64 v[20:21], v[20:21], -v[28:29]
	s_andn2_saveexec_b64 s[6:7], s[12:13]
	s_cbranch_execnz .LBB0_41
	s_branch .LBB0_42
.LBB0_40:
	s_andn2_saveexec_b64 s[6:7], s[12:13]
	s_cbranch_execz .LBB0_42
.LBB0_41:
	s_mov_b32 s12, 0x6dc9c883
	s_mov_b32 s13, 0x3fe45f30
	v_mul_f64 v[18:19], |v[14:15]|, s[12:13]
	s_mov_b32 s12, 0x54442d18
	s_mov_b32 s13, 0xbff921fb
	;; [unrolled: 1-line block ×4, first 2 shown]
	v_rndne_f64_e32 v[28:29], v[18:19]
	v_fma_f64 v[18:19], v[28:29], s[12:13], |v[14:15]|
	v_mul_f64 v[20:21], v[28:29], s[14:15]
	s_mov_b32 s12, 0x252049c0
	s_mov_b32 s13, 0xb97b839a
	v_cvt_i32_f64_e32 v36, v[28:29]
	v_fma_f64 v[38:39], v[28:29], s[14:15], v[18:19]
	v_add_f64 v[30:31], v[18:19], v[20:21]
	s_mov_b32 s15, 0x3c91a626
	v_add_f64 v[32:33], v[18:19], -v[30:31]
	v_add_f64 v[30:31], v[30:31], -v[38:39]
	v_add_f64 v[18:19], v[32:33], v[20:21]
	v_fma_f64 v[20:21], v[28:29], s[14:15], v[20:21]
	v_add_f64 v[18:19], v[30:31], v[18:19]
	v_add_f64 v[18:19], v[18:19], -v[20:21]
	v_fma_f64 v[20:21], v[28:29], s[12:13], v[18:19]
	v_add_f64 v[18:19], v[38:39], v[20:21]
	v_add_f64 v[30:31], v[18:19], -v[38:39]
	v_add_f64 v[20:21], v[20:21], -v[30:31]
.LBB0_42:
	s_or_b64 exec, exec, s[6:7]
	s_mov_b32 s6, 0
	s_mov_b32 s7, 0x40390000
	v_div_scale_f64 v[28:29], s[12:13], v[26:27], v[26:27], s[6:7]
	s_mov_b32 s12, 0x46cc5e42
	s_mov_b32 s13, 0xbda907db
	s_mov_b32 s14, 0xa17f65f6
	s_mov_b32 s15, 0xbe927e4f
	s_mov_b32 s16, 0x19f4ec90
	s_mov_b32 s17, 0x3efa01a0
	s_mov_b32 s18, 0x16c16967
	s_mov_b32 s19, 0xbf56c16c
	s_mov_b32 s20, 0x55555555
	s_mov_b32 s21, 0x3fa55555
	s_mov_b32 s22, 0xf9a43bb8
	s_mov_b32 s23, 0x3de5e0b2
	s_mov_b32 s24, 0x796cde01
	s_mov_b32 s25, 0x3ec71de3
	v_rcp_f64_e32 v[30:31], v[28:29]
	s_mov_b32 s26, 0x19e83e5c
	s_mov_b32 s27, 0xbf2a01a0
	;; [unrolled: 1-line block ×4, first 2 shown]
	v_mul_f64 v[64:65], v[24:25], 0.5
	s_mov_b32 s41, 0xbfc55555
	s_mov_b32 s40, s20
	;; [unrolled: 1-line block ×4, first 2 shown]
	v_fma_f64 v[32:33], -v[28:29], v[30:31], 1.0
	v_fma_f64 v[30:31], v[30:31], v[32:33], v[30:31]
	v_fma_f64 v[32:33], -v[28:29], v[30:31], 1.0
	v_fma_f64 v[30:31], v[30:31], v[32:33], v[30:31]
	v_div_scale_f64 v[32:33], vcc, s[6:7], v[26:27], s[6:7]
	v_mul_f64 v[38:39], v[32:33], v[30:31]
	v_fma_f64 v[28:29], -v[28:29], v[38:39], v[32:33]
	s_nop 1
	v_div_fmas_f64 v[28:29], v[28:29], v[30:31], v[38:39]
	v_mov_b32_e32 v38, 0x413c25ac
	v_mov_b32_e32 v39, 0x40501457
	v_div_fixup_f64 v[28:29], v[28:29], v[26:27], s[6:7]
	v_mov_b32_e32 v26, 0x983b6b27
	v_mov_b32_e32 v27, 0x3f4a1d30
	s_mov_b32 s6, 0xb35dd1cf
	s_mov_b32 s7, 0x3fb534b0
	v_fma_f64 v[26:27], v[28:29], 0, v[26:27]
	v_fma_f64 v[38:39], v[28:29], 0, v[38:39]
	;; [unrolled: 1-line block ×3, first 2 shown]
	s_mov_b32 s6, 0x4e680b98
	s_mov_b32 s7, 0x3ff3d521
	v_fma_f64 v[26:27], v[28:29], v[26:27], s[6:7]
	s_mov_b32 s6, 0xe97a0956
	s_mov_b32 s7, 0x4015c9fb
	v_fma_f64 v[26:27], v[28:29], v[26:27], s[6:7]
	;; [unrolled: 3-line block ×4, first 2 shown]
	v_mov_b32_e32 v26, 0xce039737
	v_mov_b32_e32 v27, 0x3f4e4a80
	v_fma_f64 v[26:27], v[28:29], 0, v[26:27]
	s_mov_b32 s6, 0xab5454e3
	s_mov_b32 s7, 0x3fb5ebc5
	v_fma_f64 v[26:27], v[28:29], v[26:27], s[6:7]
	s_mov_b32 s6, 0xc9b3069f
	s_mov_b32 s7, 0x3ff40e72
	v_fma_f64 v[26:27], v[28:29], v[26:27], s[6:7]
	s_mov_b32 s6, 0xe68162bb
	s_mov_b32 s7, 0x4015e247
	v_fma_f64 v[26:27], v[28:29], v[26:27], s[6:7]
	s_mov_b32 s6, 0xea1b21a1
	s_mov_b32 s7, 0x40218618
	v_fma_f64 v[26:27], v[28:29], v[26:27], s[6:7]
	s_mov_b32 s6, 0xed423a19
	s_mov_b32 s7, 0x40153965
	v_fma_f64 v[26:27], v[28:29], v[26:27], s[6:7]
	s_mov_b32 s6, 0x3a321174
	s_mov_b32 s7, 0xbff4853b
	v_fma_f64 v[32:33], v[28:29], v[26:27], 1.0
	v_mov_b32_e32 v26, 0x38a5384a
	v_mov_b32_e32 v27, 0xbf874742
	v_fma_f64 v[26:27], v[28:29], 0, v[26:27]
	v_fma_f64 v[26:27], v[28:29], v[26:27], s[6:7]
	s_mov_b32 s6, 0xf50e2c0c
	s_mov_b32 s7, 0xc0338dcf
	v_fma_f64 v[26:27], v[28:29], v[26:27], s[6:7]
	s_mov_b32 s6, 0x5a6de8c4
	s_mov_b32 s7, 0xc0574d2f
	;; [unrolled: 3-line block ×12, first 2 shown]
	v_fma_f64 v[38:39], v[28:29], v[38:39], s[6:7]
	v_fma_f64 v[28:29], v[28:29], v[30:31], 1.0
	v_div_scale_f64 v[30:31], s[6:7], v[32:33], v[32:33], v[28:29]
	s_mov_b32 s6, 0x9037ab78
	s_mov_b32 s7, 0x3e21eeb6
	v_rcp_f64_e32 v[48:49], v[30:31]
	v_fma_f64 v[50:51], -v[30:31], v[48:49], 1.0
	v_fma_f64 v[48:49], v[48:49], v[50:51], v[48:49]
	v_fma_f64 v[50:51], -v[30:31], v[48:49], 1.0
	v_fma_f64 v[48:49], v[48:49], v[50:51], v[48:49]
	v_div_scale_f64 v[50:51], vcc, v[28:29], v[32:33], v[28:29]
	v_mul_f64 v[52:53], v[50:51], v[48:49]
	v_fma_f64 v[30:31], -v[30:31], v[52:53], v[50:51]
	s_nop 1
	v_div_fmas_f64 v[30:31], v[30:31], v[48:49], v[52:53]
	v_mov_b32_e32 v53, s7
	v_mov_b32_e32 v52, s6
	s_mov_b32 s6, 0xb42fdfa7
	s_mov_b32 s7, 0xbe5ae600
	v_div_fixup_f64 v[28:29], v[30:31], v[32:33], v[28:29]
	v_mul_f64 v[30:31], v[22:23], v[22:23]
	v_mul_f64 v[32:33], v[30:31], 0.5
	v_fma_f64 v[54:55], v[30:31], s[12:13], v[52:53]
	v_add_f64 v[48:49], -v[32:33], 1.0
	v_fma_f64 v[54:55], v[30:31], v[54:55], s[14:15]
	v_add_f64 v[50:51], -v[48:49], 1.0
	v_fma_f64 v[54:55], v[30:31], v[54:55], s[16:17]
	v_add_f64 v[32:33], v[50:51], -v[32:33]
	v_fma_f64 v[54:55], v[30:31], v[54:55], s[18:19]
	v_mul_f64 v[50:51], v[30:31], v[30:31]
	v_fma_f64 v[32:33], v[22:23], -v[24:25], v[32:33]
	v_fma_f64 v[54:55], v[30:31], v[54:55], s[20:21]
	v_fma_f64 v[32:33], v[50:51], v[54:55], v[32:33]
	v_mul_f64 v[54:55], v[22:23], -v[30:31]
	v_add_f64 v[32:33], v[48:49], v[32:33]
	v_mov_b32_e32 v49, s7
	v_mov_b32_e32 v48, s6
	v_fma_f64 v[50:51], v[30:31], s[22:23], v[48:49]
	s_movk_i32 s6, 0x1f8
	v_cmp_class_f64_e64 s[6:7], v[14:15], s6
	v_and_b32_e32 v14, 1, v36
	v_fma_f64 v[50:51], v[30:31], v[50:51], s[24:25]
	v_fma_f64 v[50:51], v[30:31], v[50:51], s[26:27]
	;; [unrolled: 1-line block ×4, first 2 shown]
	v_mov_b32_e32 v64, 0x7ff80000
	v_fma_f64 v[24:25], v[30:31], v[50:51], -v[24:25]
	v_fma_f64 v[24:25], v[54:55], s[40:41], v[24:25]
	v_add_f64 v[22:23], v[22:23], -v[24:25]
	v_and_b32_e32 v24, 1, v37
	v_cmp_eq_u32_e32 vcc, 0, v24
	v_lshlrev_b32_e32 v24, 30, v37
	v_and_b32_e32 v24, 0x80000000, v24
	v_xor_b32_e32 v23, 0x80000000, v23
	v_cndmask_b32_e32 v23, v23, v33, vcc
	v_xor_b32_e32 v23, v23, v24
	v_div_scale_f64 v[24:25], s[46:47], v[16:17], v[16:17], s[44:45]
	v_cndmask_b32_e32 v22, v22, v32, vcc
	v_cndmask_b32_e64 v22, 0, v22, s[6:7]
	v_cndmask_b32_e64 v23, v64, v23, s[6:7]
	v_rcp_f64_e32 v[30:31], v[24:25]
	v_fma_f64 v[32:33], -v[24:25], v[30:31], 1.0
	v_fma_f64 v[30:31], v[30:31], v[32:33], v[30:31]
	v_fma_f64 v[32:33], -v[24:25], v[30:31], 1.0
	v_fma_f64 v[30:31], v[30:31], v[32:33], v[30:31]
	v_div_scale_f64 v[32:33], vcc, s[44:45], v[16:17], s[44:45]
	v_mul_f64 v[50:51], v[32:33], v[30:31]
	v_fma_f64 v[24:25], -v[24:25], v[50:51], v[32:33]
	s_nop 1
	v_div_fmas_f64 v[24:25], v[24:25], v[30:31], v[50:51]
	v_div_fixup_f64 v[24:25], v[24:25], v[16:17], s[44:45]
	v_div_scale_f64 v[30:31], s[44:45], v[38:39], v[38:39], v[26:27]
	v_rcp_f64_e32 v[32:33], v[30:31]
	v_fma_f64 v[50:51], -v[30:31], v[32:33], 1.0
	v_fma_f64 v[32:33], v[32:33], v[50:51], v[32:33]
	v_fma_f64 v[50:51], -v[30:31], v[32:33], 1.0
	v_fma_f64 v[32:33], v[32:33], v[50:51], v[32:33]
	v_div_scale_f64 v[50:51], vcc, v[26:27], v[38:39], v[26:27]
	v_mul_f64 v[54:55], v[50:51], v[32:33]
	v_fma_f64 v[30:31], -v[30:31], v[54:55], v[50:51]
	s_nop 1
	v_div_fmas_f64 v[30:31], v[30:31], v[32:33], v[54:55]
	v_cmp_eq_u32_e32 vcc, 0, v14
	v_div_fixup_f64 v[26:27], v[30:31], v[38:39], v[26:27]
	v_mul_f64 v[24:25], v[24:25], v[26:27]
	v_mul_f64 v[26:27], v[18:19], v[18:19]
	v_mul_f64 v[30:31], v[26:27], 0.5
	v_fma_f64 v[50:51], v[26:27], s[12:13], v[52:53]
	v_add_f64 v[32:33], -v[30:31], 1.0
	v_fma_f64 v[50:51], v[26:27], v[50:51], s[14:15]
	v_add_f64 v[37:38], -v[32:33], 1.0
	v_fma_f64 v[50:51], v[26:27], v[50:51], s[16:17]
	v_add_f64 v[30:31], v[37:38], -v[30:31]
	v_fma_f64 v[50:51], v[26:27], v[50:51], s[18:19]
	v_mul_f64 v[37:38], v[26:27], v[26:27]
	v_fma_f64 v[30:31], v[18:19], -v[20:21], v[30:31]
	v_fma_f64 v[50:51], v[26:27], v[50:51], s[20:21]
	v_fma_f64 v[30:31], v[37:38], v[50:51], v[30:31]
	v_mul_f64 v[37:38], v[18:19], -v[26:27]
	v_add_f64 v[30:31], v[32:33], v[30:31]
	v_fma_f64 v[32:33], v[26:27], s[22:23], v[48:49]
	v_mul_f64 v[48:49], v[20:21], 0.5
	v_fma_f64 v[32:33], v[26:27], v[32:33], s[24:25]
	v_fma_f64 v[32:33], v[26:27], v[32:33], s[26:27]
	;; [unrolled: 1-line block ×4, first 2 shown]
	v_fma_f64 v[20:21], v[26:27], v[32:33], -v[20:21]
	v_fma_f64 v[20:21], v[37:38], s[40:41], v[20:21]
	v_add_f64 v[18:19], v[18:19], -v[20:21]
	v_cndmask_b32_e32 v14, v30, v18, vcc
	v_cndmask_b32_e32 v18, v31, v19, vcc
	v_lshlrev_b32_e32 v19, 30, v36
	v_xor_b32_e32 v15, v19, v15
	v_and_b32_e32 v15, 0x80000000, v15
	v_xor_b32_e32 v15, v18, v15
	v_cndmask_b32_e64 v14, 0, v14, s[6:7]
	v_cndmask_b32_e64 v15, v64, v15, s[6:7]
	v_mul_f64 v[14:15], v[24:25], v[14:15]
	s_mov_b32 s6, 0x33d43651
	s_mov_b32 s7, 0x3fe98845
	v_mov_b32_e32 v18, 0x100
	v_fma_f64 v[14:15], v[28:29], v[22:23], v[14:15]
	v_mul_f64 v[14:15], v[14:15], s[6:7]
	s_mov_b32 s6, 0
	s_brev_b32 s7, 8
	v_cmp_gt_f64_e32 vcc, s[6:7], v[16:17]
	v_cndmask_b32_e32 v18, 0, v18, vcc
	v_ldexp_f64 v[16:17], v[16:17], v18
	v_rsq_f64_e32 v[18:19], v[16:17]
	v_mul_f64 v[20:21], v[16:17], v[18:19]
	v_mul_f64 v[18:19], v[18:19], 0.5
	v_fma_f64 v[22:23], -v[18:19], v[20:21], 0.5
	v_fma_f64 v[20:21], v[20:21], v[22:23], v[20:21]
	v_fma_f64 v[18:19], v[18:19], v[22:23], v[18:19]
	v_fma_f64 v[24:25], -v[20:21], v[20:21], v[16:17]
	v_fma_f64 v[20:21], v[24:25], v[18:19], v[20:21]
	v_fma_f64 v[22:23], -v[20:21], v[20:21], v[16:17]
	v_fma_f64 v[18:19], v[22:23], v[18:19], v[20:21]
	v_mov_b32_e32 v20, 0xffffff80
	v_cndmask_b32_e32 v20, 0, v20, vcc
	v_ldexp_f64 v[18:19], v[18:19], v20
	v_mov_b32_e32 v20, 0x260
	v_cmp_class_f64_e32 vcc, v[16:17], v20
	v_cndmask_b32_e32 v17, v19, v17, vcc
	v_cndmask_b32_e32 v16, v18, v16, vcc
	v_div_scale_f64 v[18:19], s[6:7], v[16:17], v[16:17], v[14:15]
	v_rcp_f64_e32 v[20:21], v[18:19]
	v_fma_f64 v[22:23], -v[18:19], v[20:21], 1.0
	v_fma_f64 v[20:21], v[20:21], v[22:23], v[20:21]
	v_fma_f64 v[22:23], -v[18:19], v[20:21], 1.0
	v_fma_f64 v[20:21], v[20:21], v[22:23], v[20:21]
	v_div_scale_f64 v[22:23], vcc, v[14:15], v[16:17], v[14:15]
	v_mul_f64 v[24:25], v[22:23], v[20:21]
	v_fma_f64 v[18:19], -v[18:19], v[24:25], v[22:23]
	s_nop 1
	v_div_fmas_f64 v[18:19], v[18:19], v[20:21], v[24:25]
	v_div_fixup_f64 v[14:15], v[18:19], v[16:17], v[14:15]
.LBB0_43:
	s_or_b64 exec, exec, s[10:11]
.LBB0_44:
	s_or_b64 exec, exec, s[8:9]
	s_waitcnt vmcnt(0) lgkmcnt(0)
	v_add_u32_e32 v16, 0x200, v34
	v_cmp_lt_i32_e32 vcc, v16, v4
	s_and_saveexec_b64 s[8:9], vcc
	s_cbranch_execz .LBB0_62
; %bb.45:
	v_cmp_gt_f64_e32 vcc, 0, v[8:9]
	v_xor_b32_e32 v12, 0x80000000, v9
	s_mov_b32 s6, 0
	s_mov_b32 s7, 0x40140000
	v_cndmask_b32_e32 v9, v9, v12, vcc
	v_cmp_ge_f64_e32 vcc, s[6:7], v[8:9]
	v_mul_f64 v[24:25], v[8:9], v[8:9]
	s_and_saveexec_b64 s[6:7], vcc
	s_xor_b64 s[6:7], exec, s[6:7]
                                        ; implicit-def: $vgpr12_vgpr13
	s_cbranch_execz .LBB0_51
; %bb.46:
	s_mov_b32 s10, 0x88e368f1
	s_mov_b32 s11, 0x3ee4f8b5
	v_cmp_ngt_f64_e32 vcc, s[10:11], v[8:9]
	s_and_saveexec_b64 s[10:11], vcc
	s_xor_b64 s[10:11], exec, s[10:11]
                                        ; implicit-def: $vgpr12_vgpr13
	s_cbranch_execz .LBB0_48
; %bb.47:
	v_mov_b32_e32 v8, 0xa696b78c
	v_mov_b32_e32 v9, 0x407f3902
	v_fma_f64 v[8:9], v[24:25], 0, v[8:9]
	s_mov_b32 s12, 0x36a21a67
	s_mov_b32 s13, 0x410536cb
	s_mov_b32 s14, 0x9444914
	v_mov_b32_e32 v12, 0xad1c8325
	v_mov_b32_e32 v13, 0xc1f1dc53
	s_mov_b32 s15, 0x4204d5b0
	v_fma_f64 v[12:13], v[24:25], 0, v[12:13]
	v_fma_f64 v[8:9], v[24:25], v[8:9], s[12:13]
	s_mov_b32 s12, 0x2eac0634
	s_mov_b32 s13, 0x41871934
	s_mov_b32 s16, 0x72182e46
	s_mov_b32 s17, 0x427ebeb3
	s_mov_b32 s18, 0x8c9748e9
	s_mov_b32 s19, 0x42f1a6a2
	v_fma_f64 v[8:9], v[24:25], v[8:9], s[12:13]
	s_mov_b32 s12, 0xc772990d
	s_mov_b32 s13, 0x427c7751
	v_fma_f64 v[12:13], v[24:25], v[12:13], s[12:13]
	s_mov_b32 s12, 0x80462bbb
	s_mov_b32 s13, 0xc01721fb
	v_add_f64 v[16:17], v[24:25], s[12:13]
	s_mov_b32 s12, 0x7e7b2e9c
	v_fma_f64 v[8:9], v[24:25], v[8:9], s[14:15]
	s_mov_b32 s14, 0xe0d900f7
	s_mov_b32 s15, 0xc2ec5614
	v_fma_f64 v[12:13], v[24:25], v[12:13], s[14:15]
	s_mov_b32 s14, 0x69ff5fb4
	s_mov_b32 s13, 0x435c4141
	;; [unrolled: 1-line block ×3, first 2 shown]
	v_fma_f64 v[8:9], v[24:25], v[8:9], s[16:17]
	s_mov_b32 s16, 0xa621dd6f
	s_mov_b32 s17, 0xc03e78a4
	v_add_f64 v[18:19], v[24:25], s[16:17]
	v_fma_f64 v[12:13], v[24:25], v[12:13], s[14:15]
	v_fma_f64 v[8:9], v[24:25], v[8:9], s[18:19]
	v_mul_f64 v[16:17], v[16:17], v[18:19]
	v_fma_f64 v[8:9], v[24:25], v[8:9], s[12:13]
	s_mov_b32 s12, 0xc7b662cc
	s_mov_b32 s13, 0x43b7be34
	v_mul_f64 v[12:13], v[16:17], v[12:13]
	v_fma_f64 v[8:9], v[24:25], v[8:9], s[12:13]
                                        ; implicit-def: $vgpr24_vgpr25
	v_div_scale_f64 v[16:17], s[12:13], v[8:9], v[8:9], v[12:13]
	v_div_scale_f64 v[22:23], vcc, v[12:13], v[8:9], v[12:13]
	v_rcp_f64_e32 v[18:19], v[16:17]
	v_fma_f64 v[20:21], -v[16:17], v[18:19], 1.0
	v_fma_f64 v[18:19], v[18:19], v[20:21], v[18:19]
	v_fma_f64 v[20:21], -v[16:17], v[18:19], 1.0
	v_fma_f64 v[18:19], v[18:19], v[20:21], v[18:19]
	v_mul_f64 v[20:21], v[22:23], v[18:19]
	v_fma_f64 v[16:17], -v[16:17], v[20:21], v[22:23]
	v_div_fmas_f64 v[16:17], v[16:17], v[18:19], v[20:21]
	v_div_fixup_f64 v[12:13], v[16:17], v[8:9], v[12:13]
.LBB0_48:
	s_andn2_saveexec_b64 s[10:11], s[10:11]
	s_cbranch_execz .LBB0_50
; %bb.49:
	s_mov_b32 s12, 0
	s_mov_b32 s13, 0xbfd00000
	v_fma_f64 v[12:13], v[24:25], s[12:13], 1.0
.LBB0_50:
	s_or_b64 exec, exec, s[10:11]
                                        ; implicit-def: $vgpr24_vgpr25
                                        ; implicit-def: $vgpr8_vgpr9
.LBB0_51:
	s_andn2_saveexec_b64 s[10:11], s[6:7]
	s_cbranch_execz .LBB0_61
; %bb.52:
	s_mov_b32 s15, 0xbfe921fb
	s_mov_b32 s14, 0x54442d18
	v_add_f64 v[12:13], v[8:9], s[14:15]
	s_mov_b32 s6, 0
	s_mov_b32 s7, 0x41d00000
                                        ; implicit-def: $vgpr33
                                        ; implicit-def: $vgpr20_vgpr21
                                        ; implicit-def: $vgpr22_vgpr23
	v_trig_preop_f64 v[30:31], |v[12:13]|, 0
	v_trig_preop_f64 v[28:29], |v[12:13]|, 1
	v_trig_preop_f64 v[26:27], |v[12:13]|, 2
	v_cmp_nlt_f64_e64 s[12:13], |v[12:13]|, s[6:7]
	s_and_saveexec_b64 s[6:7], s[12:13]
	s_xor_b64 s[16:17], exec, s[6:7]
	s_cbranch_execz .LBB0_54
; %bb.53:
	s_mov_b32 s6, 0
	s_mov_b32 s7, 0x7b000000
	s_movk_i32 s15, 0xff80
	v_ldexp_f64 v[16:17], |v[12:13]|, s15
	v_cmp_ge_f64_e64 vcc, |v[12:13]|, s[6:7]
	v_and_b32_e32 v18, 0x7fffffff, v13
	s_mov_b32 s6, 0
	s_mov_b32 s7, 0x7ff00000
	v_mov_b32_e32 v55, 0x40100000
	v_mov_b32_e32 v54, 0
	s_mov_b32 s15, 0x3ff921fb
	v_cndmask_b32_e32 v17, v18, v17, vcc
	v_cndmask_b32_e32 v16, v12, v16, vcc
	v_mul_f64 v[18:19], v[30:31], v[16:17]
	v_mul_f64 v[20:21], v[28:29], v[16:17]
	;; [unrolled: 1-line block ×3, first 2 shown]
	v_fma_f64 v[22:23], v[30:31], v[16:17], -v[18:19]
	v_fma_f64 v[50:51], v[28:29], v[16:17], -v[20:21]
	;; [unrolled: 1-line block ×3, first 2 shown]
	v_add_f64 v[32:33], v[20:21], v[22:23]
	v_add_f64 v[36:37], v[32:33], -v[20:21]
	v_add_f64 v[52:53], v[18:19], v[32:33]
	v_add_f64 v[38:39], v[32:33], -v[36:37]
	v_add_f64 v[22:23], v[22:23], -v[36:37]
	v_add_f64 v[36:37], v[48:49], v[50:51]
	v_add_f64 v[18:19], v[52:53], -v[18:19]
	v_add_f64 v[20:21], v[20:21], -v[38:39]
	v_ldexp_f64 v[38:39], v[52:53], -2
	v_add_f64 v[64:65], v[36:37], -v[48:49]
	v_add_f64 v[18:19], v[32:33], -v[18:19]
	v_add_f64 v[20:21], v[22:23], v[20:21]
	v_fract_f64_e32 v[22:23], v[38:39]
	v_cmp_neq_f64_e64 vcc, |v[38:39]|, s[6:7]
	v_add_f64 v[50:51], v[50:51], -v[64:65]
	v_add_f64 v[32:33], v[36:37], v[20:21]
	v_ldexp_f64 v[22:23], v[22:23], 2
	v_add_f64 v[38:39], v[18:19], v[32:33]
	v_cndmask_b32_e32 v23, 0, v23, vcc
	v_cndmask_b32_e32 v22, 0, v22, vcc
	v_add_f64 v[66:67], v[32:33], -v[36:37]
	v_add_f64 v[52:53], v[38:39], v[22:23]
	v_add_f64 v[18:19], v[38:39], -v[18:19]
	v_add_f64 v[68:69], v[32:33], -v[66:67]
	;; [unrolled: 1-line block ×3, first 2 shown]
	v_cmp_gt_f64_e32 vcc, 0, v[52:53]
	v_add_f64 v[52:53], v[36:37], -v[64:65]
	v_add_f64 v[18:19], v[32:33], -v[18:19]
	;; [unrolled: 1-line block ×3, first 2 shown]
	v_cndmask_b32_e32 v55, 0, v55, vcc
	v_add_f64 v[22:23], v[22:23], v[54:55]
	v_add_f64 v[52:53], v[48:49], -v[52:53]
	v_add_f64 v[20:21], v[20:21], v[36:37]
	v_add_f64 v[70:71], v[38:39], v[22:23]
	v_add_f64 v[50:51], v[50:51], v[52:53]
	v_cvt_i32_f64_e32 v55, v[70:71]
	v_add_f64 v[20:21], v[50:51], v[20:21]
	v_cvt_f64_i32_e32 v[64:65], v55
	v_add_f64 v[22:23], v[22:23], -v[64:65]
	v_add_f64 v[16:17], v[16:17], v[20:21]
	v_add_f64 v[36:37], v[38:39], v[22:23]
	;; [unrolled: 1-line block ×3, first 2 shown]
	v_add_f64 v[20:21], v[36:37], -v[22:23]
	v_cmp_le_f64_e32 vcc, 0.5, v[36:37]
	v_add_f64 v[18:19], v[38:39], -v[20:21]
	v_mov_b32_e32 v20, 0x3ff00000
	v_addc_co_u32_e64 v33, s[6:7], 0, v55, vcc
	v_cndmask_b32_e32 v55, 0, v20, vcc
	s_mov_b32 s6, 0x33145c07
	s_mov_b32 s7, 0x3c91a626
	v_add_f64 v[16:17], v[16:17], v[18:19]
	v_add_f64 v[18:19], v[36:37], -v[54:55]
	v_add_f64 v[20:21], v[18:19], v[16:17]
	v_mul_f64 v[22:23], v[20:21], s[14:15]
	v_add_f64 v[18:19], v[20:21], -v[18:19]
	v_fma_f64 v[36:37], v[20:21], s[14:15], -v[22:23]
	v_add_f64 v[16:17], v[16:17], -v[18:19]
	v_fma_f64 v[18:19], v[20:21], s[6:7], v[36:37]
	v_fma_f64 v[16:17], v[16:17], s[14:15], v[18:19]
	v_add_f64 v[20:21], v[22:23], v[16:17]
	v_add_f64 v[18:19], v[20:21], -v[22:23]
	v_add_f64 v[22:23], v[16:17], -v[18:19]
	s_andn2_saveexec_b64 s[6:7], s[16:17]
	s_cbranch_execz .LBB0_56
	s_branch .LBB0_55
.LBB0_54:
	s_andn2_saveexec_b64 s[6:7], s[16:17]
	s_cbranch_execz .LBB0_56
.LBB0_55:
	s_mov_b32 s14, 0x6dc9c883
	s_mov_b32 s15, 0x3fe45f30
	v_mul_f64 v[16:17], |v[12:13]|, s[14:15]
	s_mov_b32 s14, 0x54442d18
	s_mov_b32 s15, 0xbff921fb
	s_mov_b32 s17, 0xbc91a626
	s_mov_b32 s16, 0x33145c00
	v_rndne_f64_e32 v[16:17], v[16:17]
	v_fma_f64 v[18:19], v[16:17], s[14:15], |v[12:13]|
	v_mul_f64 v[20:21], v[16:17], s[16:17]
	s_mov_b32 s14, 0x252049c0
	s_mov_b32 s15, 0xb97b839a
	v_add_f64 v[22:23], v[18:19], v[20:21]
	v_add_f64 v[32:33], v[18:19], -v[22:23]
	v_fma_f64 v[18:19], v[16:17], s[16:17], v[18:19]
	s_mov_b32 s17, 0x3c91a626
	v_add_f64 v[32:33], v[32:33], v[20:21]
	v_add_f64 v[22:23], v[22:23], -v[18:19]
	v_fma_f64 v[20:21], v[16:17], s[16:17], v[20:21]
	v_add_f64 v[22:23], v[22:23], v[32:33]
	v_cvt_i32_f64_e32 v33, v[16:17]
	v_add_f64 v[20:21], v[22:23], -v[20:21]
	v_fma_f64 v[22:23], v[16:17], s[14:15], v[20:21]
	v_add_f64 v[20:21], v[18:19], v[22:23]
	v_add_f64 v[18:19], v[20:21], -v[18:19]
	v_add_f64 v[22:23], v[22:23], -v[18:19]
.LBB0_56:
	s_or_b64 exec, exec, s[6:7]
                                        ; implicit-def: $vgpr32
                                        ; implicit-def: $vgpr16_vgpr17
                                        ; implicit-def: $vgpr18_vgpr19
	s_and_saveexec_b64 s[6:7], s[12:13]
	s_xor_b64 s[12:13], exec, s[6:7]
	s_cbranch_execz .LBB0_58
; %bb.57:
	s_mov_b32 s6, 0
	s_mov_b32 s7, 0x7b000000
	s_movk_i32 s14, 0xff80
	v_ldexp_f64 v[16:17], |v[12:13]|, s14
	v_cmp_ge_f64_e64 vcc, |v[12:13]|, s[6:7]
	v_and_b32_e32 v18, 0x7fffffff, v13
	s_mov_b32 s6, 0
	s_mov_b32 s7, 0x7ff00000
	v_mov_b32_e32 v32, 0x40100000
	v_mov_b32_e32 v64, 0
	s_mov_b32 s14, 0x33145c07
	s_mov_b32 s15, 0x3c91a626
	v_cndmask_b32_e32 v17, v18, v17, vcc
	v_cndmask_b32_e32 v16, v12, v16, vcc
	v_mul_f64 v[18:19], v[30:31], v[16:17]
	v_mul_f64 v[36:37], v[28:29], v[16:17]
	;; [unrolled: 1-line block ×3, first 2 shown]
	v_fma_f64 v[30:31], v[30:31], v[16:17], -v[18:19]
	v_fma_f64 v[28:29], v[28:29], v[16:17], -v[36:37]
	;; [unrolled: 1-line block ×3, first 2 shown]
	v_add_f64 v[38:39], v[36:37], v[30:31]
	v_add_f64 v[48:49], v[38:39], -v[36:37]
	v_add_f64 v[54:55], v[18:19], v[38:39]
	v_add_f64 v[50:51], v[38:39], -v[48:49]
	v_add_f64 v[30:31], v[30:31], -v[48:49]
	v_add_f64 v[48:49], v[52:53], v[28:29]
	v_add_f64 v[18:19], v[54:55], -v[18:19]
	v_add_f64 v[36:37], v[36:37], -v[50:51]
	v_ldexp_f64 v[50:51], v[54:55], -2
	v_add_f64 v[66:67], v[48:49], -v[52:53]
	v_add_f64 v[18:19], v[38:39], -v[18:19]
	v_add_f64 v[30:31], v[30:31], v[36:37]
	v_fract_f64_e32 v[36:37], v[50:51]
	v_cmp_neq_f64_e64 vcc, |v[50:51]|, s[6:7]
	v_add_f64 v[28:29], v[28:29], -v[66:67]
	v_add_f64 v[38:39], v[48:49], v[30:31]
	v_ldexp_f64 v[36:37], v[36:37], 2
	v_add_f64 v[50:51], v[18:19], v[38:39]
	v_cndmask_b32_e32 v37, 0, v37, vcc
	v_cndmask_b32_e32 v36, 0, v36, vcc
	v_add_f64 v[68:69], v[38:39], -v[48:49]
	v_add_f64 v[54:55], v[50:51], v[36:37]
	v_add_f64 v[18:19], v[50:51], -v[18:19]
	v_add_f64 v[70:71], v[38:39], -v[68:69]
	;; [unrolled: 1-line block ×3, first 2 shown]
	v_cmp_gt_f64_e32 vcc, 0, v[54:55]
	v_add_f64 v[54:55], v[48:49], -v[66:67]
	v_add_f64 v[18:19], v[38:39], -v[18:19]
	;; [unrolled: 1-line block ×3, first 2 shown]
	v_cndmask_b32_e32 v65, 0, v32, vcc
	v_add_f64 v[36:37], v[36:37], v[64:65]
	v_add_f64 v[54:55], v[52:53], -v[54:55]
	v_add_f64 v[30:31], v[30:31], v[48:49]
	v_add_f64 v[80:81], v[50:51], v[36:37]
	;; [unrolled: 1-line block ×3, first 2 shown]
	v_cvt_i32_f64_e32 v32, v[80:81]
	v_add_f64 v[26:27], v[28:29], v[30:31]
	v_cvt_f64_i32_e32 v[65:66], v32
	v_add_f64 v[36:37], v[36:37], -v[65:66]
	v_add_f64 v[16:17], v[16:17], v[26:27]
	v_add_f64 v[28:29], v[50:51], v[36:37]
	v_add_f64 v[16:17], v[18:19], v[16:17]
	v_add_f64 v[26:27], v[28:29], -v[36:37]
	v_cmp_le_f64_e32 vcc, 0.5, v[28:29]
	v_add_f64 v[18:19], v[50:51], -v[26:27]
	v_mov_b32_e32 v26, 0x3ff00000
	v_cndmask_b32_e32 v65, 0, v26, vcc
	v_addc_co_u32_e64 v32, s[6:7], 0, v32, vcc
	s_mov_b32 s6, 0x54442d18
	s_mov_b32 s7, 0x3ff921fb
	v_add_f64 v[16:17], v[16:17], v[18:19]
	v_add_f64 v[18:19], v[28:29], -v[64:65]
	v_add_f64 v[26:27], v[18:19], v[16:17]
	v_mul_f64 v[28:29], v[26:27], s[6:7]
	v_add_f64 v[18:19], v[26:27], -v[18:19]
	v_fma_f64 v[30:31], v[26:27], s[6:7], -v[28:29]
	v_add_f64 v[16:17], v[16:17], -v[18:19]
	v_fma_f64 v[18:19], v[26:27], s[14:15], v[30:31]
	v_fma_f64 v[18:19], v[16:17], s[6:7], v[18:19]
	v_add_f64 v[16:17], v[28:29], v[18:19]
	v_add_f64 v[26:27], v[16:17], -v[28:29]
	v_add_f64 v[18:19], v[18:19], -v[26:27]
	s_andn2_saveexec_b64 s[6:7], s[12:13]
	s_cbranch_execnz .LBB0_59
	s_branch .LBB0_60
.LBB0_58:
	s_andn2_saveexec_b64 s[6:7], s[12:13]
	s_cbranch_execz .LBB0_60
.LBB0_59:
	s_mov_b32 s12, 0x6dc9c883
	s_mov_b32 s13, 0x3fe45f30
	v_mul_f64 v[16:17], |v[12:13]|, s[12:13]
	s_mov_b32 s12, 0x54442d18
	s_mov_b32 s13, 0xbff921fb
	;; [unrolled: 1-line block ×4, first 2 shown]
	v_rndne_f64_e32 v[26:27], v[16:17]
	v_fma_f64 v[16:17], v[26:27], s[12:13], |v[12:13]|
	v_mul_f64 v[18:19], v[26:27], s[14:15]
	s_mov_b32 s12, 0x252049c0
	s_mov_b32 s13, 0xb97b839a
	v_cvt_i32_f64_e32 v32, v[26:27]
	v_fma_f64 v[36:37], v[26:27], s[14:15], v[16:17]
	v_add_f64 v[28:29], v[16:17], v[18:19]
	s_mov_b32 s15, 0x3c91a626
	v_add_f64 v[30:31], v[16:17], -v[28:29]
	v_add_f64 v[28:29], v[28:29], -v[36:37]
	v_add_f64 v[16:17], v[30:31], v[18:19]
	v_fma_f64 v[18:19], v[26:27], s[14:15], v[18:19]
	v_add_f64 v[16:17], v[28:29], v[16:17]
	v_add_f64 v[16:17], v[16:17], -v[18:19]
	v_fma_f64 v[18:19], v[26:27], s[12:13], v[16:17]
	v_add_f64 v[16:17], v[36:37], v[18:19]
	v_add_f64 v[28:29], v[16:17], -v[36:37]
	v_add_f64 v[18:19], v[18:19], -v[28:29]
.LBB0_60:
	s_or_b64 exec, exec, s[6:7]
	s_mov_b32 s6, 0
	s_mov_b32 s7, 0x40390000
	v_div_scale_f64 v[26:27], s[12:13], v[24:25], v[24:25], s[6:7]
	s_mov_b32 s12, 0x46cc5e42
	s_mov_b32 s13, 0xbda907db
	;; [unrolled: 1-line block ×14, first 2 shown]
	v_rcp_f64_e32 v[28:29], v[26:27]
	s_mov_b32 s26, 0x19e83e5c
	s_mov_b32 s27, 0xbf2a01a0
	;; [unrolled: 1-line block ×4, first 2 shown]
	v_mul_f64 v[54:55], v[22:23], 0.5
	s_mov_b32 s41, 0xbfc55555
	s_mov_b32 s40, s20
	;; [unrolled: 1-line block ×4, first 2 shown]
	v_fma_f64 v[30:31], -v[26:27], v[28:29], 1.0
	v_fma_f64 v[28:29], v[28:29], v[30:31], v[28:29]
	v_fma_f64 v[30:31], -v[26:27], v[28:29], 1.0
	v_fma_f64 v[28:29], v[28:29], v[30:31], v[28:29]
	v_div_scale_f64 v[30:31], vcc, s[6:7], v[24:25], s[6:7]
	v_mul_f64 v[36:37], v[30:31], v[28:29]
	v_fma_f64 v[26:27], -v[26:27], v[36:37], v[30:31]
	s_nop 1
	v_div_fmas_f64 v[26:27], v[26:27], v[28:29], v[36:37]
	v_mov_b32_e32 v36, 0x413c25ac
	v_mov_b32_e32 v37, 0x40501457
	v_div_fixup_f64 v[26:27], v[26:27], v[24:25], s[6:7]
	v_mov_b32_e32 v24, 0x983b6b27
	v_mov_b32_e32 v25, 0x3f4a1d30
	s_mov_b32 s6, 0xb35dd1cf
	s_mov_b32 s7, 0x3fb534b0
	v_fma_f64 v[24:25], v[26:27], 0, v[24:25]
	v_fma_f64 v[36:37], v[26:27], 0, v[36:37]
	;; [unrolled: 1-line block ×3, first 2 shown]
	s_mov_b32 s6, 0x4e680b98
	s_mov_b32 s7, 0x3ff3d521
	v_fma_f64 v[24:25], v[26:27], v[24:25], s[6:7]
	s_mov_b32 s6, 0xe97a0956
	s_mov_b32 s7, 0x4015c9fb
	v_fma_f64 v[24:25], v[26:27], v[24:25], s[6:7]
	;; [unrolled: 3-line block ×4, first 2 shown]
	v_mov_b32_e32 v24, 0xce039737
	v_mov_b32_e32 v25, 0x3f4e4a80
	v_fma_f64 v[24:25], v[26:27], 0, v[24:25]
	s_mov_b32 s6, 0xab5454e3
	s_mov_b32 s7, 0x3fb5ebc5
	v_fma_f64 v[24:25], v[26:27], v[24:25], s[6:7]
	s_mov_b32 s6, 0xc9b3069f
	s_mov_b32 s7, 0x3ff40e72
	;; [unrolled: 3-line block ×6, first 2 shown]
	v_fma_f64 v[30:31], v[26:27], v[24:25], 1.0
	v_mov_b32_e32 v24, 0x38a5384a
	v_mov_b32_e32 v25, 0xbf874742
	v_fma_f64 v[24:25], v[26:27], 0, v[24:25]
	v_fma_f64 v[24:25], v[26:27], v[24:25], s[6:7]
	s_mov_b32 s6, 0xf50e2c0c
	s_mov_b32 s7, 0xc0338dcf
	v_fma_f64 v[24:25], v[26:27], v[24:25], s[6:7]
	s_mov_b32 s6, 0x5a6de8c4
	s_mov_b32 s7, 0xc0574d2f
	;; [unrolled: 3-line block ×12, first 2 shown]
	v_fma_f64 v[36:37], v[26:27], v[36:37], s[6:7]
	v_fma_f64 v[26:27], v[26:27], v[28:29], 1.0
	v_div_scale_f64 v[28:29], s[6:7], v[30:31], v[30:31], v[26:27]
	s_mov_b32 s6, 0x9037ab78
	s_mov_b32 s7, 0x3e21eeb6
	v_rcp_f64_e32 v[38:39], v[28:29]
	v_fma_f64 v[48:49], -v[28:29], v[38:39], 1.0
	v_fma_f64 v[38:39], v[38:39], v[48:49], v[38:39]
	v_fma_f64 v[48:49], -v[28:29], v[38:39], 1.0
	v_fma_f64 v[38:39], v[38:39], v[48:49], v[38:39]
	v_div_scale_f64 v[48:49], vcc, v[26:27], v[30:31], v[26:27]
	v_mul_f64 v[50:51], v[48:49], v[38:39]
	v_fma_f64 v[28:29], -v[28:29], v[50:51], v[48:49]
	s_nop 1
	v_div_fmas_f64 v[28:29], v[28:29], v[38:39], v[50:51]
	v_mov_b32_e32 v51, s7
	v_mov_b32_e32 v50, s6
	s_mov_b32 s6, 0xb42fdfa7
	s_mov_b32 s7, 0xbe5ae600
	v_div_fixup_f64 v[26:27], v[28:29], v[30:31], v[26:27]
	v_mul_f64 v[28:29], v[20:21], v[20:21]
	v_mul_f64 v[30:31], v[28:29], 0.5
	v_fma_f64 v[52:53], v[28:29], s[12:13], v[50:51]
	v_add_f64 v[38:39], -v[30:31], 1.0
	v_fma_f64 v[52:53], v[28:29], v[52:53], s[14:15]
	v_add_f64 v[48:49], -v[38:39], 1.0
	v_fma_f64 v[52:53], v[28:29], v[52:53], s[16:17]
	v_add_f64 v[30:31], v[48:49], -v[30:31]
	v_fma_f64 v[52:53], v[28:29], v[52:53], s[18:19]
	v_mul_f64 v[48:49], v[28:29], v[28:29]
	v_fma_f64 v[30:31], v[20:21], -v[22:23], v[30:31]
	v_fma_f64 v[52:53], v[28:29], v[52:53], s[20:21]
	v_fma_f64 v[30:31], v[48:49], v[52:53], v[30:31]
	v_mul_f64 v[52:53], v[20:21], -v[28:29]
	v_add_f64 v[30:31], v[38:39], v[30:31]
	v_mov_b32_e32 v39, s7
	v_mov_b32_e32 v38, s6
	v_fma_f64 v[48:49], v[28:29], s[22:23], v[38:39]
	s_movk_i32 s6, 0x1f8
	v_cmp_class_f64_e64 s[6:7], v[12:13], s6
	v_and_b32_e32 v12, 1, v32
	v_fma_f64 v[48:49], v[28:29], v[48:49], s[24:25]
	v_fma_f64 v[48:49], v[28:29], v[48:49], s[26:27]
	;; [unrolled: 1-line block ×4, first 2 shown]
	v_fma_f64 v[22:23], v[28:29], v[48:49], -v[22:23]
	v_fma_f64 v[22:23], v[52:53], s[40:41], v[22:23]
	v_add_f64 v[20:21], v[20:21], -v[22:23]
	v_and_b32_e32 v22, 1, v33
	v_cmp_eq_u32_e32 vcc, 0, v22
	v_lshlrev_b32_e32 v22, 30, v33
	v_and_b32_e32 v22, 0x80000000, v22
	v_mov_b32_e32 v33, 0x7ff80000
	v_xor_b32_e32 v21, 0x80000000, v21
	v_cndmask_b32_e32 v21, v21, v31, vcc
	v_xor_b32_e32 v21, v21, v22
	v_div_scale_f64 v[22:23], s[46:47], v[8:9], v[8:9], s[44:45]
	v_cndmask_b32_e32 v20, v20, v30, vcc
	v_cndmask_b32_e64 v20, 0, v20, s[6:7]
	v_cndmask_b32_e64 v21, v33, v21, s[6:7]
	v_rcp_f64_e32 v[28:29], v[22:23]
	v_fma_f64 v[30:31], -v[22:23], v[28:29], 1.0
	v_fma_f64 v[28:29], v[28:29], v[30:31], v[28:29]
	v_fma_f64 v[30:31], -v[22:23], v[28:29], 1.0
	v_fma_f64 v[28:29], v[28:29], v[30:31], v[28:29]
	v_div_scale_f64 v[30:31], vcc, s[44:45], v[8:9], s[44:45]
	v_mul_f64 v[48:49], v[30:31], v[28:29]
	v_fma_f64 v[22:23], -v[22:23], v[48:49], v[30:31]
	s_nop 1
	v_div_fmas_f64 v[22:23], v[22:23], v[28:29], v[48:49]
	v_div_fixup_f64 v[22:23], v[22:23], v[8:9], s[44:45]
	v_div_scale_f64 v[28:29], s[44:45], v[36:37], v[36:37], v[24:25]
	v_rcp_f64_e32 v[30:31], v[28:29]
	v_fma_f64 v[48:49], -v[28:29], v[30:31], 1.0
	v_fma_f64 v[30:31], v[30:31], v[48:49], v[30:31]
	v_fma_f64 v[48:49], -v[28:29], v[30:31], 1.0
	v_fma_f64 v[30:31], v[30:31], v[48:49], v[30:31]
	v_div_scale_f64 v[48:49], vcc, v[24:25], v[36:37], v[24:25]
	v_mul_f64 v[52:53], v[48:49], v[30:31]
	v_fma_f64 v[28:29], -v[28:29], v[52:53], v[48:49]
	s_nop 1
	v_div_fmas_f64 v[28:29], v[28:29], v[30:31], v[52:53]
	v_cmp_eq_u32_e32 vcc, 0, v12
	v_div_fixup_f64 v[24:25], v[28:29], v[36:37], v[24:25]
	v_mul_f64 v[22:23], v[22:23], v[24:25]
	v_mul_f64 v[24:25], v[16:17], v[16:17]
	v_mul_f64 v[28:29], v[24:25], 0.5
	v_fma_f64 v[48:49], v[24:25], s[12:13], v[50:51]
	v_add_f64 v[30:31], -v[28:29], 1.0
	v_fma_f64 v[48:49], v[24:25], v[48:49], s[14:15]
	v_add_f64 v[36:37], -v[30:31], 1.0
	v_fma_f64 v[48:49], v[24:25], v[48:49], s[16:17]
	v_add_f64 v[28:29], v[36:37], -v[28:29]
	v_fma_f64 v[48:49], v[24:25], v[48:49], s[18:19]
	v_mul_f64 v[36:37], v[24:25], v[24:25]
	v_fma_f64 v[28:29], v[16:17], -v[18:19], v[28:29]
	v_fma_f64 v[48:49], v[24:25], v[48:49], s[20:21]
	v_fma_f64 v[28:29], v[36:37], v[48:49], v[28:29]
	v_mul_f64 v[36:37], v[16:17], -v[24:25]
	v_add_f64 v[28:29], v[30:31], v[28:29]
	v_fma_f64 v[30:31], v[24:25], s[22:23], v[38:39]
	v_mul_f64 v[38:39], v[18:19], 0.5
	v_fma_f64 v[30:31], v[24:25], v[30:31], s[24:25]
	v_fma_f64 v[30:31], v[24:25], v[30:31], s[26:27]
	;; [unrolled: 1-line block ×4, first 2 shown]
	v_fma_f64 v[18:19], v[24:25], v[30:31], -v[18:19]
	v_fma_f64 v[18:19], v[36:37], s[40:41], v[18:19]
	v_add_f64 v[16:17], v[16:17], -v[18:19]
	v_cndmask_b32_e32 v12, v28, v16, vcc
	v_cndmask_b32_e32 v16, v29, v17, vcc
	v_lshlrev_b32_e32 v17, 30, v32
	v_xor_b32_e32 v13, v17, v13
	v_and_b32_e32 v13, 0x80000000, v13
	v_xor_b32_e32 v13, v16, v13
	v_cndmask_b32_e64 v12, 0, v12, s[6:7]
	v_cndmask_b32_e64 v13, v33, v13, s[6:7]
	v_mul_f64 v[12:13], v[22:23], v[12:13]
	s_mov_b32 s6, 0x33d43651
	s_mov_b32 s7, 0x3fe98845
	v_mov_b32_e32 v16, 0x100
	v_fma_f64 v[12:13], v[26:27], v[20:21], v[12:13]
	v_mul_f64 v[12:13], v[12:13], s[6:7]
	s_mov_b32 s6, 0
	s_brev_b32 s7, 8
	v_cmp_gt_f64_e32 vcc, s[6:7], v[8:9]
	v_cndmask_b32_e32 v16, 0, v16, vcc
	v_ldexp_f64 v[8:9], v[8:9], v16
	v_rsq_f64_e32 v[16:17], v[8:9]
	v_mul_f64 v[18:19], v[8:9], v[16:17]
	v_mul_f64 v[16:17], v[16:17], 0.5
	v_fma_f64 v[20:21], -v[16:17], v[18:19], 0.5
	v_fma_f64 v[18:19], v[18:19], v[20:21], v[18:19]
	v_fma_f64 v[16:17], v[16:17], v[20:21], v[16:17]
	v_fma_f64 v[22:23], -v[18:19], v[18:19], v[8:9]
	v_fma_f64 v[18:19], v[22:23], v[16:17], v[18:19]
	v_fma_f64 v[20:21], -v[18:19], v[18:19], v[8:9]
	v_fma_f64 v[16:17], v[20:21], v[16:17], v[18:19]
	v_mov_b32_e32 v18, 0xffffff80
	v_cndmask_b32_e32 v18, 0, v18, vcc
	v_ldexp_f64 v[16:17], v[16:17], v18
	v_mov_b32_e32 v18, 0x260
	v_cmp_class_f64_e32 vcc, v[8:9], v18
	v_cndmask_b32_e32 v9, v17, v9, vcc
	v_cndmask_b32_e32 v8, v16, v8, vcc
	v_div_scale_f64 v[16:17], s[6:7], v[8:9], v[8:9], v[12:13]
	v_rcp_f64_e32 v[18:19], v[16:17]
	v_fma_f64 v[20:21], -v[16:17], v[18:19], 1.0
	v_fma_f64 v[18:19], v[18:19], v[20:21], v[18:19]
	v_fma_f64 v[20:21], -v[16:17], v[18:19], 1.0
	v_fma_f64 v[18:19], v[18:19], v[20:21], v[18:19]
	v_div_scale_f64 v[20:21], vcc, v[12:13], v[8:9], v[12:13]
	v_mul_f64 v[22:23], v[20:21], v[18:19]
	v_fma_f64 v[16:17], -v[16:17], v[22:23], v[20:21]
	s_nop 1
	v_div_fmas_f64 v[16:17], v[16:17], v[18:19], v[22:23]
	v_div_fixup_f64 v[12:13], v[16:17], v[8:9], v[12:13]
.LBB0_61:
	s_or_b64 exec, exec, s[10:11]
.LBB0_62:
	s_or_b64 exec, exec, s[8:9]
	v_add_u32_e32 v8, 0x300, v34
	v_cmp_lt_i32_e32 vcc, v8, v4
	s_and_saveexec_b64 s[8:9], vcc
	s_cbranch_execz .LBB0_72
; %bb.63:
	v_cmp_gt_f64_e32 vcc, 0, v[6:7]
	v_xor_b32_e32 v8, 0x80000000, v7
	s_mov_b32 s6, 0
	s_mov_b32 s7, 0x40140000
	v_cndmask_b32_e32 v7, v7, v8, vcc
	v_cmp_ge_f64_e32 vcc, s[6:7], v[6:7]
	v_mul_f64 v[22:23], v[6:7], v[6:7]
	s_and_saveexec_b64 s[6:7], vcc
	s_xor_b64 s[6:7], exec, s[6:7]
                                        ; implicit-def: $vgpr10_vgpr11
	s_cbranch_execz .LBB0_69
; %bb.64:
	s_mov_b32 s10, 0x88e368f1
	s_mov_b32 s11, 0x3ee4f8b5
	v_cmp_ngt_f64_e32 vcc, s[10:11], v[6:7]
	s_and_saveexec_b64 s[10:11], vcc
	s_xor_b64 s[10:11], exec, s[10:11]
                                        ; implicit-def: $vgpr10_vgpr11
	s_cbranch_execz .LBB0_66
; %bb.65:
	v_mov_b32_e32 v6, 0xa696b78c
	v_mov_b32_e32 v7, 0x407f3902
	v_fma_f64 v[6:7], v[22:23], 0, v[6:7]
	s_mov_b32 s12, 0x36a21a67
	s_mov_b32 s13, 0x410536cb
	;; [unrolled: 1-line block ×3, first 2 shown]
	v_mov_b32_e32 v8, 0xad1c8325
	v_mov_b32_e32 v9, 0xc1f1dc53
	s_mov_b32 s15, 0x4204d5b0
	v_fma_f64 v[8:9], v[22:23], 0, v[8:9]
	v_fma_f64 v[6:7], v[22:23], v[6:7], s[12:13]
	s_mov_b32 s12, 0x2eac0634
	s_mov_b32 s13, 0x41871934
	;; [unrolled: 1-line block ×6, first 2 shown]
	v_fma_f64 v[6:7], v[22:23], v[6:7], s[12:13]
	s_mov_b32 s12, 0xc772990d
	s_mov_b32 s13, 0x427c7751
	v_fma_f64 v[8:9], v[22:23], v[8:9], s[12:13]
	s_mov_b32 s12, 0x80462bbb
	s_mov_b32 s13, 0xc01721fb
	v_add_f64 v[10:11], v[22:23], s[12:13]
	s_mov_b32 s12, 0x7e7b2e9c
	v_fma_f64 v[6:7], v[22:23], v[6:7], s[14:15]
	s_mov_b32 s14, 0xe0d900f7
	s_mov_b32 s15, 0xc2ec5614
	v_fma_f64 v[8:9], v[22:23], v[8:9], s[14:15]
	s_mov_b32 s14, 0x69ff5fb4
	s_mov_b32 s13, 0x435c4141
	;; [unrolled: 1-line block ×3, first 2 shown]
	v_fma_f64 v[6:7], v[22:23], v[6:7], s[16:17]
	s_mov_b32 s16, 0xa621dd6f
	s_mov_b32 s17, 0xc03e78a4
	v_add_f64 v[16:17], v[22:23], s[16:17]
	v_fma_f64 v[8:9], v[22:23], v[8:9], s[14:15]
	v_fma_f64 v[6:7], v[22:23], v[6:7], s[18:19]
	v_mul_f64 v[10:11], v[10:11], v[16:17]
	v_fma_f64 v[6:7], v[22:23], v[6:7], s[12:13]
	s_mov_b32 s12, 0xc7b662cc
	s_mov_b32 s13, 0x43b7be34
	v_mul_f64 v[8:9], v[10:11], v[8:9]
	v_fma_f64 v[6:7], v[22:23], v[6:7], s[12:13]
                                        ; implicit-def: $vgpr22_vgpr23
	v_div_scale_f64 v[10:11], s[12:13], v[6:7], v[6:7], v[8:9]
	v_div_scale_f64 v[20:21], vcc, v[8:9], v[6:7], v[8:9]
	v_rcp_f64_e32 v[16:17], v[10:11]
	v_fma_f64 v[18:19], -v[10:11], v[16:17], 1.0
	v_fma_f64 v[16:17], v[16:17], v[18:19], v[16:17]
	v_fma_f64 v[18:19], -v[10:11], v[16:17], 1.0
	v_fma_f64 v[16:17], v[16:17], v[18:19], v[16:17]
	v_mul_f64 v[18:19], v[20:21], v[16:17]
	v_fma_f64 v[10:11], -v[10:11], v[18:19], v[20:21]
	v_div_fmas_f64 v[10:11], v[10:11], v[16:17], v[18:19]
	v_div_fixup_f64 v[10:11], v[10:11], v[6:7], v[8:9]
.LBB0_66:
	s_andn2_saveexec_b64 s[10:11], s[10:11]
	s_cbranch_execz .LBB0_68
; %bb.67:
	s_mov_b32 s12, 0
	s_mov_b32 s13, 0xbfd00000
	v_fma_f64 v[10:11], v[22:23], s[12:13], 1.0
.LBB0_68:
	s_or_b64 exec, exec, s[10:11]
                                        ; implicit-def: $vgpr22_vgpr23
                                        ; implicit-def: $vgpr6_vgpr7
.LBB0_69:
	s_andn2_saveexec_b64 s[10:11], s[6:7]
	s_cbranch_execz .LBB0_84
; %bb.70:
	s_mov_b32 s15, 0xbfe921fb
	s_mov_b32 s14, 0x54442d18
	v_add_f64 v[8:9], v[6:7], s[14:15]
	s_mov_b32 s6, 0
	s_mov_b32 s7, 0x41d00000
                                        ; implicit-def: $vgpr31
                                        ; implicit-def: $vgpr18_vgpr19
                                        ; implicit-def: $vgpr20_vgpr21
	v_trig_preop_f64 v[28:29], |v[8:9]|, 0
	v_trig_preop_f64 v[26:27], |v[8:9]|, 1
	;; [unrolled: 1-line block ×3, first 2 shown]
	v_cmp_nlt_f64_e64 s[12:13], |v[8:9]|, s[6:7]
	s_and_saveexec_b64 s[6:7], s[12:13]
	s_xor_b64 s[16:17], exec, s[6:7]
	s_cbranch_execz .LBB0_77
; %bb.71:
	s_mov_b32 s6, 0
	s_mov_b32 s7, 0x7b000000
	s_movk_i32 s15, 0xff80
	v_ldexp_f64 v[10:11], |v[8:9]|, s15
	v_cmp_ge_f64_e64 vcc, |v[8:9]|, s[6:7]
	v_and_b32_e32 v16, 0x7fffffff, v9
	s_mov_b32 s6, 0
	s_mov_b32 s7, 0x7ff00000
	v_mov_b32_e32 v53, 0x40100000
	v_mov_b32_e32 v52, 0
	s_mov_b32 s15, 0x3ff921fb
	v_cndmask_b32_e32 v11, v16, v11, vcc
	v_cndmask_b32_e32 v10, v8, v10, vcc
	v_mul_f64 v[16:17], v[28:29], v[10:11]
	v_mul_f64 v[18:19], v[26:27], v[10:11]
	;; [unrolled: 1-line block ×3, first 2 shown]
	v_fma_f64 v[20:21], v[28:29], v[10:11], -v[16:17]
	v_fma_f64 v[48:49], v[26:27], v[10:11], -v[18:19]
	;; [unrolled: 1-line block ×3, first 2 shown]
	v_add_f64 v[30:31], v[18:19], v[20:21]
	v_add_f64 v[32:33], v[30:31], -v[18:19]
	v_add_f64 v[50:51], v[16:17], v[30:31]
	v_add_f64 v[36:37], v[30:31], -v[32:33]
	v_add_f64 v[20:21], v[20:21], -v[32:33]
	v_add_f64 v[32:33], v[38:39], v[48:49]
	v_add_f64 v[16:17], v[50:51], -v[16:17]
	v_add_f64 v[18:19], v[18:19], -v[36:37]
	v_ldexp_f64 v[36:37], v[50:51], -2
	v_add_f64 v[54:55], v[32:33], -v[38:39]
	v_add_f64 v[16:17], v[30:31], -v[16:17]
	v_add_f64 v[18:19], v[20:21], v[18:19]
	v_fract_f64_e32 v[20:21], v[36:37]
	v_cmp_neq_f64_e64 vcc, |v[36:37]|, s[6:7]
	v_add_f64 v[48:49], v[48:49], -v[54:55]
	v_add_f64 v[30:31], v[32:33], v[18:19]
	v_ldexp_f64 v[20:21], v[20:21], 2
	v_add_f64 v[36:37], v[16:17], v[30:31]
	v_cndmask_b32_e32 v21, 0, v21, vcc
	v_cndmask_b32_e32 v20, 0, v20, vcc
	v_add_f64 v[64:65], v[30:31], -v[32:33]
	v_add_f64 v[50:51], v[36:37], v[20:21]
	v_add_f64 v[16:17], v[36:37], -v[16:17]
	v_add_f64 v[66:67], v[30:31], -v[64:65]
	;; [unrolled: 1-line block ×3, first 2 shown]
	v_cmp_gt_f64_e32 vcc, 0, v[50:51]
	v_add_f64 v[50:51], v[32:33], -v[54:55]
	v_add_f64 v[16:17], v[30:31], -v[16:17]
	;; [unrolled: 1-line block ×3, first 2 shown]
	v_cndmask_b32_e32 v53, 0, v53, vcc
	v_add_f64 v[20:21], v[20:21], v[52:53]
	v_add_f64 v[50:51], v[38:39], -v[50:51]
	v_add_f64 v[18:19], v[18:19], v[32:33]
	v_add_f64 v[68:69], v[36:37], v[20:21]
	;; [unrolled: 1-line block ×3, first 2 shown]
	v_cvt_i32_f64_e32 v55, v[68:69]
	v_add_f64 v[18:19], v[48:49], v[18:19]
	v_cvt_f64_i32_e32 v[53:54], v55
	v_add_f64 v[20:21], v[20:21], -v[53:54]
	v_add_f64 v[10:11], v[10:11], v[18:19]
	v_add_f64 v[32:33], v[36:37], v[20:21]
	;; [unrolled: 1-line block ×3, first 2 shown]
	v_add_f64 v[18:19], v[32:33], -v[20:21]
	v_cmp_le_f64_e32 vcc, 0.5, v[32:33]
	v_add_f64 v[16:17], v[36:37], -v[18:19]
	v_mov_b32_e32 v18, 0x3ff00000
	v_cndmask_b32_e32 v53, 0, v18, vcc
	v_addc_co_u32_e64 v31, s[6:7], 0, v55, vcc
	s_mov_b32 s6, 0x33145c07
	s_mov_b32 s7, 0x3c91a626
	v_add_f64 v[10:11], v[10:11], v[16:17]
	v_add_f64 v[16:17], v[32:33], -v[52:53]
	v_add_f64 v[18:19], v[16:17], v[10:11]
	v_mul_f64 v[20:21], v[18:19], s[14:15]
	v_add_f64 v[16:17], v[18:19], -v[16:17]
	v_fma_f64 v[32:33], v[18:19], s[14:15], -v[20:21]
	v_add_f64 v[10:11], v[10:11], -v[16:17]
	v_fma_f64 v[16:17], v[18:19], s[6:7], v[32:33]
	v_fma_f64 v[10:11], v[10:11], s[14:15], v[16:17]
	v_add_f64 v[18:19], v[20:21], v[10:11]
	v_add_f64 v[16:17], v[18:19], -v[20:21]
	v_add_f64 v[20:21], v[10:11], -v[16:17]
	s_andn2_saveexec_b64 s[6:7], s[16:17]
	s_cbranch_execz .LBB0_79
	s_branch .LBB0_78
.LBB0_72:
	s_or_b64 exec, exec, s[8:9]
	s_and_saveexec_b64 s[6:7], s[4:5]
	s_xor_b64 s[4:5], exec, s[6:7]
	s_cbranch_execz .LBB0_85
.LBB0_73:
	v_mov_b32_e32 v6, 0
	v_lshlrev_b64 v[5:6], 3, v[5:6]
	v_mov_b32_e32 v34, v35
	v_add_co_u32_e32 v5, vcc, v0, v5
	v_addc_co_u32_e32 v6, vcc, v1, v6, vcc
	flat_store_dwordx2 v[5:6], v[2:3]
	s_or_b64 exec, exec, s[4:5]
	v_cmp_lt_i32_e32 vcc, v34, v4
	s_and_saveexec_b64 s[4:5], vcc
	s_cbranch_execnz .LBB0_86
.LBB0_74:
	s_or_b64 exec, exec, s[4:5]
	v_cmp_lt_i32_e32 vcc, v34, v4
	s_and_saveexec_b64 s[4:5], vcc
	s_cbranch_execz .LBB0_87
.LBB0_75:
	v_add_u32_e32 v2, s42, v34
	v_mov_b32_e32 v3, 0
	v_lshlrev_b64 v[2:3], 3, v[2:3]
	v_add_u32_e32 v34, 0x100, v34
	v_add_co_u32_e32 v2, vcc, v0, v2
	v_addc_co_u32_e32 v3, vcc, v1, v3, vcc
	flat_store_dwordx2 v[2:3], v[12:13]
	s_or_b64 exec, exec, s[4:5]
	v_cmp_lt_i32_e32 vcc, v34, v4
	s_and_saveexec_b64 s[4:5], vcc
	s_cbranch_execnz .LBB0_88
.LBB0_76:
	s_or_b64 exec, exec, s[4:5]
	s_waitcnt vmcnt(0) lgkmcnt(0)
	s_setpc_b64 s[30:31]
.LBB0_77:
	s_andn2_saveexec_b64 s[6:7], s[16:17]
	s_cbranch_execz .LBB0_79
.LBB0_78:
	s_mov_b32 s14, 0x6dc9c883
	s_mov_b32 s15, 0x3fe45f30
	v_mul_f64 v[10:11], |v[8:9]|, s[14:15]
	s_mov_b32 s14, 0x54442d18
	s_mov_b32 s15, 0xbff921fb
	;; [unrolled: 1-line block ×4, first 2 shown]
	v_rndne_f64_e32 v[10:11], v[10:11]
	v_fma_f64 v[16:17], v[10:11], s[14:15], |v[8:9]|
	v_mul_f64 v[18:19], v[10:11], s[16:17]
	s_mov_b32 s14, 0x252049c0
	s_mov_b32 s15, 0xb97b839a
	v_add_f64 v[20:21], v[16:17], v[18:19]
	v_add_f64 v[30:31], v[16:17], -v[20:21]
	v_fma_f64 v[16:17], v[10:11], s[16:17], v[16:17]
	s_mov_b32 s17, 0x3c91a626
	v_add_f64 v[30:31], v[30:31], v[18:19]
	v_add_f64 v[20:21], v[20:21], -v[16:17]
	v_fma_f64 v[18:19], v[10:11], s[16:17], v[18:19]
	v_add_f64 v[20:21], v[20:21], v[30:31]
	v_cvt_i32_f64_e32 v31, v[10:11]
	v_add_f64 v[18:19], v[20:21], -v[18:19]
	v_fma_f64 v[20:21], v[10:11], s[14:15], v[18:19]
	v_add_f64 v[18:19], v[16:17], v[20:21]
	v_add_f64 v[16:17], v[18:19], -v[16:17]
	v_add_f64 v[20:21], v[20:21], -v[16:17]
.LBB0_79:
	s_or_b64 exec, exec, s[6:7]
                                        ; implicit-def: $vgpr30
                                        ; implicit-def: $vgpr10_vgpr11
                                        ; implicit-def: $vgpr16_vgpr17
	s_and_saveexec_b64 s[6:7], s[12:13]
	s_xor_b64 s[12:13], exec, s[6:7]
	s_cbranch_execz .LBB0_81
; %bb.80:
	s_mov_b32 s6, 0
	s_mov_b32 s7, 0x7b000000
	s_movk_i32 s14, 0xff80
	v_ldexp_f64 v[10:11], |v[8:9]|, s14
	v_cmp_ge_f64_e64 vcc, |v[8:9]|, s[6:7]
	v_and_b32_e32 v16, 0x7fffffff, v9
	s_mov_b32 s6, 0
	s_mov_b32 s7, 0x7ff00000
	v_mov_b32_e32 v30, 0x40100000
	v_mov_b32_e32 v54, 0
	s_mov_b32 s14, 0x33145c07
	s_mov_b32 s15, 0x3c91a626
	v_cndmask_b32_e32 v11, v16, v11, vcc
	v_cndmask_b32_e32 v10, v8, v10, vcc
	v_mul_f64 v[16:17], v[28:29], v[10:11]
	v_mul_f64 v[32:33], v[26:27], v[10:11]
	;; [unrolled: 1-line block ×3, first 2 shown]
	v_fma_f64 v[28:29], v[28:29], v[10:11], -v[16:17]
	v_fma_f64 v[26:27], v[26:27], v[10:11], -v[32:33]
	;; [unrolled: 1-line block ×3, first 2 shown]
	v_add_f64 v[36:37], v[32:33], v[28:29]
	v_add_f64 v[38:39], v[36:37], -v[32:33]
	v_add_f64 v[52:53], v[16:17], v[36:37]
	v_add_f64 v[48:49], v[36:37], -v[38:39]
	v_add_f64 v[28:29], v[28:29], -v[38:39]
	v_add_f64 v[38:39], v[50:51], v[26:27]
	v_add_f64 v[16:17], v[52:53], -v[16:17]
	v_add_f64 v[32:33], v[32:33], -v[48:49]
	v_ldexp_f64 v[48:49], v[52:53], -2
	v_add_f64 v[64:65], v[38:39], -v[50:51]
	v_add_f64 v[16:17], v[36:37], -v[16:17]
	v_add_f64 v[28:29], v[28:29], v[32:33]
	v_fract_f64_e32 v[32:33], v[48:49]
	v_cmp_neq_f64_e64 vcc, |v[48:49]|, s[6:7]
	v_add_f64 v[26:27], v[26:27], -v[64:65]
	v_add_f64 v[36:37], v[38:39], v[28:29]
	v_ldexp_f64 v[32:33], v[32:33], 2
	v_add_f64 v[48:49], v[16:17], v[36:37]
	v_cndmask_b32_e32 v33, 0, v33, vcc
	v_cndmask_b32_e32 v32, 0, v32, vcc
	v_add_f64 v[66:67], v[36:37], -v[38:39]
	v_add_f64 v[52:53], v[48:49], v[32:33]
	v_add_f64 v[16:17], v[48:49], -v[16:17]
	v_add_f64 v[68:69], v[36:37], -v[66:67]
	;; [unrolled: 1-line block ×3, first 2 shown]
	v_cmp_gt_f64_e32 vcc, 0, v[52:53]
	v_add_f64 v[52:53], v[38:39], -v[64:65]
	v_add_f64 v[16:17], v[36:37], -v[16:17]
	;; [unrolled: 1-line block ×3, first 2 shown]
	v_cndmask_b32_e32 v55, 0, v30, vcc
	v_add_f64 v[32:33], v[32:33], v[54:55]
	v_add_f64 v[52:53], v[50:51], -v[52:53]
	v_add_f64 v[28:29], v[28:29], v[38:39]
	v_add_f64 v[70:71], v[48:49], v[32:33]
	;; [unrolled: 1-line block ×3, first 2 shown]
	v_cvt_i32_f64_e32 v30, v[70:71]
	v_add_f64 v[24:25], v[26:27], v[28:29]
	v_cvt_f64_i32_e32 v[64:65], v30
	v_add_f64 v[32:33], v[32:33], -v[64:65]
	v_add_f64 v[10:11], v[10:11], v[24:25]
	v_add_f64 v[26:27], v[48:49], v[32:33]
	;; [unrolled: 1-line block ×3, first 2 shown]
	v_add_f64 v[24:25], v[26:27], -v[32:33]
	v_cmp_le_f64_e32 vcc, 0.5, v[26:27]
	v_add_f64 v[16:17], v[48:49], -v[24:25]
	v_mov_b32_e32 v24, 0x3ff00000
	v_cndmask_b32_e32 v55, 0, v24, vcc
	v_addc_co_u32_e64 v30, s[6:7], 0, v30, vcc
	s_mov_b32 s6, 0x54442d18
	s_mov_b32 s7, 0x3ff921fb
	v_add_f64 v[10:11], v[10:11], v[16:17]
	v_add_f64 v[16:17], v[26:27], -v[54:55]
	v_add_f64 v[24:25], v[16:17], v[10:11]
	v_mul_f64 v[26:27], v[24:25], s[6:7]
	v_add_f64 v[16:17], v[24:25], -v[16:17]
	v_fma_f64 v[28:29], v[24:25], s[6:7], -v[26:27]
	v_add_f64 v[10:11], v[10:11], -v[16:17]
	v_fma_f64 v[16:17], v[24:25], s[14:15], v[28:29]
	v_fma_f64 v[16:17], v[10:11], s[6:7], v[16:17]
	v_add_f64 v[10:11], v[26:27], v[16:17]
	v_add_f64 v[24:25], v[10:11], -v[26:27]
	v_add_f64 v[16:17], v[16:17], -v[24:25]
	s_andn2_saveexec_b64 s[6:7], s[12:13]
	s_cbranch_execnz .LBB0_82
	s_branch .LBB0_83
.LBB0_81:
	s_andn2_saveexec_b64 s[6:7], s[12:13]
	s_cbranch_execz .LBB0_83
.LBB0_82:
	s_mov_b32 s12, 0x6dc9c883
	s_mov_b32 s13, 0x3fe45f30
	v_mul_f64 v[10:11], |v[8:9]|, s[12:13]
	s_mov_b32 s12, 0x54442d18
	s_mov_b32 s13, 0xbff921fb
	s_mov_b32 s15, 0xbc91a626
	s_mov_b32 s14, 0x33145c00
	v_rndne_f64_e32 v[24:25], v[10:11]
	v_fma_f64 v[10:11], v[24:25], s[12:13], |v[8:9]|
	v_mul_f64 v[16:17], v[24:25], s[14:15]
	s_mov_b32 s12, 0x252049c0
	s_mov_b32 s13, 0xb97b839a
	v_cvt_i32_f64_e32 v30, v[24:25]
	v_fma_f64 v[32:33], v[24:25], s[14:15], v[10:11]
	v_add_f64 v[26:27], v[10:11], v[16:17]
	s_mov_b32 s15, 0x3c91a626
	v_add_f64 v[28:29], v[10:11], -v[26:27]
	v_add_f64 v[26:27], v[26:27], -v[32:33]
	v_add_f64 v[10:11], v[28:29], v[16:17]
	v_fma_f64 v[16:17], v[24:25], s[14:15], v[16:17]
	v_add_f64 v[10:11], v[26:27], v[10:11]
	v_add_f64 v[10:11], v[10:11], -v[16:17]
	v_fma_f64 v[16:17], v[24:25], s[12:13], v[10:11]
	v_add_f64 v[10:11], v[32:33], v[16:17]
	v_add_f64 v[26:27], v[10:11], -v[32:33]
	v_add_f64 v[16:17], v[16:17], -v[26:27]
.LBB0_83:
	s_or_b64 exec, exec, s[6:7]
	s_mov_b32 s6, 0
	s_mov_b32 s7, 0x40390000
	v_div_scale_f64 v[24:25], s[12:13], v[22:23], v[22:23], s[6:7]
	s_mov_b32 s12, 0x46cc5e42
	s_mov_b32 s13, 0xbda907db
	;; [unrolled: 1-line block ×14, first 2 shown]
	v_rcp_f64_e32 v[26:27], v[24:25]
	s_mov_b32 s26, 0x19e83e5c
	s_mov_b32 s27, 0xbf2a01a0
	;; [unrolled: 1-line block ×4, first 2 shown]
	v_mul_f64 v[52:53], v[20:21], 0.5
	s_mov_b32 s41, 0xbfc55555
	s_mov_b32 s40, s20
	;; [unrolled: 1-line block ×4, first 2 shown]
	v_fma_f64 v[28:29], -v[24:25], v[26:27], 1.0
	v_fma_f64 v[26:27], v[26:27], v[28:29], v[26:27]
	v_fma_f64 v[28:29], -v[24:25], v[26:27], 1.0
	v_fma_f64 v[26:27], v[26:27], v[28:29], v[26:27]
	v_div_scale_f64 v[28:29], vcc, s[6:7], v[22:23], s[6:7]
	v_mul_f64 v[32:33], v[28:29], v[26:27]
	v_fma_f64 v[24:25], -v[24:25], v[32:33], v[28:29]
	s_nop 1
	v_div_fmas_f64 v[24:25], v[24:25], v[26:27], v[32:33]
	v_mov_b32_e32 v32, 0x413c25ac
	v_mov_b32_e32 v33, 0x40501457
	v_div_fixup_f64 v[24:25], v[24:25], v[22:23], s[6:7]
	v_mov_b32_e32 v22, 0x983b6b27
	v_mov_b32_e32 v23, 0x3f4a1d30
	s_mov_b32 s6, 0xb35dd1cf
	s_mov_b32 s7, 0x3fb534b0
	v_fma_f64 v[22:23], v[24:25], 0, v[22:23]
	v_fma_f64 v[32:33], v[24:25], 0, v[32:33]
	;; [unrolled: 1-line block ×3, first 2 shown]
	s_mov_b32 s6, 0x4e680b98
	s_mov_b32 s7, 0x3ff3d521
	v_fma_f64 v[22:23], v[24:25], v[22:23], s[6:7]
	s_mov_b32 s6, 0xe97a0956
	s_mov_b32 s7, 0x4015c9fb
	v_fma_f64 v[22:23], v[24:25], v[22:23], s[6:7]
	;; [unrolled: 3-line block ×4, first 2 shown]
	v_mov_b32_e32 v22, 0xce039737
	v_mov_b32_e32 v23, 0x3f4e4a80
	v_fma_f64 v[22:23], v[24:25], 0, v[22:23]
	s_mov_b32 s6, 0xab5454e3
	s_mov_b32 s7, 0x3fb5ebc5
	v_fma_f64 v[22:23], v[24:25], v[22:23], s[6:7]
	s_mov_b32 s6, 0xc9b3069f
	s_mov_b32 s7, 0x3ff40e72
	;; [unrolled: 3-line block ×6, first 2 shown]
	v_fma_f64 v[28:29], v[24:25], v[22:23], 1.0
	v_mov_b32_e32 v22, 0x38a5384a
	v_mov_b32_e32 v23, 0xbf874742
	v_fma_f64 v[22:23], v[24:25], 0, v[22:23]
	v_fma_f64 v[22:23], v[24:25], v[22:23], s[6:7]
	s_mov_b32 s6, 0xf50e2c0c
	s_mov_b32 s7, 0xc0338dcf
	v_fma_f64 v[22:23], v[24:25], v[22:23], s[6:7]
	s_mov_b32 s6, 0x5a6de8c4
	s_mov_b32 s7, 0xc0574d2f
	;; [unrolled: 3-line block ×12, first 2 shown]
	v_fma_f64 v[32:33], v[24:25], v[32:33], s[6:7]
	v_fma_f64 v[24:25], v[24:25], v[26:27], 1.0
	v_div_scale_f64 v[26:27], s[6:7], v[28:29], v[28:29], v[24:25]
	s_mov_b32 s6, 0x9037ab78
	s_mov_b32 s7, 0x3e21eeb6
	v_rcp_f64_e32 v[36:37], v[26:27]
	v_fma_f64 v[38:39], -v[26:27], v[36:37], 1.0
	v_fma_f64 v[36:37], v[36:37], v[38:39], v[36:37]
	v_fma_f64 v[38:39], -v[26:27], v[36:37], 1.0
	v_fma_f64 v[36:37], v[36:37], v[38:39], v[36:37]
	v_div_scale_f64 v[38:39], vcc, v[24:25], v[28:29], v[24:25]
	v_mul_f64 v[48:49], v[38:39], v[36:37]
	v_fma_f64 v[26:27], -v[26:27], v[48:49], v[38:39]
	s_nop 1
	v_div_fmas_f64 v[26:27], v[26:27], v[36:37], v[48:49]
	v_mov_b32_e32 v49, s7
	v_mov_b32_e32 v48, s6
	s_mov_b32 s6, 0xb42fdfa7
	s_mov_b32 s7, 0xbe5ae600
	v_div_fixup_f64 v[24:25], v[26:27], v[28:29], v[24:25]
	v_mul_f64 v[26:27], v[18:19], v[18:19]
	v_mul_f64 v[28:29], v[26:27], 0.5
	v_fma_f64 v[50:51], v[26:27], s[12:13], v[48:49]
	v_add_f64 v[36:37], -v[28:29], 1.0
	v_fma_f64 v[50:51], v[26:27], v[50:51], s[14:15]
	v_add_f64 v[38:39], -v[36:37], 1.0
	v_fma_f64 v[50:51], v[26:27], v[50:51], s[16:17]
	v_add_f64 v[28:29], v[38:39], -v[28:29]
	v_fma_f64 v[50:51], v[26:27], v[50:51], s[18:19]
	v_mul_f64 v[38:39], v[26:27], v[26:27]
	v_fma_f64 v[28:29], v[18:19], -v[20:21], v[28:29]
	v_fma_f64 v[50:51], v[26:27], v[50:51], s[20:21]
	v_fma_f64 v[28:29], v[38:39], v[50:51], v[28:29]
	v_mul_f64 v[50:51], v[18:19], -v[26:27]
	v_add_f64 v[28:29], v[36:37], v[28:29]
	v_mov_b32_e32 v37, s7
	v_mov_b32_e32 v36, s6
	v_fma_f64 v[38:39], v[26:27], s[22:23], v[36:37]
	s_movk_i32 s6, 0x1f8
	v_cmp_class_f64_e64 s[6:7], v[8:9], s6
	v_and_b32_e32 v8, 1, v30
	v_fma_f64 v[38:39], v[26:27], v[38:39], s[24:25]
	v_fma_f64 v[38:39], v[26:27], v[38:39], s[26:27]
	;; [unrolled: 1-line block ×4, first 2 shown]
	v_mov_b32_e32 v52, 0x7ff80000
	v_fma_f64 v[20:21], v[26:27], v[38:39], -v[20:21]
	v_fma_f64 v[20:21], v[50:51], s[40:41], v[20:21]
	v_add_f64 v[18:19], v[18:19], -v[20:21]
	v_and_b32_e32 v20, 1, v31
	v_cmp_eq_u32_e32 vcc, 0, v20
	v_lshlrev_b32_e32 v20, 30, v31
	v_and_b32_e32 v20, 0x80000000, v20
	v_xor_b32_e32 v19, 0x80000000, v19
	v_cndmask_b32_e32 v19, v19, v29, vcc
	v_xor_b32_e32 v19, v19, v20
	v_div_scale_f64 v[20:21], s[46:47], v[6:7], v[6:7], s[44:45]
	v_cndmask_b32_e32 v18, v18, v28, vcc
	v_cndmask_b32_e64 v18, 0, v18, s[6:7]
	v_cndmask_b32_e64 v19, v52, v19, s[6:7]
	v_rcp_f64_e32 v[26:27], v[20:21]
	v_fma_f64 v[28:29], -v[20:21], v[26:27], 1.0
	v_fma_f64 v[26:27], v[26:27], v[28:29], v[26:27]
	v_fma_f64 v[28:29], -v[20:21], v[26:27], 1.0
	v_fma_f64 v[26:27], v[26:27], v[28:29], v[26:27]
	v_div_scale_f64 v[28:29], vcc, s[44:45], v[6:7], s[44:45]
	v_mul_f64 v[38:39], v[28:29], v[26:27]
	v_fma_f64 v[20:21], -v[20:21], v[38:39], v[28:29]
	s_nop 1
	v_div_fmas_f64 v[20:21], v[20:21], v[26:27], v[38:39]
	v_div_fixup_f64 v[20:21], v[20:21], v[6:7], s[44:45]
	v_div_scale_f64 v[26:27], s[44:45], v[32:33], v[32:33], v[22:23]
	v_rcp_f64_e32 v[28:29], v[26:27]
	v_fma_f64 v[38:39], -v[26:27], v[28:29], 1.0
	v_fma_f64 v[28:29], v[28:29], v[38:39], v[28:29]
	v_fma_f64 v[38:39], -v[26:27], v[28:29], 1.0
	v_fma_f64 v[28:29], v[28:29], v[38:39], v[28:29]
	v_div_scale_f64 v[38:39], vcc, v[22:23], v[32:33], v[22:23]
	v_mul_f64 v[50:51], v[38:39], v[28:29]
	v_fma_f64 v[26:27], -v[26:27], v[50:51], v[38:39]
	s_nop 1
	v_div_fmas_f64 v[26:27], v[26:27], v[28:29], v[50:51]
	v_cmp_eq_u32_e32 vcc, 0, v8
	v_div_fixup_f64 v[22:23], v[26:27], v[32:33], v[22:23]
	v_mul_f64 v[20:21], v[20:21], v[22:23]
	v_mul_f64 v[22:23], v[10:11], v[10:11]
	v_mul_f64 v[26:27], v[22:23], 0.5
	v_fma_f64 v[38:39], v[22:23], s[12:13], v[48:49]
	v_add_f64 v[28:29], -v[26:27], 1.0
	v_fma_f64 v[38:39], v[22:23], v[38:39], s[14:15]
	v_add_f64 v[31:32], -v[28:29], 1.0
	v_fma_f64 v[38:39], v[22:23], v[38:39], s[16:17]
	v_add_f64 v[26:27], v[31:32], -v[26:27]
	v_fma_f64 v[38:39], v[22:23], v[38:39], s[18:19]
	v_mul_f64 v[31:32], v[22:23], v[22:23]
	v_fma_f64 v[26:27], v[10:11], -v[16:17], v[26:27]
	v_fma_f64 v[38:39], v[22:23], v[38:39], s[20:21]
	v_fma_f64 v[26:27], v[31:32], v[38:39], v[26:27]
	v_mul_f64 v[31:32], v[10:11], -v[22:23]
	v_add_f64 v[26:27], v[28:29], v[26:27]
	v_fma_f64 v[28:29], v[22:23], s[22:23], v[36:37]
	v_mul_f64 v[36:37], v[16:17], 0.5
	v_fma_f64 v[28:29], v[22:23], v[28:29], s[24:25]
	v_fma_f64 v[28:29], v[22:23], v[28:29], s[26:27]
	;; [unrolled: 1-line block ×4, first 2 shown]
	v_fma_f64 v[16:17], v[22:23], v[28:29], -v[16:17]
	v_fma_f64 v[16:17], v[31:32], s[40:41], v[16:17]
	v_add_f64 v[10:11], v[10:11], -v[16:17]
	v_cndmask_b32_e32 v8, v26, v10, vcc
	v_cndmask_b32_e32 v10, v27, v11, vcc
	v_lshlrev_b32_e32 v11, 30, v30
	v_xor_b32_e32 v9, v11, v9
	v_and_b32_e32 v9, 0x80000000, v9
	v_xor_b32_e32 v9, v10, v9
	v_cndmask_b32_e64 v8, 0, v8, s[6:7]
	v_cndmask_b32_e64 v9, v52, v9, s[6:7]
	v_mul_f64 v[8:9], v[20:21], v[8:9]
	s_mov_b32 s6, 0x33d43651
	s_mov_b32 s7, 0x3fe98845
	v_mov_b32_e32 v10, 0x100
	v_fma_f64 v[8:9], v[24:25], v[18:19], v[8:9]
	v_mul_f64 v[8:9], v[8:9], s[6:7]
	s_mov_b32 s6, 0
	s_brev_b32 s7, 8
	v_cmp_gt_f64_e32 vcc, s[6:7], v[6:7]
	v_cndmask_b32_e32 v10, 0, v10, vcc
	v_ldexp_f64 v[6:7], v[6:7], v10
	v_rsq_f64_e32 v[10:11], v[6:7]
	v_mul_f64 v[16:17], v[6:7], v[10:11]
	v_mul_f64 v[10:11], v[10:11], 0.5
	v_fma_f64 v[18:19], -v[10:11], v[16:17], 0.5
	v_fma_f64 v[16:17], v[16:17], v[18:19], v[16:17]
	v_fma_f64 v[10:11], v[10:11], v[18:19], v[10:11]
	v_fma_f64 v[20:21], -v[16:17], v[16:17], v[6:7]
	v_fma_f64 v[16:17], v[20:21], v[10:11], v[16:17]
	v_fma_f64 v[18:19], -v[16:17], v[16:17], v[6:7]
	v_fma_f64 v[10:11], v[18:19], v[10:11], v[16:17]
	v_mov_b32_e32 v16, 0xffffff80
	v_cndmask_b32_e32 v16, 0, v16, vcc
	v_ldexp_f64 v[10:11], v[10:11], v16
	v_mov_b32_e32 v16, 0x260
	v_cmp_class_f64_e32 vcc, v[6:7], v16
	v_cndmask_b32_e32 v7, v11, v7, vcc
	v_cndmask_b32_e32 v6, v10, v6, vcc
	v_div_scale_f64 v[10:11], s[6:7], v[6:7], v[6:7], v[8:9]
	v_rcp_f64_e32 v[16:17], v[10:11]
	v_fma_f64 v[18:19], -v[10:11], v[16:17], 1.0
	v_fma_f64 v[16:17], v[16:17], v[18:19], v[16:17]
	v_fma_f64 v[18:19], -v[10:11], v[16:17], 1.0
	v_fma_f64 v[16:17], v[16:17], v[18:19], v[16:17]
	v_div_scale_f64 v[18:19], vcc, v[8:9], v[6:7], v[8:9]
	v_mul_f64 v[20:21], v[18:19], v[16:17]
	v_fma_f64 v[10:11], -v[10:11], v[20:21], v[18:19]
	s_nop 1
	v_div_fmas_f64 v[10:11], v[10:11], v[16:17], v[20:21]
	v_div_fixup_f64 v[10:11], v[10:11], v[6:7], v[8:9]
.LBB0_84:
	s_or_b64 exec, exec, s[10:11]
	s_or_b64 exec, exec, s[8:9]
	s_and_saveexec_b64 s[6:7], s[4:5]
	s_xor_b64 s[4:5], exec, s[6:7]
	s_cbranch_execnz .LBB0_73
.LBB0_85:
	s_or_b64 exec, exec, s[4:5]
	v_cmp_lt_i32_e32 vcc, v34, v4
	s_and_saveexec_b64 s[4:5], vcc
	s_cbranch_execz .LBB0_74
.LBB0_86:
	v_add_u32_e32 v2, s42, v34
	v_mov_b32_e32 v3, 0
	v_lshlrev_b64 v[2:3], 3, v[2:3]
	v_add_u32_e32 v34, 0x100, v34
	v_add_co_u32_e32 v2, vcc, v0, v2
	v_addc_co_u32_e32 v3, vcc, v1, v3, vcc
	flat_store_dwordx2 v[2:3], v[14:15]
	s_or_b64 exec, exec, s[4:5]
	v_cmp_lt_i32_e32 vcc, v34, v4
	s_and_saveexec_b64 s[4:5], vcc
	s_cbranch_execnz .LBB0_75
.LBB0_87:
	s_or_b64 exec, exec, s[4:5]
	v_cmp_lt_i32_e32 vcc, v34, v4
	s_and_saveexec_b64 s[4:5], vcc
	s_cbranch_execz .LBB0_76
.LBB0_88:
	v_add_u32_e32 v2, s42, v34
	v_mov_b32_e32 v3, 0
	v_lshlrev_b64 v[2:3], 3, v[2:3]
	v_add_co_u32_e32 v0, vcc, v0, v2
	v_addc_co_u32_e32 v1, vcc, v1, v3, vcc
	flat_store_dwordx2 v[0:1], v[10:11]
	s_or_b64 exec, exec, s[4:5]
	s_waitcnt vmcnt(0) lgkmcnt(0)
	s_setpc_b64 s[30:31]
.Lfunc_end0:
	.size	_ZN2at6native25elementwise_kernel_helperILb0EZZZNS0_12_GLOBAL__N_121bessel_j0_kernel_cudaERNS_18TensorIteratorBaseEENKUlvE_clEvENKUlvE_clEvEUldE_NS0_6memory8policies11unroll_baseILi256ESt5arrayIPcLm2EE23TrivialOffsetCalculatorILi1EjESF_NS8_15LoadWithoutCastENS8_16StoreWithoutCastELi4ELi1EEEEEvT0_T1_, .Lfunc_end0-_ZN2at6native25elementwise_kernel_helperILb0EZZZNS0_12_GLOBAL__N_121bessel_j0_kernel_cudaERNS_18TensorIteratorBaseEENKUlvE_clEvENKUlvE_clEvEUldE_NS0_6memory8policies11unroll_baseILi256ESt5arrayIPcLm2EE23TrivialOffsetCalculatorILi1EjESF_NS8_15LoadWithoutCastENS8_16StoreWithoutCastELi4ELi1EEEEEvT0_T1_
                                        ; -- End function
	.set .L_ZN2at6native25elementwise_kernel_helperILb0EZZZNS0_12_GLOBAL__N_121bessel_j0_kernel_cudaERNS_18TensorIteratorBaseEENKUlvE_clEvENKUlvE_clEvEUldE_NS0_6memory8policies11unroll_baseILi256ESt5arrayIPcLm2EE23TrivialOffsetCalculatorILi1EjESF_NS8_15LoadWithoutCastENS8_16StoreWithoutCastELi4ELi1EEEEEvT0_T1_.num_vgpr, 84
	.set .L_ZN2at6native25elementwise_kernel_helperILb0EZZZNS0_12_GLOBAL__N_121bessel_j0_kernel_cudaERNS_18TensorIteratorBaseEENKUlvE_clEvENKUlvE_clEvEUldE_NS0_6memory8policies11unroll_baseILi256ESt5arrayIPcLm2EE23TrivialOffsetCalculatorILi1EjESF_NS8_15LoadWithoutCastENS8_16StoreWithoutCastELi4ELi1EEEEEvT0_T1_.num_agpr, 0
	.set .L_ZN2at6native25elementwise_kernel_helperILb0EZZZNS0_12_GLOBAL__N_121bessel_j0_kernel_cudaERNS_18TensorIteratorBaseEENKUlvE_clEvENKUlvE_clEvEUldE_NS0_6memory8policies11unroll_baseILi256ESt5arrayIPcLm2EE23TrivialOffsetCalculatorILi1EjESF_NS8_15LoadWithoutCastENS8_16StoreWithoutCastELi4ELi1EEEEEvT0_T1_.numbered_sgpr, 48
	.set .L_ZN2at6native25elementwise_kernel_helperILb0EZZZNS0_12_GLOBAL__N_121bessel_j0_kernel_cudaERNS_18TensorIteratorBaseEENKUlvE_clEvENKUlvE_clEvEUldE_NS0_6memory8policies11unroll_baseILi256ESt5arrayIPcLm2EE23TrivialOffsetCalculatorILi1EjESF_NS8_15LoadWithoutCastENS8_16StoreWithoutCastELi4ELi1EEEEEvT0_T1_.num_named_barrier, 0
	.set .L_ZN2at6native25elementwise_kernel_helperILb0EZZZNS0_12_GLOBAL__N_121bessel_j0_kernel_cudaERNS_18TensorIteratorBaseEENKUlvE_clEvENKUlvE_clEvEUldE_NS0_6memory8policies11unroll_baseILi256ESt5arrayIPcLm2EE23TrivialOffsetCalculatorILi1EjESF_NS8_15LoadWithoutCastENS8_16StoreWithoutCastELi4ELi1EEEEEvT0_T1_.private_seg_size, 0
	.set .L_ZN2at6native25elementwise_kernel_helperILb0EZZZNS0_12_GLOBAL__N_121bessel_j0_kernel_cudaERNS_18TensorIteratorBaseEENKUlvE_clEvENKUlvE_clEvEUldE_NS0_6memory8policies11unroll_baseILi256ESt5arrayIPcLm2EE23TrivialOffsetCalculatorILi1EjESF_NS8_15LoadWithoutCastENS8_16StoreWithoutCastELi4ELi1EEEEEvT0_T1_.uses_vcc, 1
	.set .L_ZN2at6native25elementwise_kernel_helperILb0EZZZNS0_12_GLOBAL__N_121bessel_j0_kernel_cudaERNS_18TensorIteratorBaseEENKUlvE_clEvENKUlvE_clEvEUldE_NS0_6memory8policies11unroll_baseILi256ESt5arrayIPcLm2EE23TrivialOffsetCalculatorILi1EjESF_NS8_15LoadWithoutCastENS8_16StoreWithoutCastELi4ELi1EEEEEvT0_T1_.uses_flat_scratch, 0
	.set .L_ZN2at6native25elementwise_kernel_helperILb0EZZZNS0_12_GLOBAL__N_121bessel_j0_kernel_cudaERNS_18TensorIteratorBaseEENKUlvE_clEvENKUlvE_clEvEUldE_NS0_6memory8policies11unroll_baseILi256ESt5arrayIPcLm2EE23TrivialOffsetCalculatorILi1EjESF_NS8_15LoadWithoutCastENS8_16StoreWithoutCastELi4ELi1EEEEEvT0_T1_.has_dyn_sized_stack, 0
	.set .L_ZN2at6native25elementwise_kernel_helperILb0EZZZNS0_12_GLOBAL__N_121bessel_j0_kernel_cudaERNS_18TensorIteratorBaseEENKUlvE_clEvENKUlvE_clEvEUldE_NS0_6memory8policies11unroll_baseILi256ESt5arrayIPcLm2EE23TrivialOffsetCalculatorILi1EjESF_NS8_15LoadWithoutCastENS8_16StoreWithoutCastELi4ELi1EEEEEvT0_T1_.has_recursion, 0
	.set .L_ZN2at6native25elementwise_kernel_helperILb0EZZZNS0_12_GLOBAL__N_121bessel_j0_kernel_cudaERNS_18TensorIteratorBaseEENKUlvE_clEvENKUlvE_clEvEUldE_NS0_6memory8policies11unroll_baseILi256ESt5arrayIPcLm2EE23TrivialOffsetCalculatorILi1EjESF_NS8_15LoadWithoutCastENS8_16StoreWithoutCastELi4ELi1EEEEEvT0_T1_.has_indirect_call, 0
	.section	.AMDGPU.csdata,"",@progbits
; Function info:
; codeLenInByte = 18020
; TotalNumSgprs: 52
; NumVgprs: 84
; ScratchSize: 0
; MemoryBound: 0
	.text
	.p2align	2                               ; -- Begin function _ZN2at6native25elementwise_kernel_helperILb0EZZZNS0_12_GLOBAL__N_121bessel_j0_kernel_cudaERNS_18TensorIteratorBaseEENKUlvE_clEvENKUlvE_clEvEUldE_NS0_6memory8policies10vectorizedILi4ESt5arrayIPcLm2EELi4EEEEEvT0_T1_
	.type	_ZN2at6native25elementwise_kernel_helperILb0EZZZNS0_12_GLOBAL__N_121bessel_j0_kernel_cudaERNS_18TensorIteratorBaseEENKUlvE_clEvENKUlvE_clEvEUldE_NS0_6memory8policies10vectorizedILi4ESt5arrayIPcLm2EELi4EEEEEvT0_T1_,@function
_ZN2at6native25elementwise_kernel_helperILb0EZZZNS0_12_GLOBAL__N_121bessel_j0_kernel_cudaERNS_18TensorIteratorBaseEENKUlvE_clEvENKUlvE_clEvEUldE_NS0_6memory8policies10vectorizedILi4ESt5arrayIPcLm2EELi4EEEEEvT0_T1_: ; @_ZN2at6native25elementwise_kernel_helperILb0EZZZNS0_12_GLOBAL__N_121bessel_j0_kernel_cudaERNS_18TensorIteratorBaseEENKUlvE_clEvENKUlvE_clEvEUldE_NS0_6memory8policies10vectorizedILi4ESt5arrayIPcLm2EELi4EEEEEvT0_T1_
; %bb.0:
	s_waitcnt vmcnt(0) expcnt(0) lgkmcnt(0)
	s_lshl_b32 s4, s12, 10
	s_ashr_i32 s5, s4, 31
	s_lshl_b64 s[6:7], s[4:5], 3
	v_mov_b32_e32 v4, s7
	v_add_co_u32_e32 v2, vcc, s6, v2
	v_addc_co_u32_e32 v3, vcc, v3, v4, vcc
	v_and_b32_e32 v4, 0x3ff, v31
	v_lshlrev_b32_e32 v28, 5, v4
	v_add_co_u32_e32 v6, vcc, v2, v28
	v_addc_co_u32_e32 v7, vcc, 0, v3, vcc
	flat_load_dwordx4 v[8:11], v[6:7]
	flat_load_dwordx4 v[2:5], v[6:7] offset:16
	s_mov_b32 s4, 0
	s_mov_b32 s5, 0x40140000
	s_waitcnt vmcnt(0) lgkmcnt(0)
	v_cmp_gt_f64_e32 vcc, 0, v[8:9]
	v_xor_b32_e32 v6, 0x80000000, v9
	v_cndmask_b32_e32 v9, v9, v6, vcc
	v_cmp_ge_f64_e32 vcc, s[4:5], v[8:9]
	v_mul_f64 v[20:21], v[8:9], v[8:9]
                                        ; implicit-def: $vgpr6_vgpr7
	s_and_saveexec_b64 s[4:5], vcc
	s_xor_b64 s[4:5], exec, s[4:5]
	s_cbranch_execz .LBB1_6
; %bb.1:
	s_mov_b32 s8, 0x88e368f1
	s_mov_b32 s9, 0x3ee4f8b5
	v_cmp_ngt_f64_e32 vcc, s[8:9], v[8:9]
                                        ; implicit-def: $vgpr6_vgpr7
	s_and_saveexec_b64 s[8:9], vcc
	s_xor_b64 s[8:9], exec, s[8:9]
	s_cbranch_execz .LBB1_3
; %bb.2:
	v_mov_b32_e32 v6, 0xa696b78c
	v_mov_b32_e32 v7, 0x407f3902
	v_fma_f64 v[6:7], v[20:21], 0, v[6:7]
	s_mov_b32 s10, 0x36a21a67
	s_mov_b32 s11, 0x410536cb
	;; [unrolled: 1-line block ×3, first 2 shown]
	v_mov_b32_e32 v12, 0xad1c8325
	v_mov_b32_e32 v13, 0xc1f1dc53
	s_mov_b32 s13, 0x4204d5b0
	v_fma_f64 v[12:13], v[20:21], 0, v[12:13]
	v_fma_f64 v[6:7], v[20:21], v[6:7], s[10:11]
	s_mov_b32 s10, 0x2eac0634
	s_mov_b32 s11, 0x41871934
	;; [unrolled: 1-line block ×6, first 2 shown]
	v_fma_f64 v[6:7], v[20:21], v[6:7], s[10:11]
	s_mov_b32 s10, 0xc772990d
	s_mov_b32 s11, 0x427c7751
	v_fma_f64 v[12:13], v[20:21], v[12:13], s[10:11]
	s_mov_b32 s10, 0x80462bbb
	s_mov_b32 s11, 0xc01721fb
	v_add_f64 v[14:15], v[20:21], s[10:11]
	s_mov_b32 s10, 0x7e7b2e9c
	v_fma_f64 v[6:7], v[20:21], v[6:7], s[12:13]
	s_mov_b32 s12, 0xe0d900f7
	s_mov_b32 s13, 0xc2ec5614
	v_fma_f64 v[12:13], v[20:21], v[12:13], s[12:13]
	s_mov_b32 s12, 0x69ff5fb4
	s_mov_b32 s11, 0x435c4141
	;; [unrolled: 1-line block ×3, first 2 shown]
	v_fma_f64 v[6:7], v[20:21], v[6:7], s[14:15]
	s_mov_b32 s14, 0xa621dd6f
	s_mov_b32 s15, 0xc03e78a4
	v_add_f64 v[16:17], v[20:21], s[14:15]
	v_fma_f64 v[12:13], v[20:21], v[12:13], s[12:13]
	v_fma_f64 v[6:7], v[20:21], v[6:7], s[16:17]
	v_mul_f64 v[14:15], v[14:15], v[16:17]
	v_fma_f64 v[6:7], v[20:21], v[6:7], s[10:11]
	s_mov_b32 s10, 0xc7b662cc
	s_mov_b32 s11, 0x43b7be34
	v_mul_f64 v[12:13], v[14:15], v[12:13]
	v_fma_f64 v[6:7], v[20:21], v[6:7], s[10:11]
	v_div_scale_f64 v[14:15], s[10:11], v[6:7], v[6:7], v[12:13]
	v_div_scale_f64 v[20:21], vcc, v[12:13], v[6:7], v[12:13]
	v_rcp_f64_e32 v[16:17], v[14:15]
	v_fma_f64 v[18:19], -v[14:15], v[16:17], 1.0
	v_fma_f64 v[16:17], v[16:17], v[18:19], v[16:17]
	v_fma_f64 v[18:19], -v[14:15], v[16:17], 1.0
	v_fma_f64 v[16:17], v[16:17], v[18:19], v[16:17]
	v_mul_f64 v[18:19], v[20:21], v[16:17]
	v_fma_f64 v[14:15], -v[14:15], v[18:19], v[20:21]
                                        ; implicit-def: $vgpr20_vgpr21
	v_div_fmas_f64 v[14:15], v[14:15], v[16:17], v[18:19]
	v_div_fixup_f64 v[6:7], v[14:15], v[6:7], v[12:13]
.LBB1_3:
	s_andn2_saveexec_b64 s[8:9], s[8:9]
	s_cbranch_execz .LBB1_5
; %bb.4:
	s_mov_b32 s10, 0
	s_mov_b32 s11, 0xbfd00000
	v_fma_f64 v[6:7], v[20:21], s[10:11], 1.0
.LBB1_5:
	s_or_b64 exec, exec, s[8:9]
                                        ; implicit-def: $vgpr20_vgpr21
.LBB1_6:
	s_andn2_saveexec_b64 s[8:9], s[4:5]
	s_cbranch_execz .LBB1_16
; %bb.7:
	s_mov_b32 s11, 0xbfe921fb
	s_mov_b32 s10, 0x54442d18
	v_add_f64 v[6:7], v[8:9], s[10:11]
	s_mov_b32 s4, 0
	s_mov_b32 s5, 0x41d00000
                                        ; implicit-def: $vgpr30
                                        ; implicit-def: $vgpr16_vgpr17
                                        ; implicit-def: $vgpr18_vgpr19
	v_trig_preop_f64 v[26:27], |v[6:7]|, 0
	v_trig_preop_f64 v[24:25], |v[6:7]|, 1
	;; [unrolled: 1-line block ×3, first 2 shown]
	v_cmp_nlt_f64_e64 s[4:5], |v[6:7]|, s[4:5]
	s_and_saveexec_b64 s[12:13], s[4:5]
	s_xor_b64 s[12:13], exec, s[12:13]
	s_cbranch_execz .LBB1_9
; %bb.8:
	s_mov_b32 s14, 0
	s_mov_b32 s15, 0x7b000000
	s_movk_i32 s11, 0xff80
	v_ldexp_f64 v[12:13], |v[6:7]|, s11
	v_cmp_ge_f64_e64 vcc, |v[6:7]|, s[14:15]
	v_and_b32_e32 v14, 0x7fffffff, v7
	s_mov_b32 s14, 0
	s_mov_b32 s15, 0x7ff00000
	v_mov_b32_e32 v39, 0x40100000
	s_mov_b32 s11, 0x3ff921fb
	v_cndmask_b32_e32 v13, v14, v13, vcc
	v_cndmask_b32_e32 v12, v6, v12, vcc
	v_mul_f64 v[14:15], v[26:27], v[12:13]
	v_mul_f64 v[16:17], v[24:25], v[12:13]
	;; [unrolled: 1-line block ×3, first 2 shown]
	v_fma_f64 v[18:19], v[26:27], v[12:13], -v[14:15]
	v_fma_f64 v[35:36], v[24:25], v[12:13], -v[16:17]
	;; [unrolled: 1-line block ×3, first 2 shown]
	v_add_f64 v[29:30], v[16:17], v[18:19]
	v_add_f64 v[48:49], v[33:34], v[35:36]
	v_add_f64 v[31:32], v[29:30], -v[16:17]
	v_add_f64 v[37:38], v[29:30], -v[31:32]
	;; [unrolled: 1-line block ×3, first 2 shown]
	v_add_f64 v[31:32], v[14:15], v[29:30]
	v_add_f64 v[16:17], v[16:17], -v[37:38]
	v_add_f64 v[37:38], v[48:49], -v[33:34]
	v_add_f64 v[14:15], v[31:32], -v[14:15]
	v_ldexp_f64 v[31:32], v[31:32], -2
	v_add_f64 v[16:17], v[18:19], v[16:17]
	v_add_f64 v[18:19], v[35:36], -v[37:38]
	v_add_f64 v[35:36], v[48:49], -v[37:38]
	v_fract_f64_e32 v[37:38], v[31:32]
	v_add_f64 v[14:15], v[29:30], -v[14:15]
	v_cmp_neq_f64_e64 vcc, |v[31:32]|, s[14:15]
	s_mov_b32 s14, 0x33145c07
	s_mov_b32 s15, 0x3c91a626
	v_add_f64 v[29:30], v[48:49], v[16:17]
	v_add_f64 v[31:32], v[33:34], -v[35:36]
	v_ldexp_f64 v[35:36], v[37:38], 2
	v_add_f64 v[37:38], v[14:15], v[29:30]
	v_add_f64 v[18:19], v[18:19], v[31:32]
	v_cndmask_b32_e32 v32, 0, v36, vcc
	v_cndmask_b32_e32 v31, 0, v35, vcc
	v_add_f64 v[35:36], v[37:38], v[31:32]
	v_add_f64 v[14:15], v[37:38], -v[14:15]
	v_cmp_gt_f64_e32 vcc, 0, v[35:36]
	v_add_f64 v[35:36], v[29:30], -v[48:49]
	v_add_f64 v[14:15], v[29:30], -v[14:15]
	;; [unrolled: 1-line block ×5, first 2 shown]
	v_mov_b32_e32 v48, 0
	v_cndmask_b32_e32 v49, 0, v39, vcc
	v_add_f64 v[31:32], v[31:32], v[48:49]
	v_add_f64 v[16:17], v[16:17], v[35:36]
	;; [unrolled: 1-line block ×4, first 2 shown]
	v_cvt_i32_f64_e32 v39, v[49:50]
	v_cvt_f64_i32_e32 v[35:36], v39
	v_add_f64 v[12:13], v[12:13], v[16:17]
	v_add_f64 v[31:32], v[31:32], -v[35:36]
	v_add_f64 v[12:13], v[14:15], v[12:13]
	v_add_f64 v[18:19], v[37:38], v[31:32]
	v_add_f64 v[16:17], v[18:19], -v[31:32]
	v_cmp_le_f64_e32 vcc, 0.5, v[18:19]
	v_add_f64 v[14:15], v[37:38], -v[16:17]
	v_mov_b32_e32 v16, 0x3ff00000
	v_cndmask_b32_e32 v49, 0, v16, vcc
	v_add_f64 v[12:13], v[12:13], v[14:15]
	v_add_f64 v[14:15], v[18:19], -v[48:49]
	v_add_f64 v[16:17], v[14:15], v[12:13]
	v_mul_f64 v[18:19], v[16:17], s[10:11]
	v_add_f64 v[14:15], v[16:17], -v[14:15]
	v_fma_f64 v[29:30], v[16:17], s[10:11], -v[18:19]
	v_add_f64 v[12:13], v[12:13], -v[14:15]
	v_fma_f64 v[14:15], v[16:17], s[14:15], v[29:30]
	v_addc_co_u32_e32 v30, vcc, 0, v39, vcc
	v_fma_f64 v[12:13], v[12:13], s[10:11], v[14:15]
	v_add_f64 v[16:17], v[18:19], v[12:13]
	v_add_f64 v[14:15], v[16:17], -v[18:19]
	v_add_f64 v[18:19], v[12:13], -v[14:15]
	s_andn2_saveexec_b64 s[10:11], s[12:13]
	s_cbranch_execz .LBB1_11
	s_branch .LBB1_10
.LBB1_9:
	s_andn2_saveexec_b64 s[10:11], s[12:13]
	s_cbranch_execz .LBB1_11
.LBB1_10:
	s_mov_b32 s12, 0x6dc9c883
	s_mov_b32 s13, 0x3fe45f30
	v_mul_f64 v[12:13], |v[6:7]|, s[12:13]
	s_mov_b32 s12, 0x54442d18
	s_mov_b32 s13, 0xbff921fb
	s_mov_b32 s15, 0xbc91a626
	s_mov_b32 s14, 0x33145c00
	v_rndne_f64_e32 v[12:13], v[12:13]
	v_fma_f64 v[14:15], v[12:13], s[12:13], |v[6:7]|
	v_mul_f64 v[16:17], v[12:13], s[14:15]
	s_mov_b32 s12, 0x252049c0
	s_mov_b32 s13, 0xb97b839a
	v_add_f64 v[18:19], v[14:15], v[16:17]
	v_add_f64 v[29:30], v[14:15], -v[18:19]
	v_fma_f64 v[14:15], v[12:13], s[14:15], v[14:15]
	s_mov_b32 s15, 0x3c91a626
	v_add_f64 v[29:30], v[29:30], v[16:17]
	v_add_f64 v[18:19], v[18:19], -v[14:15]
	v_fma_f64 v[16:17], v[12:13], s[14:15], v[16:17]
	v_add_f64 v[18:19], v[18:19], v[29:30]
	v_cvt_i32_f64_e32 v30, v[12:13]
	v_add_f64 v[16:17], v[18:19], -v[16:17]
	v_fma_f64 v[18:19], v[12:13], s[12:13], v[16:17]
	v_add_f64 v[16:17], v[14:15], v[18:19]
	v_add_f64 v[14:15], v[16:17], -v[14:15]
	v_add_f64 v[18:19], v[18:19], -v[14:15]
.LBB1_11:
	s_or_b64 exec, exec, s[10:11]
                                        ; implicit-def: $vgpr29
                                        ; implicit-def: $vgpr12_vgpr13
                                        ; implicit-def: $vgpr14_vgpr15
	s_and_saveexec_b64 s[10:11], s[4:5]
	s_xor_b64 s[10:11], exec, s[10:11]
	s_cbranch_execz .LBB1_13
; %bb.12:
	s_mov_b32 s4, 0
	s_mov_b32 s5, 0x7b000000
	v_cmp_ge_f64_e64 vcc, |v[6:7]|, s[4:5]
	s_movk_i32 s4, 0xff80
	v_ldexp_f64 v[12:13], |v[6:7]|, s4
	v_and_b32_e32 v14, 0x7fffffff, v7
	s_mov_b32 s4, 0
	s_mov_b32 s5, 0x7ff00000
	;; [unrolled: 1-line block ×4, first 2 shown]
	v_cndmask_b32_e32 v13, v14, v13, vcc
	v_cndmask_b32_e32 v12, v6, v12, vcc
	v_mul_f64 v[31:32], v[26:27], v[12:13]
	v_mul_f64 v[14:15], v[24:25], v[12:13]
	v_fma_f64 v[26:27], v[26:27], v[12:13], -v[31:32]
	v_add_f64 v[33:34], v[14:15], v[26:27]
	v_add_f64 v[50:51], v[33:34], -v[14:15]
	v_add_f64 v[35:36], v[31:32], v[33:34]
	v_add_f64 v[26:27], v[26:27], -v[50:51]
	v_add_f64 v[50:51], v[33:34], -v[50:51]
	v_ldexp_f64 v[37:38], v[35:36], -2
	v_add_f64 v[31:32], v[35:36], -v[31:32]
	v_add_f64 v[50:51], v[14:15], -v[50:51]
	v_fma_f64 v[14:15], v[24:25], v[12:13], -v[14:15]
	v_mul_f64 v[24:25], v[22:23], v[12:13]
	v_fract_f64_e32 v[48:49], v[37:38]
	v_add_f64 v[31:32], v[33:34], -v[31:32]
	v_cmp_neq_f64_e64 vcc, |v[37:38]|, s[4:5]
	v_add_f64 v[26:27], v[26:27], v[50:51]
	v_add_f64 v[50:51], v[24:25], v[14:15]
	v_fma_f64 v[12:13], v[22:23], v[12:13], -v[24:25]
	v_add_f64 v[52:53], v[50:51], v[26:27]
	v_add_f64 v[35:36], v[52:53], -v[50:51]
	v_add_f64 v[33:34], v[31:32], v[52:53]
	v_add_f64 v[26:27], v[26:27], -v[35:36]
	v_add_f64 v[35:36], v[52:53], -v[35:36]
	;; [unrolled: 1-line block ×5, first 2 shown]
	v_add_f64 v[26:27], v[26:27], v[35:36]
	v_add_f64 v[35:36], v[50:51], -v[24:25]
	v_add_f64 v[14:15], v[14:15], -v[35:36]
	;; [unrolled: 1-line block ×4, first 2 shown]
	v_add_f64 v[14:15], v[14:15], v[35:36]
	v_add_f64 v[14:15], v[14:15], v[26:27]
	;; [unrolled: 1-line block ×3, first 2 shown]
	v_ldexp_f64 v[14:15], v[48:49], 2
	v_add_f64 v[12:13], v[31:32], v[12:13]
	v_cndmask_b32_e32 v15, 0, v15, vcc
	v_cndmask_b32_e32 v14, 0, v14, vcc
	v_add_f64 v[22:23], v[33:34], v[14:15]
	v_cmp_gt_f64_e32 vcc, 0, v[22:23]
	v_mov_b32_e32 v22, 0x40100000
	v_cndmask_b32_e32 v23, 0, v22, vcc
	v_mov_b32_e32 v22, 0
	v_add_f64 v[14:15], v[14:15], v[22:23]
	v_add_f64 v[23:24], v[33:34], v[14:15]
	v_cvt_i32_f64_e32 v26, v[23:24]
	v_cvt_f64_i32_e32 v[23:24], v26
	v_add_f64 v[14:15], v[14:15], -v[23:24]
	v_add_f64 v[24:25], v[33:34], v[14:15]
	v_add_f64 v[14:15], v[24:25], -v[14:15]
	v_cmp_le_f64_e32 vcc, 0.5, v[24:25]
	v_add_f64 v[14:15], v[33:34], -v[14:15]
	v_addc_co_u32_e64 v29, s[4:5], 0, v26, vcc
	s_mov_b32 s4, 0x54442d18
	s_mov_b32 s5, 0x3ff921fb
	v_add_f64 v[12:13], v[12:13], v[14:15]
	v_mov_b32_e32 v14, 0x3ff00000
	v_cndmask_b32_e32 v23, 0, v14, vcc
	v_add_f64 v[14:15], v[24:25], -v[22:23]
	v_add_f64 v[22:23], v[14:15], v[12:13]
	v_add_f64 v[14:15], v[22:23], -v[14:15]
	v_add_f64 v[12:13], v[12:13], -v[14:15]
	v_mul_f64 v[14:15], v[22:23], s[4:5]
	v_fma_f64 v[24:25], v[22:23], s[4:5], -v[14:15]
	v_fma_f64 v[22:23], v[22:23], s[12:13], v[24:25]
	v_fma_f64 v[22:23], v[12:13], s[4:5], v[22:23]
	v_add_f64 v[12:13], v[14:15], v[22:23]
	v_add_f64 v[14:15], v[12:13], -v[14:15]
	v_add_f64 v[14:15], v[22:23], -v[14:15]
	s_andn2_saveexec_b64 s[4:5], s[10:11]
	s_cbranch_execnz .LBB1_14
	s_branch .LBB1_15
.LBB1_13:
	s_andn2_saveexec_b64 s[4:5], s[10:11]
	s_cbranch_execz .LBB1_15
.LBB1_14:
	s_mov_b32 s10, 0x6dc9c883
	s_mov_b32 s11, 0x3fe45f30
	v_mul_f64 v[12:13], |v[6:7]|, s[10:11]
	s_mov_b32 s10, 0x54442d18
	s_mov_b32 s11, 0xbff921fb
	;; [unrolled: 1-line block ×4, first 2 shown]
	v_rndne_f64_e32 v[22:23], v[12:13]
	v_fma_f64 v[12:13], v[22:23], s[10:11], |v[6:7]|
	v_mul_f64 v[14:15], v[22:23], s[12:13]
	s_mov_b32 s10, 0x252049c0
	s_mov_b32 s11, 0xb97b839a
	v_cvt_i32_f64_e32 v29, v[22:23]
	v_fma_f64 v[31:32], v[22:23], s[12:13], v[12:13]
	v_add_f64 v[24:25], v[12:13], v[14:15]
	s_mov_b32 s13, 0x3c91a626
	v_add_f64 v[26:27], v[12:13], -v[24:25]
	v_add_f64 v[24:25], v[24:25], -v[31:32]
	v_add_f64 v[12:13], v[26:27], v[14:15]
	v_fma_f64 v[14:15], v[22:23], s[12:13], v[14:15]
	v_add_f64 v[12:13], v[24:25], v[12:13]
	v_add_f64 v[12:13], v[12:13], -v[14:15]
	v_fma_f64 v[14:15], v[22:23], s[10:11], v[12:13]
	v_add_f64 v[12:13], v[31:32], v[14:15]
	v_add_f64 v[24:25], v[12:13], -v[31:32]
	v_add_f64 v[14:15], v[14:15], -v[24:25]
.LBB1_15:
	s_or_b64 exec, exec, s[4:5]
	s_mov_b32 s4, 0
	s_mov_b32 s5, 0x40390000
	v_div_scale_f64 v[22:23], s[10:11], v[20:21], v[20:21], s[4:5]
	s_mov_b32 s10, 0x46cc5e42
	s_mov_b32 s11, 0xbda907db
	;; [unrolled: 1-line block ×14, first 2 shown]
	v_rcp_f64_e32 v[24:25], v[22:23]
	s_mov_b32 s24, 0x19e83e5c
	s_mov_b32 s25, 0xbf2a01a0
	;; [unrolled: 1-line block ×4, first 2 shown]
	v_mul_f64 v[50:51], v[18:19], 0.5
	s_mov_b32 s23, 0xbfc55555
	s_mov_b32 s22, s18
	s_mov_b32 s40, 0
	s_mov_b32 s41, 0xc0140000
	v_mov_b32_e32 v39, 0x7ff80000
	v_fma_f64 v[26:27], -v[22:23], v[24:25], 1.0
	v_fma_f64 v[24:25], v[24:25], v[26:27], v[24:25]
	v_fma_f64 v[26:27], -v[22:23], v[24:25], 1.0
	v_fma_f64 v[24:25], v[24:25], v[26:27], v[24:25]
	v_div_scale_f64 v[26:27], vcc, s[4:5], v[20:21], s[4:5]
	v_mul_f64 v[31:32], v[26:27], v[24:25]
	v_fma_f64 v[22:23], -v[22:23], v[31:32], v[26:27]
	v_mov_b32_e32 v26, 0x38a5384a
	v_mov_b32_e32 v27, 0xbf874742
	v_div_fmas_f64 v[22:23], v[22:23], v[24:25], v[31:32]
	v_mov_b32_e32 v24, 0xce039737
	v_mov_b32_e32 v25, 0x3f4e4a80
	;; [unrolled: 1-line block ×4, first 2 shown]
	v_div_fixup_f64 v[20:21], v[22:23], v[20:21], s[4:5]
	v_mov_b32_e32 v22, 0x983b6b27
	v_mov_b32_e32 v23, 0x3f4a1d30
	s_mov_b32 s4, 0xb35dd1cf
	s_mov_b32 s5, 0x3fb534b0
	v_fma_f64 v[22:23], v[20:21], 0, v[22:23]
	v_fma_f64 v[24:25], v[20:21], 0, v[24:25]
	;; [unrolled: 1-line block ×5, first 2 shown]
	s_mov_b32 s4, 0x4e680b98
	s_mov_b32 s5, 0x3ff3d521
	v_fma_f64 v[22:23], v[20:21], v[22:23], s[4:5]
	s_mov_b32 s4, 0xe97a0956
	s_mov_b32 s5, 0x4015c9fb
	v_fma_f64 v[22:23], v[20:21], v[22:23], s[4:5]
	;; [unrolled: 3-line block ×10, first 2 shown]
	s_mov_b32 s4, 0xf50e2c0c
	s_mov_b32 s5, 0xc0338dcf
	v_fma_f64 v[24:25], v[20:21], v[24:25], 1.0
	v_fma_f64 v[26:27], v[20:21], v[26:27], s[4:5]
	s_mov_b32 s4, 0x5a6de8c4
	s_mov_b32 s5, 0xc0574d2f
	v_fma_f64 v[26:27], v[20:21], v[26:27], s[4:5]
	s_mov_b32 s4, 0x20cae8ea
	s_mov_b32 s5, 0xc06635cc
	;; [unrolled: 3-line block ×11, first 2 shown]
	v_fma_f64 v[31:32], v[20:21], v[31:32], s[4:5]
	v_fma_f64 v[20:21], v[20:21], v[22:23], 1.0
	v_div_scale_f64 v[22:23], s[4:5], v[24:25], v[24:25], v[20:21]
	s_mov_b32 s4, 0x9037ab78
	s_mov_b32 s5, 0x3e21eeb6
	v_rcp_f64_e32 v[33:34], v[22:23]
	v_fma_f64 v[35:36], -v[22:23], v[33:34], 1.0
	v_fma_f64 v[33:34], v[33:34], v[35:36], v[33:34]
	v_fma_f64 v[35:36], -v[22:23], v[33:34], 1.0
	v_fma_f64 v[33:34], v[33:34], v[35:36], v[33:34]
	v_div_scale_f64 v[35:36], vcc, v[20:21], v[24:25], v[20:21]
	v_mul_f64 v[37:38], v[35:36], v[33:34]
	v_fma_f64 v[22:23], -v[22:23], v[37:38], v[35:36]
	s_nop 1
	v_div_fmas_f64 v[22:23], v[22:23], v[33:34], v[37:38]
	v_mov_b32_e32 v38, s5
	v_mov_b32_e32 v37, s4
	s_mov_b32 s4, 0xb42fdfa7
	s_mov_b32 s5, 0xbe5ae600
	v_div_fixup_f64 v[20:21], v[22:23], v[24:25], v[20:21]
	v_mul_f64 v[22:23], v[16:17], v[16:17]
	v_mul_f64 v[24:25], v[22:23], 0.5
	v_fma_f64 v[48:49], v[22:23], s[10:11], v[37:38]
	v_add_f64 v[33:34], -v[24:25], 1.0
	v_fma_f64 v[48:49], v[22:23], v[48:49], s[14:15]
	v_add_f64 v[35:36], -v[33:34], 1.0
	v_fma_f64 v[48:49], v[22:23], v[48:49], s[12:13]
	v_add_f64 v[24:25], v[35:36], -v[24:25]
	v_fma_f64 v[48:49], v[22:23], v[48:49], s[16:17]
	v_mul_f64 v[35:36], v[22:23], v[22:23]
	v_fma_f64 v[24:25], v[16:17], -v[18:19], v[24:25]
	v_fma_f64 v[48:49], v[22:23], v[48:49], s[18:19]
	v_fma_f64 v[24:25], v[35:36], v[48:49], v[24:25]
	v_mul_f64 v[48:49], v[16:17], -v[22:23]
	v_add_f64 v[24:25], v[33:34], v[24:25]
	v_mov_b32_e32 v34, s5
	v_mov_b32_e32 v33, s4
	v_fma_f64 v[35:36], v[22:23], s[20:21], v[33:34]
	s_movk_i32 s4, 0x1f8
	v_cmp_class_f64_e64 s[4:5], v[6:7], s4
	v_and_b32_e32 v6, 1, v29
	v_fma_f64 v[35:36], v[22:23], v[35:36], s[28:29]
	v_fma_f64 v[35:36], v[22:23], v[35:36], s[24:25]
	v_fma_f64 v[35:36], v[22:23], v[35:36], s[26:27]
	v_fma_f64 v[35:36], v[48:49], v[35:36], v[50:51]
	v_fma_f64 v[18:19], v[22:23], v[35:36], -v[18:19]
	v_fma_f64 v[18:19], v[48:49], s[22:23], v[18:19]
	v_add_f64 v[16:17], v[16:17], -v[18:19]
	v_and_b32_e32 v18, 1, v30
	v_cmp_eq_u32_e32 vcc, 0, v18
	v_lshlrev_b32_e32 v18, 30, v30
	v_and_b32_e32 v18, 0x80000000, v18
	v_xor_b32_e32 v17, 0x80000000, v17
	v_cndmask_b32_e32 v17, v17, v25, vcc
	v_xor_b32_e32 v17, v17, v18
	v_div_scale_f64 v[18:19], s[42:43], v[8:9], v[8:9], s[40:41]
	v_cndmask_b32_e32 v16, v16, v24, vcc
	v_cndmask_b32_e64 v16, 0, v16, s[4:5]
	v_cndmask_b32_e64 v17, v39, v17, s[4:5]
	v_rcp_f64_e32 v[22:23], v[18:19]
	v_fma_f64 v[24:25], -v[18:19], v[22:23], 1.0
	v_fma_f64 v[22:23], v[22:23], v[24:25], v[22:23]
	v_fma_f64 v[24:25], -v[18:19], v[22:23], 1.0
	v_fma_f64 v[22:23], v[22:23], v[24:25], v[22:23]
	v_div_scale_f64 v[24:25], vcc, s[40:41], v[8:9], s[40:41]
	v_mul_f64 v[35:36], v[24:25], v[22:23]
	v_fma_f64 v[18:19], -v[18:19], v[35:36], v[24:25]
	s_nop 1
	v_div_fmas_f64 v[18:19], v[18:19], v[22:23], v[35:36]
	v_div_fixup_f64 v[18:19], v[18:19], v[8:9], s[40:41]
	v_div_scale_f64 v[22:23], s[40:41], v[31:32], v[31:32], v[26:27]
	v_rcp_f64_e32 v[24:25], v[22:23]
	v_fma_f64 v[35:36], -v[22:23], v[24:25], 1.0
	v_fma_f64 v[24:25], v[24:25], v[35:36], v[24:25]
	v_fma_f64 v[35:36], -v[22:23], v[24:25], 1.0
	v_fma_f64 v[24:25], v[24:25], v[35:36], v[24:25]
	v_div_scale_f64 v[35:36], vcc, v[26:27], v[31:32], v[26:27]
	v_mul_f64 v[48:49], v[35:36], v[24:25]
	v_fma_f64 v[22:23], -v[22:23], v[48:49], v[35:36]
	s_nop 1
	v_div_fmas_f64 v[22:23], v[22:23], v[24:25], v[48:49]
	v_cmp_eq_u32_e32 vcc, 0, v6
	v_div_fixup_f64 v[22:23], v[22:23], v[31:32], v[26:27]
	v_mul_f64 v[18:19], v[18:19], v[22:23]
	v_mul_f64 v[22:23], v[12:13], v[12:13]
	v_mul_f64 v[24:25], v[22:23], 0.5
	v_fma_f64 v[35:36], v[22:23], s[10:11], v[37:38]
	v_add_f64 v[26:27], -v[24:25], 1.0
	v_fma_f64 v[35:36], v[22:23], v[35:36], s[14:15]
	v_add_f64 v[30:31], -v[26:27], 1.0
	v_fma_f64 v[35:36], v[22:23], v[35:36], s[12:13]
	v_add_f64 v[24:25], v[30:31], -v[24:25]
	v_fma_f64 v[35:36], v[22:23], v[35:36], s[16:17]
	v_mul_f64 v[30:31], v[22:23], v[22:23]
	v_fma_f64 v[24:25], v[12:13], -v[14:15], v[24:25]
	v_fma_f64 v[35:36], v[22:23], v[35:36], s[18:19]
	v_fma_f64 v[24:25], v[30:31], v[35:36], v[24:25]
	v_mul_f64 v[30:31], v[12:13], -v[22:23]
	v_add_f64 v[24:25], v[26:27], v[24:25]
	v_fma_f64 v[26:27], v[22:23], s[20:21], v[33:34]
	v_mul_f64 v[32:33], v[14:15], 0.5
	v_fma_f64 v[26:27], v[22:23], v[26:27], s[28:29]
	v_fma_f64 v[26:27], v[22:23], v[26:27], s[24:25]
	;; [unrolled: 1-line block ×4, first 2 shown]
	v_fma_f64 v[14:15], v[22:23], v[26:27], -v[14:15]
	v_fma_f64 v[14:15], v[30:31], s[22:23], v[14:15]
	v_add_f64 v[12:13], v[12:13], -v[14:15]
	v_cndmask_b32_e32 v6, v24, v12, vcc
	v_cndmask_b32_e32 v12, v25, v13, vcc
	v_lshlrev_b32_e32 v13, 30, v29
	v_xor_b32_e32 v7, v13, v7
	v_and_b32_e32 v7, 0x80000000, v7
	v_xor_b32_e32 v7, v12, v7
	v_cndmask_b32_e64 v6, 0, v6, s[4:5]
	v_cndmask_b32_e64 v7, v39, v7, s[4:5]
	v_mul_f64 v[6:7], v[18:19], v[6:7]
	s_mov_b32 s4, 0x33d43651
	s_mov_b32 s5, 0x3fe98845
	v_mov_b32_e32 v12, 0x100
	v_fma_f64 v[6:7], v[20:21], v[16:17], v[6:7]
	v_mul_f64 v[6:7], v[6:7], s[4:5]
	s_mov_b32 s4, 0
	s_brev_b32 s5, 8
	v_cmp_gt_f64_e32 vcc, s[4:5], v[8:9]
	v_cndmask_b32_e32 v12, 0, v12, vcc
	v_ldexp_f64 v[8:9], v[8:9], v12
	v_rsq_f64_e32 v[12:13], v[8:9]
	v_mul_f64 v[14:15], v[8:9], v[12:13]
	v_mul_f64 v[12:13], v[12:13], 0.5
	v_fma_f64 v[16:17], -v[12:13], v[14:15], 0.5
	v_fma_f64 v[14:15], v[14:15], v[16:17], v[14:15]
	v_fma_f64 v[12:13], v[12:13], v[16:17], v[12:13]
	v_fma_f64 v[18:19], -v[14:15], v[14:15], v[8:9]
	v_fma_f64 v[14:15], v[18:19], v[12:13], v[14:15]
	v_fma_f64 v[16:17], -v[14:15], v[14:15], v[8:9]
	v_fma_f64 v[12:13], v[16:17], v[12:13], v[14:15]
	v_mov_b32_e32 v14, 0xffffff80
	v_cndmask_b32_e32 v14, 0, v14, vcc
	v_ldexp_f64 v[12:13], v[12:13], v14
	v_mov_b32_e32 v14, 0x260
	v_cmp_class_f64_e32 vcc, v[8:9], v14
	v_cndmask_b32_e32 v9, v13, v9, vcc
	v_cndmask_b32_e32 v8, v12, v8, vcc
	v_div_scale_f64 v[12:13], s[4:5], v[8:9], v[8:9], v[6:7]
	v_rcp_f64_e32 v[14:15], v[12:13]
	v_fma_f64 v[16:17], -v[12:13], v[14:15], 1.0
	v_fma_f64 v[14:15], v[14:15], v[16:17], v[14:15]
	v_fma_f64 v[16:17], -v[12:13], v[14:15], 1.0
	v_fma_f64 v[14:15], v[14:15], v[16:17], v[14:15]
	v_div_scale_f64 v[16:17], vcc, v[6:7], v[8:9], v[6:7]
	v_mul_f64 v[18:19], v[16:17], v[14:15]
	v_fma_f64 v[12:13], -v[12:13], v[18:19], v[16:17]
	s_nop 1
	v_div_fmas_f64 v[12:13], v[12:13], v[14:15], v[18:19]
	v_div_fixup_f64 v[6:7], v[12:13], v[8:9], v[6:7]
.LBB1_16:
	s_or_b64 exec, exec, s[8:9]
	v_cmp_gt_f64_e32 vcc, 0, v[10:11]
	v_xor_b32_e32 v8, 0x80000000, v11
	s_mov_b32 s4, 0
	s_mov_b32 s5, 0x40140000
	v_cndmask_b32_e32 v11, v11, v8, vcc
	v_cmp_ge_f64_e32 vcc, s[4:5], v[10:11]
	v_mul_f64 v[20:21], v[10:11], v[10:11]
	s_and_saveexec_b64 s[4:5], vcc
	s_xor_b64 s[4:5], exec, s[4:5]
	s_cbranch_execz .LBB1_22
; %bb.17:
	s_mov_b32 s8, 0x88e368f1
	s_mov_b32 s9, 0x3ee4f8b5
	v_cmp_ngt_f64_e32 vcc, s[8:9], v[10:11]
	s_and_saveexec_b64 s[8:9], vcc
	s_xor_b64 s[8:9], exec, s[8:9]
	s_cbranch_execz .LBB1_19
; %bb.18:
	v_mov_b32_e32 v8, 0xa696b78c
	v_mov_b32_e32 v9, 0x407f3902
	v_fma_f64 v[8:9], v[20:21], 0, v[8:9]
	s_mov_b32 s10, 0x36a21a67
	s_mov_b32 s11, 0x410536cb
	s_mov_b32 s12, 0x9444914
	v_mov_b32_e32 v10, 0xad1c8325
	v_mov_b32_e32 v11, 0xc1f1dc53
	s_mov_b32 s13, 0x4204d5b0
	v_fma_f64 v[10:11], v[20:21], 0, v[10:11]
	v_fma_f64 v[8:9], v[20:21], v[8:9], s[10:11]
	s_mov_b32 s10, 0x2eac0634
	s_mov_b32 s11, 0x41871934
	s_mov_b32 s14, 0x72182e46
	s_mov_b32 s15, 0x427ebeb3
	s_mov_b32 s16, 0x8c9748e9
	s_mov_b32 s17, 0x42f1a6a2
	v_fma_f64 v[8:9], v[20:21], v[8:9], s[10:11]
	s_mov_b32 s10, 0xc772990d
	s_mov_b32 s11, 0x427c7751
	v_fma_f64 v[10:11], v[20:21], v[10:11], s[10:11]
	s_mov_b32 s10, 0x80462bbb
	s_mov_b32 s11, 0xc01721fb
	v_add_f64 v[12:13], v[20:21], s[10:11]
	s_mov_b32 s10, 0x7e7b2e9c
	v_fma_f64 v[8:9], v[20:21], v[8:9], s[12:13]
	s_mov_b32 s12, 0xe0d900f7
	s_mov_b32 s13, 0xc2ec5614
	v_fma_f64 v[10:11], v[20:21], v[10:11], s[12:13]
	s_mov_b32 s12, 0x69ff5fb4
	s_mov_b32 s11, 0x435c4141
	;; [unrolled: 1-line block ×3, first 2 shown]
	v_fma_f64 v[8:9], v[20:21], v[8:9], s[14:15]
	s_mov_b32 s14, 0xa621dd6f
	s_mov_b32 s15, 0xc03e78a4
	v_add_f64 v[14:15], v[20:21], s[14:15]
	v_fma_f64 v[10:11], v[20:21], v[10:11], s[12:13]
	v_fma_f64 v[8:9], v[20:21], v[8:9], s[16:17]
	v_mul_f64 v[12:13], v[12:13], v[14:15]
	v_fma_f64 v[8:9], v[20:21], v[8:9], s[10:11]
	s_mov_b32 s10, 0xc7b662cc
	s_mov_b32 s11, 0x43b7be34
	v_mul_f64 v[10:11], v[12:13], v[10:11]
	v_fma_f64 v[8:9], v[20:21], v[8:9], s[10:11]
                                        ; implicit-def: $vgpr20_vgpr21
	v_div_scale_f64 v[12:13], s[10:11], v[8:9], v[8:9], v[10:11]
	v_div_scale_f64 v[18:19], vcc, v[10:11], v[8:9], v[10:11]
	v_rcp_f64_e32 v[14:15], v[12:13]
	v_fma_f64 v[16:17], -v[12:13], v[14:15], 1.0
	v_fma_f64 v[14:15], v[14:15], v[16:17], v[14:15]
	v_fma_f64 v[16:17], -v[12:13], v[14:15], 1.0
	v_fma_f64 v[14:15], v[14:15], v[16:17], v[14:15]
	v_mul_f64 v[16:17], v[18:19], v[14:15]
	v_fma_f64 v[12:13], -v[12:13], v[16:17], v[18:19]
	v_div_fmas_f64 v[12:13], v[12:13], v[14:15], v[16:17]
	v_div_fixup_f64 v[8:9], v[12:13], v[8:9], v[10:11]
.LBB1_19:
	s_andn2_saveexec_b64 s[8:9], s[8:9]
	s_cbranch_execz .LBB1_21
; %bb.20:
	s_mov_b32 s10, 0
	s_mov_b32 s11, 0xbfd00000
	v_fma_f64 v[8:9], v[20:21], s[10:11], 1.0
.LBB1_21:
	s_or_b64 exec, exec, s[8:9]
                                        ; implicit-def: $vgpr20_vgpr21
                                        ; implicit-def: $vgpr10_vgpr11
.LBB1_22:
	s_andn2_saveexec_b64 s[8:9], s[4:5]
	s_cbranch_execz .LBB1_32
; %bb.23:
	s_mov_b32 s13, 0xbfe921fb
	s_mov_b32 s12, 0x54442d18
	v_add_f64 v[8:9], v[10:11], s[12:13]
	s_mov_b32 s4, 0
	s_mov_b32 s5, 0x41d00000
                                        ; implicit-def: $vgpr30
                                        ; implicit-def: $vgpr16_vgpr17
                                        ; implicit-def: $vgpr18_vgpr19
	v_trig_preop_f64 v[26:27], |v[8:9]|, 0
	v_trig_preop_f64 v[24:25], |v[8:9]|, 1
	;; [unrolled: 1-line block ×3, first 2 shown]
	v_cmp_nlt_f64_e64 s[10:11], |v[8:9]|, s[4:5]
	s_and_saveexec_b64 s[4:5], s[10:11]
	s_xor_b64 s[14:15], exec, s[4:5]
	s_cbranch_execz .LBB1_25
; %bb.24:
	s_mov_b32 s4, 0
	s_mov_b32 s5, 0x7b000000
	v_cmp_ge_f64_e64 vcc, |v[8:9]|, s[4:5]
	s_movk_i32 s4, 0xff80
	v_ldexp_f64 v[12:13], |v[8:9]|, s4
	v_and_b32_e32 v14, 0x7fffffff, v9
	s_mov_b32 s4, 0
	s_mov_b32 s5, 0x7ff00000
	;; [unrolled: 1-line block ×3, first 2 shown]
	v_cndmask_b32_e32 v13, v14, v13, vcc
	v_cndmask_b32_e32 v12, v8, v12, vcc
	v_mul_f64 v[16:17], v[26:27], v[12:13]
	v_mul_f64 v[14:15], v[24:25], v[12:13]
	v_fma_f64 v[18:19], v[26:27], v[12:13], -v[16:17]
	v_add_f64 v[29:30], v[14:15], v[18:19]
	v_add_f64 v[37:38], v[29:30], -v[14:15]
	v_add_f64 v[31:32], v[16:17], v[29:30]
	v_add_f64 v[18:19], v[18:19], -v[37:38]
	v_add_f64 v[37:38], v[29:30], -v[37:38]
	v_ldexp_f64 v[33:34], v[31:32], -2
	v_add_f64 v[16:17], v[31:32], -v[16:17]
	v_add_f64 v[37:38], v[14:15], -v[37:38]
	v_fma_f64 v[14:15], v[24:25], v[12:13], -v[14:15]
	v_add_f64 v[16:17], v[29:30], -v[16:17]
	v_fract_f64_e32 v[35:36], v[33:34]
	v_cmp_neq_f64_e64 vcc, |v[33:34]|, s[4:5]
	v_add_f64 v[18:19], v[18:19], v[37:38]
	v_mul_f64 v[37:38], v[22:23], v[12:13]
	v_add_f64 v[48:49], v[37:38], v[14:15]
	v_fma_f64 v[12:13], v[22:23], v[12:13], -v[37:38]
	v_add_f64 v[50:51], v[48:49], v[18:19]
	v_add_f64 v[31:32], v[50:51], -v[48:49]
	v_add_f64 v[29:30], v[16:17], v[50:51]
	v_add_f64 v[18:19], v[18:19], -v[31:32]
	v_add_f64 v[31:32], v[50:51], -v[31:32]
	;; [unrolled: 1-line block ×5, first 2 shown]
	v_add_f64 v[18:19], v[18:19], v[31:32]
	v_add_f64 v[31:32], v[48:49], -v[37:38]
	v_add_f64 v[14:15], v[14:15], -v[31:32]
	;; [unrolled: 1-line block ×4, first 2 shown]
	v_add_f64 v[14:15], v[14:15], v[31:32]
	v_add_f64 v[14:15], v[14:15], v[18:19]
	;; [unrolled: 1-line block ×3, first 2 shown]
	v_ldexp_f64 v[14:15], v[35:36], 2
	v_add_f64 v[12:13], v[16:17], v[12:13]
	v_cndmask_b32_e32 v15, 0, v15, vcc
	v_cndmask_b32_e32 v14, 0, v14, vcc
	v_add_f64 v[16:17], v[29:30], v[14:15]
	v_cmp_gt_f64_e32 vcc, 0, v[16:17]
	v_mov_b32_e32 v16, 0x40100000
	v_cndmask_b32_e32 v17, 0, v16, vcc
	v_mov_b32_e32 v16, 0
	v_add_f64 v[14:15], v[14:15], v[16:17]
	v_add_f64 v[17:18], v[29:30], v[14:15]
	v_cvt_i32_f64_e32 v31, v[17:18]
	v_cvt_f64_i32_e32 v[17:18], v31
	v_add_f64 v[14:15], v[14:15], -v[17:18]
	v_add_f64 v[18:19], v[29:30], v[14:15]
	v_add_f64 v[14:15], v[18:19], -v[14:15]
	v_cmp_le_f64_e32 vcc, 0.5, v[18:19]
	v_add_f64 v[14:15], v[29:30], -v[14:15]
	v_addc_co_u32_e64 v30, s[4:5], 0, v31, vcc
	s_mov_b32 s4, 0x33145c07
	s_mov_b32 s5, 0x3c91a626
	v_add_f64 v[12:13], v[12:13], v[14:15]
	v_mov_b32_e32 v14, 0x3ff00000
	v_cndmask_b32_e32 v17, 0, v14, vcc
	v_add_f64 v[14:15], v[18:19], -v[16:17]
	v_add_f64 v[16:17], v[14:15], v[12:13]
	v_add_f64 v[14:15], v[16:17], -v[14:15]
	v_add_f64 v[12:13], v[12:13], -v[14:15]
	v_mul_f64 v[14:15], v[16:17], s[12:13]
	v_fma_f64 v[18:19], v[16:17], s[12:13], -v[14:15]
	v_fma_f64 v[16:17], v[16:17], s[4:5], v[18:19]
	v_fma_f64 v[12:13], v[12:13], s[12:13], v[16:17]
	v_add_f64 v[16:17], v[14:15], v[12:13]
	v_add_f64 v[14:15], v[16:17], -v[14:15]
	v_add_f64 v[18:19], v[12:13], -v[14:15]
	s_andn2_saveexec_b64 s[4:5], s[14:15]
	s_cbranch_execz .LBB1_27
	s_branch .LBB1_26
.LBB1_25:
	s_andn2_saveexec_b64 s[4:5], s[14:15]
	s_cbranch_execz .LBB1_27
.LBB1_26:
	s_mov_b32 s12, 0x6dc9c883
	s_mov_b32 s13, 0x3fe45f30
	v_mul_f64 v[12:13], |v[8:9]|, s[12:13]
	s_mov_b32 s12, 0x54442d18
	s_mov_b32 s13, 0xbff921fb
	;; [unrolled: 1-line block ×4, first 2 shown]
	v_rndne_f64_e32 v[12:13], v[12:13]
	v_fma_f64 v[14:15], v[12:13], s[12:13], |v[8:9]|
	v_mul_f64 v[16:17], v[12:13], s[14:15]
	s_mov_b32 s12, 0x252049c0
	s_mov_b32 s13, 0xb97b839a
	v_add_f64 v[18:19], v[14:15], v[16:17]
	v_add_f64 v[29:30], v[14:15], -v[18:19]
	v_fma_f64 v[14:15], v[12:13], s[14:15], v[14:15]
	s_mov_b32 s15, 0x3c91a626
	v_add_f64 v[29:30], v[29:30], v[16:17]
	v_add_f64 v[18:19], v[18:19], -v[14:15]
	v_fma_f64 v[16:17], v[12:13], s[14:15], v[16:17]
	v_add_f64 v[18:19], v[18:19], v[29:30]
	v_cvt_i32_f64_e32 v30, v[12:13]
	v_add_f64 v[16:17], v[18:19], -v[16:17]
	v_fma_f64 v[18:19], v[12:13], s[12:13], v[16:17]
	v_add_f64 v[16:17], v[14:15], v[18:19]
	v_add_f64 v[14:15], v[16:17], -v[14:15]
	v_add_f64 v[18:19], v[18:19], -v[14:15]
.LBB1_27:
	s_or_b64 exec, exec, s[4:5]
                                        ; implicit-def: $vgpr29
                                        ; implicit-def: $vgpr12_vgpr13
                                        ; implicit-def: $vgpr14_vgpr15
	s_and_saveexec_b64 s[4:5], s[10:11]
	s_xor_b64 s[10:11], exec, s[4:5]
	s_cbranch_execz .LBB1_29
; %bb.28:
	s_mov_b32 s4, 0
	s_mov_b32 s5, 0x7b000000
	v_cmp_ge_f64_e64 vcc, |v[8:9]|, s[4:5]
	s_movk_i32 s4, 0xff80
	v_ldexp_f64 v[12:13], |v[8:9]|, s4
	v_and_b32_e32 v14, 0x7fffffff, v9
	s_mov_b32 s4, 0
	s_mov_b32 s5, 0x7ff00000
	;; [unrolled: 1-line block ×4, first 2 shown]
	v_cndmask_b32_e32 v13, v14, v13, vcc
	v_cndmask_b32_e32 v12, v8, v12, vcc
	v_mul_f64 v[31:32], v[26:27], v[12:13]
	v_mul_f64 v[14:15], v[24:25], v[12:13]
	v_fma_f64 v[26:27], v[26:27], v[12:13], -v[31:32]
	v_add_f64 v[33:34], v[14:15], v[26:27]
	v_add_f64 v[50:51], v[33:34], -v[14:15]
	v_add_f64 v[35:36], v[31:32], v[33:34]
	v_add_f64 v[26:27], v[26:27], -v[50:51]
	v_add_f64 v[50:51], v[33:34], -v[50:51]
	v_ldexp_f64 v[37:38], v[35:36], -2
	v_add_f64 v[31:32], v[35:36], -v[31:32]
	v_add_f64 v[50:51], v[14:15], -v[50:51]
	v_fma_f64 v[14:15], v[24:25], v[12:13], -v[14:15]
	v_mul_f64 v[24:25], v[22:23], v[12:13]
	v_fract_f64_e32 v[48:49], v[37:38]
	v_add_f64 v[31:32], v[33:34], -v[31:32]
	v_cmp_neq_f64_e64 vcc, |v[37:38]|, s[4:5]
	v_add_f64 v[26:27], v[26:27], v[50:51]
	v_add_f64 v[50:51], v[24:25], v[14:15]
	v_fma_f64 v[12:13], v[22:23], v[12:13], -v[24:25]
	v_add_f64 v[52:53], v[50:51], v[26:27]
	v_add_f64 v[35:36], v[52:53], -v[50:51]
	v_add_f64 v[33:34], v[31:32], v[52:53]
	v_add_f64 v[26:27], v[26:27], -v[35:36]
	v_add_f64 v[35:36], v[52:53], -v[35:36]
	;; [unrolled: 1-line block ×5, first 2 shown]
	v_add_f64 v[26:27], v[26:27], v[35:36]
	v_add_f64 v[35:36], v[50:51], -v[24:25]
	v_add_f64 v[14:15], v[14:15], -v[35:36]
	;; [unrolled: 1-line block ×4, first 2 shown]
	v_add_f64 v[14:15], v[14:15], v[35:36]
	v_add_f64 v[14:15], v[14:15], v[26:27]
	;; [unrolled: 1-line block ×3, first 2 shown]
	v_ldexp_f64 v[14:15], v[48:49], 2
	v_add_f64 v[12:13], v[31:32], v[12:13]
	v_cndmask_b32_e32 v15, 0, v15, vcc
	v_cndmask_b32_e32 v14, 0, v14, vcc
	v_add_f64 v[22:23], v[33:34], v[14:15]
	v_cmp_gt_f64_e32 vcc, 0, v[22:23]
	v_mov_b32_e32 v22, 0x40100000
	v_cndmask_b32_e32 v23, 0, v22, vcc
	v_mov_b32_e32 v22, 0
	v_add_f64 v[14:15], v[14:15], v[22:23]
	v_add_f64 v[23:24], v[33:34], v[14:15]
	v_cvt_i32_f64_e32 v26, v[23:24]
	v_cvt_f64_i32_e32 v[23:24], v26
	v_add_f64 v[14:15], v[14:15], -v[23:24]
	v_add_f64 v[24:25], v[33:34], v[14:15]
	v_add_f64 v[14:15], v[24:25], -v[14:15]
	v_cmp_le_f64_e32 vcc, 0.5, v[24:25]
	v_add_f64 v[14:15], v[33:34], -v[14:15]
	v_addc_co_u32_e64 v29, s[4:5], 0, v26, vcc
	s_mov_b32 s4, 0x54442d18
	s_mov_b32 s5, 0x3ff921fb
	v_add_f64 v[12:13], v[12:13], v[14:15]
	v_mov_b32_e32 v14, 0x3ff00000
	v_cndmask_b32_e32 v23, 0, v14, vcc
	v_add_f64 v[14:15], v[24:25], -v[22:23]
	v_add_f64 v[22:23], v[14:15], v[12:13]
	v_add_f64 v[14:15], v[22:23], -v[14:15]
	v_add_f64 v[12:13], v[12:13], -v[14:15]
	v_mul_f64 v[14:15], v[22:23], s[4:5]
	v_fma_f64 v[24:25], v[22:23], s[4:5], -v[14:15]
	v_fma_f64 v[22:23], v[22:23], s[12:13], v[24:25]
	v_fma_f64 v[22:23], v[12:13], s[4:5], v[22:23]
	v_add_f64 v[12:13], v[14:15], v[22:23]
	v_add_f64 v[14:15], v[12:13], -v[14:15]
	v_add_f64 v[14:15], v[22:23], -v[14:15]
	s_andn2_saveexec_b64 s[4:5], s[10:11]
	s_cbranch_execnz .LBB1_30
	s_branch .LBB1_31
.LBB1_29:
	s_andn2_saveexec_b64 s[4:5], s[10:11]
	s_cbranch_execz .LBB1_31
.LBB1_30:
	s_mov_b32 s10, 0x6dc9c883
	s_mov_b32 s11, 0x3fe45f30
	v_mul_f64 v[12:13], |v[8:9]|, s[10:11]
	s_mov_b32 s10, 0x54442d18
	s_mov_b32 s11, 0xbff921fb
	;; [unrolled: 1-line block ×4, first 2 shown]
	v_rndne_f64_e32 v[22:23], v[12:13]
	v_fma_f64 v[12:13], v[22:23], s[10:11], |v[8:9]|
	v_mul_f64 v[14:15], v[22:23], s[12:13]
	s_mov_b32 s10, 0x252049c0
	s_mov_b32 s11, 0xb97b839a
	v_cvt_i32_f64_e32 v29, v[22:23]
	v_fma_f64 v[31:32], v[22:23], s[12:13], v[12:13]
	v_add_f64 v[24:25], v[12:13], v[14:15]
	s_mov_b32 s13, 0x3c91a626
	v_add_f64 v[26:27], v[12:13], -v[24:25]
	v_add_f64 v[24:25], v[24:25], -v[31:32]
	v_add_f64 v[12:13], v[26:27], v[14:15]
	v_fma_f64 v[14:15], v[22:23], s[12:13], v[14:15]
	v_add_f64 v[12:13], v[24:25], v[12:13]
	v_add_f64 v[12:13], v[12:13], -v[14:15]
	v_fma_f64 v[14:15], v[22:23], s[10:11], v[12:13]
	v_add_f64 v[12:13], v[31:32], v[14:15]
	v_add_f64 v[24:25], v[12:13], -v[31:32]
	v_add_f64 v[14:15], v[14:15], -v[24:25]
.LBB1_31:
	s_or_b64 exec, exec, s[4:5]
	s_mov_b32 s4, 0
	s_mov_b32 s5, 0x40390000
	v_div_scale_f64 v[22:23], s[10:11], v[20:21], v[20:21], s[4:5]
	s_mov_b32 s10, 0x46cc5e42
	s_mov_b32 s11, 0xbda907db
	;; [unrolled: 1-line block ×14, first 2 shown]
	v_rcp_f64_e32 v[24:25], v[22:23]
	s_mov_b32 s24, 0x19e83e5c
	s_mov_b32 s25, 0xbf2a01a0
	;; [unrolled: 1-line block ×4, first 2 shown]
	v_mul_f64 v[50:51], v[18:19], 0.5
	s_mov_b32 s23, 0xbfc55555
	s_mov_b32 s22, s18
	;; [unrolled: 1-line block ×4, first 2 shown]
	v_mov_b32_e32 v39, 0x7ff80000
	v_fma_f64 v[26:27], -v[22:23], v[24:25], 1.0
	v_fma_f64 v[24:25], v[24:25], v[26:27], v[24:25]
	v_fma_f64 v[26:27], -v[22:23], v[24:25], 1.0
	v_fma_f64 v[24:25], v[24:25], v[26:27], v[24:25]
	v_div_scale_f64 v[26:27], vcc, s[4:5], v[20:21], s[4:5]
	v_mul_f64 v[31:32], v[26:27], v[24:25]
	v_fma_f64 v[22:23], -v[22:23], v[31:32], v[26:27]
	v_mov_b32_e32 v26, 0x38a5384a
	v_mov_b32_e32 v27, 0xbf874742
	v_div_fmas_f64 v[22:23], v[22:23], v[24:25], v[31:32]
	v_mov_b32_e32 v24, 0xce039737
	v_mov_b32_e32 v25, 0x3f4e4a80
	;; [unrolled: 1-line block ×4, first 2 shown]
	v_div_fixup_f64 v[20:21], v[22:23], v[20:21], s[4:5]
	v_mov_b32_e32 v22, 0x983b6b27
	v_mov_b32_e32 v23, 0x3f4a1d30
	s_mov_b32 s4, 0xb35dd1cf
	s_mov_b32 s5, 0x3fb534b0
	v_fma_f64 v[22:23], v[20:21], 0, v[22:23]
	v_fma_f64 v[24:25], v[20:21], 0, v[24:25]
	;; [unrolled: 1-line block ×5, first 2 shown]
	s_mov_b32 s4, 0x4e680b98
	s_mov_b32 s5, 0x3ff3d521
	v_fma_f64 v[22:23], v[20:21], v[22:23], s[4:5]
	s_mov_b32 s4, 0xe97a0956
	s_mov_b32 s5, 0x4015c9fb
	v_fma_f64 v[22:23], v[20:21], v[22:23], s[4:5]
	;; [unrolled: 3-line block ×10, first 2 shown]
	s_mov_b32 s4, 0xf50e2c0c
	s_mov_b32 s5, 0xc0338dcf
	v_fma_f64 v[24:25], v[20:21], v[24:25], 1.0
	v_fma_f64 v[26:27], v[20:21], v[26:27], s[4:5]
	s_mov_b32 s4, 0x5a6de8c4
	s_mov_b32 s5, 0xc0574d2f
	v_fma_f64 v[26:27], v[20:21], v[26:27], s[4:5]
	s_mov_b32 s4, 0x20cae8ea
	s_mov_b32 s5, 0xc06635cc
	;; [unrolled: 3-line block ×11, first 2 shown]
	v_fma_f64 v[31:32], v[20:21], v[31:32], s[4:5]
	v_fma_f64 v[20:21], v[20:21], v[22:23], 1.0
	v_div_scale_f64 v[22:23], s[4:5], v[24:25], v[24:25], v[20:21]
	s_mov_b32 s4, 0x9037ab78
	s_mov_b32 s5, 0x3e21eeb6
	v_rcp_f64_e32 v[33:34], v[22:23]
	v_fma_f64 v[35:36], -v[22:23], v[33:34], 1.0
	v_fma_f64 v[33:34], v[33:34], v[35:36], v[33:34]
	v_fma_f64 v[35:36], -v[22:23], v[33:34], 1.0
	v_fma_f64 v[33:34], v[33:34], v[35:36], v[33:34]
	v_div_scale_f64 v[35:36], vcc, v[20:21], v[24:25], v[20:21]
	v_mul_f64 v[37:38], v[35:36], v[33:34]
	v_fma_f64 v[22:23], -v[22:23], v[37:38], v[35:36]
	s_nop 1
	v_div_fmas_f64 v[22:23], v[22:23], v[33:34], v[37:38]
	v_mov_b32_e32 v38, s5
	v_mov_b32_e32 v37, s4
	s_mov_b32 s4, 0xb42fdfa7
	s_mov_b32 s5, 0xbe5ae600
	v_div_fixup_f64 v[20:21], v[22:23], v[24:25], v[20:21]
	v_mul_f64 v[22:23], v[16:17], v[16:17]
	v_mul_f64 v[24:25], v[22:23], 0.5
	v_fma_f64 v[48:49], v[22:23], s[10:11], v[37:38]
	v_add_f64 v[33:34], -v[24:25], 1.0
	v_fma_f64 v[48:49], v[22:23], v[48:49], s[14:15]
	v_add_f64 v[35:36], -v[33:34], 1.0
	v_fma_f64 v[48:49], v[22:23], v[48:49], s[12:13]
	v_add_f64 v[24:25], v[35:36], -v[24:25]
	v_fma_f64 v[48:49], v[22:23], v[48:49], s[16:17]
	v_mul_f64 v[35:36], v[22:23], v[22:23]
	v_fma_f64 v[24:25], v[16:17], -v[18:19], v[24:25]
	v_fma_f64 v[48:49], v[22:23], v[48:49], s[18:19]
	v_fma_f64 v[24:25], v[35:36], v[48:49], v[24:25]
	v_mul_f64 v[48:49], v[16:17], -v[22:23]
	v_add_f64 v[24:25], v[33:34], v[24:25]
	v_mov_b32_e32 v34, s5
	v_mov_b32_e32 v33, s4
	v_fma_f64 v[35:36], v[22:23], s[20:21], v[33:34]
	s_movk_i32 s4, 0x1f8
	v_cmp_class_f64_e64 s[4:5], v[8:9], s4
	v_and_b32_e32 v8, 1, v29
	v_fma_f64 v[35:36], v[22:23], v[35:36], s[28:29]
	v_fma_f64 v[35:36], v[22:23], v[35:36], s[24:25]
	;; [unrolled: 1-line block ×4, first 2 shown]
	v_fma_f64 v[18:19], v[22:23], v[35:36], -v[18:19]
	v_fma_f64 v[18:19], v[48:49], s[22:23], v[18:19]
	v_add_f64 v[16:17], v[16:17], -v[18:19]
	v_and_b32_e32 v18, 1, v30
	v_cmp_eq_u32_e32 vcc, 0, v18
	v_lshlrev_b32_e32 v18, 30, v30
	v_and_b32_e32 v18, 0x80000000, v18
	v_xor_b32_e32 v17, 0x80000000, v17
	v_cndmask_b32_e32 v17, v17, v25, vcc
	v_xor_b32_e32 v17, v17, v18
	v_div_scale_f64 v[18:19], s[42:43], v[10:11], v[10:11], s[40:41]
	v_cndmask_b32_e32 v16, v16, v24, vcc
	v_cndmask_b32_e64 v16, 0, v16, s[4:5]
	v_cndmask_b32_e64 v17, v39, v17, s[4:5]
	v_rcp_f64_e32 v[22:23], v[18:19]
	v_fma_f64 v[24:25], -v[18:19], v[22:23], 1.0
	v_fma_f64 v[22:23], v[22:23], v[24:25], v[22:23]
	v_fma_f64 v[24:25], -v[18:19], v[22:23], 1.0
	v_fma_f64 v[22:23], v[22:23], v[24:25], v[22:23]
	v_div_scale_f64 v[24:25], vcc, s[40:41], v[10:11], s[40:41]
	v_mul_f64 v[35:36], v[24:25], v[22:23]
	v_fma_f64 v[18:19], -v[18:19], v[35:36], v[24:25]
	s_nop 1
	v_div_fmas_f64 v[18:19], v[18:19], v[22:23], v[35:36]
	v_div_fixup_f64 v[18:19], v[18:19], v[10:11], s[40:41]
	v_div_scale_f64 v[22:23], s[40:41], v[31:32], v[31:32], v[26:27]
	v_rcp_f64_e32 v[24:25], v[22:23]
	v_fma_f64 v[35:36], -v[22:23], v[24:25], 1.0
	v_fma_f64 v[24:25], v[24:25], v[35:36], v[24:25]
	v_fma_f64 v[35:36], -v[22:23], v[24:25], 1.0
	v_fma_f64 v[24:25], v[24:25], v[35:36], v[24:25]
	v_div_scale_f64 v[35:36], vcc, v[26:27], v[31:32], v[26:27]
	v_mul_f64 v[48:49], v[35:36], v[24:25]
	v_fma_f64 v[22:23], -v[22:23], v[48:49], v[35:36]
	s_nop 1
	v_div_fmas_f64 v[22:23], v[22:23], v[24:25], v[48:49]
	v_cmp_eq_u32_e32 vcc, 0, v8
	v_div_fixup_f64 v[22:23], v[22:23], v[31:32], v[26:27]
	v_mul_f64 v[18:19], v[18:19], v[22:23]
	v_mul_f64 v[22:23], v[12:13], v[12:13]
	v_mul_f64 v[24:25], v[22:23], 0.5
	v_fma_f64 v[35:36], v[22:23], s[10:11], v[37:38]
	v_add_f64 v[26:27], -v[24:25], 1.0
	v_fma_f64 v[35:36], v[22:23], v[35:36], s[14:15]
	v_add_f64 v[30:31], -v[26:27], 1.0
	v_fma_f64 v[35:36], v[22:23], v[35:36], s[12:13]
	v_add_f64 v[24:25], v[30:31], -v[24:25]
	v_fma_f64 v[35:36], v[22:23], v[35:36], s[16:17]
	v_mul_f64 v[30:31], v[22:23], v[22:23]
	v_fma_f64 v[24:25], v[12:13], -v[14:15], v[24:25]
	v_fma_f64 v[35:36], v[22:23], v[35:36], s[18:19]
	v_fma_f64 v[24:25], v[30:31], v[35:36], v[24:25]
	v_mul_f64 v[30:31], v[12:13], -v[22:23]
	v_add_f64 v[24:25], v[26:27], v[24:25]
	v_fma_f64 v[26:27], v[22:23], s[20:21], v[33:34]
	v_mul_f64 v[32:33], v[14:15], 0.5
	v_fma_f64 v[26:27], v[22:23], v[26:27], s[28:29]
	v_fma_f64 v[26:27], v[22:23], v[26:27], s[24:25]
	;; [unrolled: 1-line block ×4, first 2 shown]
	v_fma_f64 v[14:15], v[22:23], v[26:27], -v[14:15]
	v_fma_f64 v[14:15], v[30:31], s[22:23], v[14:15]
	v_add_f64 v[12:13], v[12:13], -v[14:15]
	v_cndmask_b32_e32 v8, v24, v12, vcc
	v_cndmask_b32_e32 v12, v25, v13, vcc
	v_lshlrev_b32_e32 v13, 30, v29
	v_xor_b32_e32 v9, v13, v9
	v_and_b32_e32 v9, 0x80000000, v9
	v_xor_b32_e32 v9, v12, v9
	v_cndmask_b32_e64 v8, 0, v8, s[4:5]
	v_cndmask_b32_e64 v9, v39, v9, s[4:5]
	v_mul_f64 v[8:9], v[18:19], v[8:9]
	s_mov_b32 s4, 0x33d43651
	s_mov_b32 s5, 0x3fe98845
	v_mov_b32_e32 v12, 0x100
	v_fma_f64 v[8:9], v[20:21], v[16:17], v[8:9]
	v_mul_f64 v[8:9], v[8:9], s[4:5]
	s_mov_b32 s4, 0
	s_brev_b32 s5, 8
	v_cmp_gt_f64_e32 vcc, s[4:5], v[10:11]
	v_cndmask_b32_e32 v12, 0, v12, vcc
	v_ldexp_f64 v[10:11], v[10:11], v12
	v_rsq_f64_e32 v[12:13], v[10:11]
	v_mul_f64 v[14:15], v[10:11], v[12:13]
	v_mul_f64 v[12:13], v[12:13], 0.5
	v_fma_f64 v[16:17], -v[12:13], v[14:15], 0.5
	v_fma_f64 v[14:15], v[14:15], v[16:17], v[14:15]
	v_fma_f64 v[12:13], v[12:13], v[16:17], v[12:13]
	v_fma_f64 v[18:19], -v[14:15], v[14:15], v[10:11]
	v_fma_f64 v[14:15], v[18:19], v[12:13], v[14:15]
	v_fma_f64 v[16:17], -v[14:15], v[14:15], v[10:11]
	v_fma_f64 v[12:13], v[16:17], v[12:13], v[14:15]
	v_mov_b32_e32 v14, 0xffffff80
	v_cndmask_b32_e32 v14, 0, v14, vcc
	v_ldexp_f64 v[12:13], v[12:13], v14
	v_mov_b32_e32 v14, 0x260
	v_cmp_class_f64_e32 vcc, v[10:11], v14
	v_cndmask_b32_e32 v11, v13, v11, vcc
	v_cndmask_b32_e32 v10, v12, v10, vcc
	v_div_scale_f64 v[12:13], s[4:5], v[10:11], v[10:11], v[8:9]
	v_rcp_f64_e32 v[14:15], v[12:13]
	v_fma_f64 v[16:17], -v[12:13], v[14:15], 1.0
	v_fma_f64 v[14:15], v[14:15], v[16:17], v[14:15]
	v_fma_f64 v[16:17], -v[12:13], v[14:15], 1.0
	v_fma_f64 v[14:15], v[14:15], v[16:17], v[14:15]
	v_div_scale_f64 v[16:17], vcc, v[8:9], v[10:11], v[8:9]
	v_mul_f64 v[18:19], v[16:17], v[14:15]
	v_fma_f64 v[12:13], -v[12:13], v[18:19], v[16:17]
	s_nop 1
	v_div_fmas_f64 v[12:13], v[12:13], v[14:15], v[18:19]
	v_div_fixup_f64 v[8:9], v[12:13], v[10:11], v[8:9]
.LBB1_32:
	s_or_b64 exec, exec, s[8:9]
	v_cmp_gt_f64_e32 vcc, 0, v[2:3]
	v_xor_b32_e32 v10, 0x80000000, v3
	s_mov_b32 s4, 0
	s_mov_b32 s5, 0x40140000
	v_cndmask_b32_e32 v3, v3, v10, vcc
	v_cmp_ge_f64_e32 vcc, s[4:5], v[2:3]
	v_mul_f64 v[20:21], v[2:3], v[2:3]
                                        ; implicit-def: $vgpr10_vgpr11
	s_and_saveexec_b64 s[4:5], vcc
	s_xor_b64 s[4:5], exec, s[4:5]
	s_cbranch_execz .LBB1_38
; %bb.33:
	s_mov_b32 s8, 0x88e368f1
	s_mov_b32 s9, 0x3ee4f8b5
	v_cmp_ngt_f64_e32 vcc, s[8:9], v[2:3]
                                        ; implicit-def: $vgpr10_vgpr11
	s_and_saveexec_b64 s[8:9], vcc
	s_xor_b64 s[8:9], exec, s[8:9]
	s_cbranch_execz .LBB1_35
; %bb.34:
	v_mov_b32_e32 v10, 0xa696b78c
	v_mov_b32_e32 v11, 0x407f3902
	v_fma_f64 v[10:11], v[20:21], 0, v[10:11]
	s_mov_b32 s10, 0x36a21a67
	s_mov_b32 s11, 0x410536cb
	;; [unrolled: 1-line block ×3, first 2 shown]
	v_mov_b32_e32 v12, 0xad1c8325
	v_mov_b32_e32 v13, 0xc1f1dc53
	s_mov_b32 s13, 0x4204d5b0
	v_fma_f64 v[12:13], v[20:21], 0, v[12:13]
	v_fma_f64 v[10:11], v[20:21], v[10:11], s[10:11]
	s_mov_b32 s10, 0x2eac0634
	s_mov_b32 s11, 0x41871934
	;; [unrolled: 1-line block ×6, first 2 shown]
	v_fma_f64 v[10:11], v[20:21], v[10:11], s[10:11]
	s_mov_b32 s10, 0xc772990d
	s_mov_b32 s11, 0x427c7751
	v_fma_f64 v[12:13], v[20:21], v[12:13], s[10:11]
	s_mov_b32 s10, 0x80462bbb
	s_mov_b32 s11, 0xc01721fb
	v_add_f64 v[14:15], v[20:21], s[10:11]
	s_mov_b32 s10, 0x7e7b2e9c
	v_fma_f64 v[10:11], v[20:21], v[10:11], s[12:13]
	s_mov_b32 s12, 0xe0d900f7
	s_mov_b32 s13, 0xc2ec5614
	v_fma_f64 v[12:13], v[20:21], v[12:13], s[12:13]
	s_mov_b32 s12, 0x69ff5fb4
	s_mov_b32 s11, 0x435c4141
	s_mov_b32 s13, 0x43413ef8
	v_fma_f64 v[10:11], v[20:21], v[10:11], s[14:15]
	s_mov_b32 s14, 0xa621dd6f
	s_mov_b32 s15, 0xc03e78a4
	v_add_f64 v[16:17], v[20:21], s[14:15]
	v_fma_f64 v[12:13], v[20:21], v[12:13], s[12:13]
	v_fma_f64 v[10:11], v[20:21], v[10:11], s[16:17]
	v_mul_f64 v[14:15], v[14:15], v[16:17]
	v_fma_f64 v[10:11], v[20:21], v[10:11], s[10:11]
	s_mov_b32 s10, 0xc7b662cc
	s_mov_b32 s11, 0x43b7be34
	v_mul_f64 v[12:13], v[14:15], v[12:13]
	v_fma_f64 v[10:11], v[20:21], v[10:11], s[10:11]
	v_div_scale_f64 v[14:15], s[10:11], v[10:11], v[10:11], v[12:13]
	v_div_scale_f64 v[20:21], vcc, v[12:13], v[10:11], v[12:13]
	v_rcp_f64_e32 v[16:17], v[14:15]
	v_fma_f64 v[18:19], -v[14:15], v[16:17], 1.0
	v_fma_f64 v[16:17], v[16:17], v[18:19], v[16:17]
	v_fma_f64 v[18:19], -v[14:15], v[16:17], 1.0
	v_fma_f64 v[16:17], v[16:17], v[18:19], v[16:17]
	v_mul_f64 v[18:19], v[20:21], v[16:17]
	v_fma_f64 v[14:15], -v[14:15], v[18:19], v[20:21]
                                        ; implicit-def: $vgpr20_vgpr21
	v_div_fmas_f64 v[14:15], v[14:15], v[16:17], v[18:19]
	v_div_fixup_f64 v[10:11], v[14:15], v[10:11], v[12:13]
.LBB1_35:
	s_andn2_saveexec_b64 s[8:9], s[8:9]
	s_cbranch_execz .LBB1_37
; %bb.36:
	s_mov_b32 s10, 0
	s_mov_b32 s11, 0xbfd00000
	v_fma_f64 v[10:11], v[20:21], s[10:11], 1.0
.LBB1_37:
	s_or_b64 exec, exec, s[8:9]
                                        ; implicit-def: $vgpr20_vgpr21
.LBB1_38:
	s_andn2_saveexec_b64 s[8:9], s[4:5]
	s_cbranch_execz .LBB1_48
; %bb.39:
	s_mov_b32 s13, 0xbfe921fb
	s_mov_b32 s12, 0x54442d18
	v_add_f64 v[10:11], v[2:3], s[12:13]
	s_mov_b32 s4, 0
	s_mov_b32 s5, 0x41d00000
                                        ; implicit-def: $vgpr30
                                        ; implicit-def: $vgpr16_vgpr17
                                        ; implicit-def: $vgpr18_vgpr19
	v_trig_preop_f64 v[26:27], |v[10:11]|, 0
	v_trig_preop_f64 v[24:25], |v[10:11]|, 1
	;; [unrolled: 1-line block ×3, first 2 shown]
	v_cmp_nlt_f64_e64 s[10:11], |v[10:11]|, s[4:5]
	s_and_saveexec_b64 s[4:5], s[10:11]
	s_xor_b64 s[14:15], exec, s[4:5]
	s_cbranch_execz .LBB1_41
; %bb.40:
	s_mov_b32 s4, 0
	s_mov_b32 s5, 0x7b000000
	v_cmp_ge_f64_e64 vcc, |v[10:11]|, s[4:5]
	s_movk_i32 s4, 0xff80
	v_ldexp_f64 v[12:13], |v[10:11]|, s4
	v_and_b32_e32 v14, 0x7fffffff, v11
	s_mov_b32 s4, 0
	s_mov_b32 s5, 0x7ff00000
	;; [unrolled: 1-line block ×3, first 2 shown]
	v_cndmask_b32_e32 v13, v14, v13, vcc
	v_cndmask_b32_e32 v12, v10, v12, vcc
	v_mul_f64 v[16:17], v[26:27], v[12:13]
	v_mul_f64 v[14:15], v[24:25], v[12:13]
	v_fma_f64 v[18:19], v[26:27], v[12:13], -v[16:17]
	v_add_f64 v[29:30], v[14:15], v[18:19]
	v_add_f64 v[37:38], v[29:30], -v[14:15]
	v_add_f64 v[31:32], v[16:17], v[29:30]
	v_add_f64 v[18:19], v[18:19], -v[37:38]
	v_add_f64 v[37:38], v[29:30], -v[37:38]
	v_ldexp_f64 v[33:34], v[31:32], -2
	v_add_f64 v[16:17], v[31:32], -v[16:17]
	v_add_f64 v[37:38], v[14:15], -v[37:38]
	v_fma_f64 v[14:15], v[24:25], v[12:13], -v[14:15]
	v_add_f64 v[16:17], v[29:30], -v[16:17]
	v_fract_f64_e32 v[35:36], v[33:34]
	v_cmp_neq_f64_e64 vcc, |v[33:34]|, s[4:5]
	v_add_f64 v[18:19], v[18:19], v[37:38]
	v_mul_f64 v[37:38], v[22:23], v[12:13]
	v_add_f64 v[48:49], v[37:38], v[14:15]
	v_fma_f64 v[12:13], v[22:23], v[12:13], -v[37:38]
	v_add_f64 v[50:51], v[48:49], v[18:19]
	v_add_f64 v[31:32], v[50:51], -v[48:49]
	v_add_f64 v[29:30], v[16:17], v[50:51]
	v_add_f64 v[18:19], v[18:19], -v[31:32]
	v_add_f64 v[31:32], v[50:51], -v[31:32]
	;; [unrolled: 1-line block ×5, first 2 shown]
	v_add_f64 v[18:19], v[18:19], v[31:32]
	v_add_f64 v[31:32], v[48:49], -v[37:38]
	v_add_f64 v[14:15], v[14:15], -v[31:32]
	;; [unrolled: 1-line block ×4, first 2 shown]
	v_add_f64 v[14:15], v[14:15], v[31:32]
	v_add_f64 v[14:15], v[14:15], v[18:19]
	;; [unrolled: 1-line block ×3, first 2 shown]
	v_ldexp_f64 v[14:15], v[35:36], 2
	v_add_f64 v[12:13], v[16:17], v[12:13]
	v_cndmask_b32_e32 v15, 0, v15, vcc
	v_cndmask_b32_e32 v14, 0, v14, vcc
	v_add_f64 v[16:17], v[29:30], v[14:15]
	v_cmp_gt_f64_e32 vcc, 0, v[16:17]
	v_mov_b32_e32 v16, 0x40100000
	v_cndmask_b32_e32 v17, 0, v16, vcc
	v_mov_b32_e32 v16, 0
	v_add_f64 v[14:15], v[14:15], v[16:17]
	v_add_f64 v[17:18], v[29:30], v[14:15]
	v_cvt_i32_f64_e32 v31, v[17:18]
	v_cvt_f64_i32_e32 v[17:18], v31
	v_add_f64 v[14:15], v[14:15], -v[17:18]
	v_add_f64 v[18:19], v[29:30], v[14:15]
	v_add_f64 v[14:15], v[18:19], -v[14:15]
	v_cmp_le_f64_e32 vcc, 0.5, v[18:19]
	v_add_f64 v[14:15], v[29:30], -v[14:15]
	v_addc_co_u32_e64 v30, s[4:5], 0, v31, vcc
	s_mov_b32 s4, 0x33145c07
	s_mov_b32 s5, 0x3c91a626
	v_add_f64 v[12:13], v[12:13], v[14:15]
	v_mov_b32_e32 v14, 0x3ff00000
	v_cndmask_b32_e32 v17, 0, v14, vcc
	v_add_f64 v[14:15], v[18:19], -v[16:17]
	v_add_f64 v[16:17], v[14:15], v[12:13]
	v_add_f64 v[14:15], v[16:17], -v[14:15]
	v_add_f64 v[12:13], v[12:13], -v[14:15]
	v_mul_f64 v[14:15], v[16:17], s[12:13]
	v_fma_f64 v[18:19], v[16:17], s[12:13], -v[14:15]
	v_fma_f64 v[16:17], v[16:17], s[4:5], v[18:19]
	v_fma_f64 v[12:13], v[12:13], s[12:13], v[16:17]
	v_add_f64 v[16:17], v[14:15], v[12:13]
	v_add_f64 v[14:15], v[16:17], -v[14:15]
	v_add_f64 v[18:19], v[12:13], -v[14:15]
	s_andn2_saveexec_b64 s[4:5], s[14:15]
	s_cbranch_execz .LBB1_43
	s_branch .LBB1_42
.LBB1_41:
	s_andn2_saveexec_b64 s[4:5], s[14:15]
	s_cbranch_execz .LBB1_43
.LBB1_42:
	s_mov_b32 s12, 0x6dc9c883
	s_mov_b32 s13, 0x3fe45f30
	v_mul_f64 v[12:13], |v[10:11]|, s[12:13]
	s_mov_b32 s12, 0x54442d18
	s_mov_b32 s13, 0xbff921fb
	;; [unrolled: 1-line block ×4, first 2 shown]
	v_rndne_f64_e32 v[12:13], v[12:13]
	v_fma_f64 v[14:15], v[12:13], s[12:13], |v[10:11]|
	v_mul_f64 v[16:17], v[12:13], s[14:15]
	s_mov_b32 s12, 0x252049c0
	s_mov_b32 s13, 0xb97b839a
	v_add_f64 v[18:19], v[14:15], v[16:17]
	v_add_f64 v[29:30], v[14:15], -v[18:19]
	v_fma_f64 v[14:15], v[12:13], s[14:15], v[14:15]
	s_mov_b32 s15, 0x3c91a626
	v_add_f64 v[29:30], v[29:30], v[16:17]
	v_add_f64 v[18:19], v[18:19], -v[14:15]
	v_fma_f64 v[16:17], v[12:13], s[14:15], v[16:17]
	v_add_f64 v[18:19], v[18:19], v[29:30]
	v_cvt_i32_f64_e32 v30, v[12:13]
	v_add_f64 v[16:17], v[18:19], -v[16:17]
	v_fma_f64 v[18:19], v[12:13], s[12:13], v[16:17]
	v_add_f64 v[16:17], v[14:15], v[18:19]
	v_add_f64 v[14:15], v[16:17], -v[14:15]
	v_add_f64 v[18:19], v[18:19], -v[14:15]
.LBB1_43:
	s_or_b64 exec, exec, s[4:5]
                                        ; implicit-def: $vgpr29
                                        ; implicit-def: $vgpr12_vgpr13
                                        ; implicit-def: $vgpr14_vgpr15
	s_and_saveexec_b64 s[4:5], s[10:11]
	s_xor_b64 s[10:11], exec, s[4:5]
	s_cbranch_execz .LBB1_45
; %bb.44:
	s_mov_b32 s4, 0
	s_mov_b32 s5, 0x7b000000
	v_cmp_ge_f64_e64 vcc, |v[10:11]|, s[4:5]
	s_movk_i32 s4, 0xff80
	v_ldexp_f64 v[12:13], |v[10:11]|, s4
	v_and_b32_e32 v14, 0x7fffffff, v11
	s_mov_b32 s4, 0
	s_mov_b32 s5, 0x7ff00000
	s_mov_b32 s12, 0x33145c07
	s_mov_b32 s13, 0x3c91a626
	v_cndmask_b32_e32 v13, v14, v13, vcc
	v_cndmask_b32_e32 v12, v10, v12, vcc
	v_mul_f64 v[31:32], v[26:27], v[12:13]
	v_mul_f64 v[14:15], v[24:25], v[12:13]
	v_fma_f64 v[26:27], v[26:27], v[12:13], -v[31:32]
	v_add_f64 v[33:34], v[14:15], v[26:27]
	v_add_f64 v[50:51], v[33:34], -v[14:15]
	v_add_f64 v[35:36], v[31:32], v[33:34]
	v_add_f64 v[26:27], v[26:27], -v[50:51]
	v_add_f64 v[50:51], v[33:34], -v[50:51]
	v_ldexp_f64 v[37:38], v[35:36], -2
	v_add_f64 v[31:32], v[35:36], -v[31:32]
	v_add_f64 v[50:51], v[14:15], -v[50:51]
	v_fma_f64 v[14:15], v[24:25], v[12:13], -v[14:15]
	v_mul_f64 v[24:25], v[22:23], v[12:13]
	v_fract_f64_e32 v[48:49], v[37:38]
	v_add_f64 v[31:32], v[33:34], -v[31:32]
	v_cmp_neq_f64_e64 vcc, |v[37:38]|, s[4:5]
	v_add_f64 v[26:27], v[26:27], v[50:51]
	v_add_f64 v[50:51], v[24:25], v[14:15]
	v_fma_f64 v[12:13], v[22:23], v[12:13], -v[24:25]
	v_add_f64 v[52:53], v[50:51], v[26:27]
	v_add_f64 v[35:36], v[52:53], -v[50:51]
	v_add_f64 v[33:34], v[31:32], v[52:53]
	v_add_f64 v[26:27], v[26:27], -v[35:36]
	v_add_f64 v[35:36], v[52:53], -v[35:36]
	;; [unrolled: 1-line block ×5, first 2 shown]
	v_add_f64 v[26:27], v[26:27], v[35:36]
	v_add_f64 v[35:36], v[50:51], -v[24:25]
	v_add_f64 v[14:15], v[14:15], -v[35:36]
	;; [unrolled: 1-line block ×4, first 2 shown]
	v_add_f64 v[14:15], v[14:15], v[35:36]
	v_add_f64 v[14:15], v[14:15], v[26:27]
	;; [unrolled: 1-line block ×3, first 2 shown]
	v_ldexp_f64 v[14:15], v[48:49], 2
	v_add_f64 v[12:13], v[31:32], v[12:13]
	v_cndmask_b32_e32 v15, 0, v15, vcc
	v_cndmask_b32_e32 v14, 0, v14, vcc
	v_add_f64 v[22:23], v[33:34], v[14:15]
	v_cmp_gt_f64_e32 vcc, 0, v[22:23]
	v_mov_b32_e32 v22, 0x40100000
	v_cndmask_b32_e32 v23, 0, v22, vcc
	v_mov_b32_e32 v22, 0
	v_add_f64 v[14:15], v[14:15], v[22:23]
	v_add_f64 v[23:24], v[33:34], v[14:15]
	v_cvt_i32_f64_e32 v26, v[23:24]
	v_cvt_f64_i32_e32 v[23:24], v26
	v_add_f64 v[14:15], v[14:15], -v[23:24]
	v_add_f64 v[24:25], v[33:34], v[14:15]
	v_add_f64 v[14:15], v[24:25], -v[14:15]
	v_cmp_le_f64_e32 vcc, 0.5, v[24:25]
	v_add_f64 v[14:15], v[33:34], -v[14:15]
	v_addc_co_u32_e64 v29, s[4:5], 0, v26, vcc
	s_mov_b32 s4, 0x54442d18
	s_mov_b32 s5, 0x3ff921fb
	v_add_f64 v[12:13], v[12:13], v[14:15]
	v_mov_b32_e32 v14, 0x3ff00000
	v_cndmask_b32_e32 v23, 0, v14, vcc
	v_add_f64 v[14:15], v[24:25], -v[22:23]
	v_add_f64 v[22:23], v[14:15], v[12:13]
	v_add_f64 v[14:15], v[22:23], -v[14:15]
	v_add_f64 v[12:13], v[12:13], -v[14:15]
	v_mul_f64 v[14:15], v[22:23], s[4:5]
	v_fma_f64 v[24:25], v[22:23], s[4:5], -v[14:15]
	v_fma_f64 v[22:23], v[22:23], s[12:13], v[24:25]
	v_fma_f64 v[22:23], v[12:13], s[4:5], v[22:23]
	v_add_f64 v[12:13], v[14:15], v[22:23]
	v_add_f64 v[14:15], v[12:13], -v[14:15]
	v_add_f64 v[14:15], v[22:23], -v[14:15]
	s_andn2_saveexec_b64 s[4:5], s[10:11]
	s_cbranch_execnz .LBB1_46
	s_branch .LBB1_47
.LBB1_45:
	s_andn2_saveexec_b64 s[4:5], s[10:11]
	s_cbranch_execz .LBB1_47
.LBB1_46:
	s_mov_b32 s10, 0x6dc9c883
	s_mov_b32 s11, 0x3fe45f30
	v_mul_f64 v[12:13], |v[10:11]|, s[10:11]
	s_mov_b32 s10, 0x54442d18
	s_mov_b32 s11, 0xbff921fb
	;; [unrolled: 1-line block ×4, first 2 shown]
	v_rndne_f64_e32 v[22:23], v[12:13]
	v_fma_f64 v[12:13], v[22:23], s[10:11], |v[10:11]|
	v_mul_f64 v[14:15], v[22:23], s[12:13]
	s_mov_b32 s10, 0x252049c0
	s_mov_b32 s11, 0xb97b839a
	v_cvt_i32_f64_e32 v29, v[22:23]
	v_fma_f64 v[31:32], v[22:23], s[12:13], v[12:13]
	v_add_f64 v[24:25], v[12:13], v[14:15]
	s_mov_b32 s13, 0x3c91a626
	v_add_f64 v[26:27], v[12:13], -v[24:25]
	v_add_f64 v[24:25], v[24:25], -v[31:32]
	v_add_f64 v[12:13], v[26:27], v[14:15]
	v_fma_f64 v[14:15], v[22:23], s[12:13], v[14:15]
	v_add_f64 v[12:13], v[24:25], v[12:13]
	v_add_f64 v[12:13], v[12:13], -v[14:15]
	v_fma_f64 v[14:15], v[22:23], s[10:11], v[12:13]
	v_add_f64 v[12:13], v[31:32], v[14:15]
	v_add_f64 v[24:25], v[12:13], -v[31:32]
	v_add_f64 v[14:15], v[14:15], -v[24:25]
.LBB1_47:
	s_or_b64 exec, exec, s[4:5]
	s_mov_b32 s4, 0
	s_mov_b32 s5, 0x40390000
	v_div_scale_f64 v[22:23], s[10:11], v[20:21], v[20:21], s[4:5]
	s_mov_b32 s10, 0x46cc5e42
	s_mov_b32 s11, 0xbda907db
	;; [unrolled: 1-line block ×14, first 2 shown]
	v_rcp_f64_e32 v[24:25], v[22:23]
	s_mov_b32 s24, 0x19e83e5c
	s_mov_b32 s25, 0xbf2a01a0
	;; [unrolled: 1-line block ×4, first 2 shown]
	v_mul_f64 v[50:51], v[18:19], 0.5
	s_mov_b32 s23, 0xbfc55555
	s_mov_b32 s22, s18
	;; [unrolled: 1-line block ×4, first 2 shown]
	v_mov_b32_e32 v39, 0x7ff80000
	v_fma_f64 v[26:27], -v[22:23], v[24:25], 1.0
	v_fma_f64 v[24:25], v[24:25], v[26:27], v[24:25]
	v_fma_f64 v[26:27], -v[22:23], v[24:25], 1.0
	v_fma_f64 v[24:25], v[24:25], v[26:27], v[24:25]
	v_div_scale_f64 v[26:27], vcc, s[4:5], v[20:21], s[4:5]
	v_mul_f64 v[31:32], v[26:27], v[24:25]
	v_fma_f64 v[22:23], -v[22:23], v[31:32], v[26:27]
	v_mov_b32_e32 v26, 0x38a5384a
	v_mov_b32_e32 v27, 0xbf874742
	v_div_fmas_f64 v[22:23], v[22:23], v[24:25], v[31:32]
	v_mov_b32_e32 v24, 0xce039737
	v_mov_b32_e32 v25, 0x3f4e4a80
	;; [unrolled: 1-line block ×4, first 2 shown]
	v_div_fixup_f64 v[20:21], v[22:23], v[20:21], s[4:5]
	v_mov_b32_e32 v22, 0x983b6b27
	v_mov_b32_e32 v23, 0x3f4a1d30
	s_mov_b32 s4, 0xb35dd1cf
	s_mov_b32 s5, 0x3fb534b0
	v_fma_f64 v[22:23], v[20:21], 0, v[22:23]
	v_fma_f64 v[24:25], v[20:21], 0, v[24:25]
	;; [unrolled: 1-line block ×5, first 2 shown]
	s_mov_b32 s4, 0x4e680b98
	s_mov_b32 s5, 0x3ff3d521
	v_fma_f64 v[22:23], v[20:21], v[22:23], s[4:5]
	s_mov_b32 s4, 0xe97a0956
	s_mov_b32 s5, 0x4015c9fb
	v_fma_f64 v[22:23], v[20:21], v[22:23], s[4:5]
	s_mov_b32 s4, 0x69409888
	s_mov_b32 s5, 0x40217e8c
	v_fma_f64 v[22:23], v[20:21], v[22:23], s[4:5]
	s_mov_b32 s4, 0xa59425a1
	s_mov_b32 s5, 0x40153684
	v_fma_f64 v[22:23], v[20:21], v[22:23], s[4:5]
	s_mov_b32 s4, 0xab5454e3
	s_mov_b32 s5, 0x3fb5ebc5
	v_fma_f64 v[24:25], v[20:21], v[24:25], s[4:5]
	s_mov_b32 s4, 0xc9b3069f
	s_mov_b32 s5, 0x3ff40e72
	v_fma_f64 v[24:25], v[20:21], v[24:25], s[4:5]
	s_mov_b32 s4, 0xe68162bb
	s_mov_b32 s5, 0x4015e247
	v_fma_f64 v[24:25], v[20:21], v[24:25], s[4:5]
	s_mov_b32 s4, 0xea1b21a1
	s_mov_b32 s5, 0x40218618
	v_fma_f64 v[24:25], v[20:21], v[24:25], s[4:5]
	s_mov_b32 s4, 0xed423a19
	s_mov_b32 s5, 0x40153965
	v_fma_f64 v[24:25], v[20:21], v[24:25], s[4:5]
	s_mov_b32 s4, 0x3a321174
	s_mov_b32 s5, 0xbff4853b
	v_fma_f64 v[26:27], v[20:21], v[26:27], s[4:5]
	s_mov_b32 s4, 0xf50e2c0c
	s_mov_b32 s5, 0xc0338dcf
	v_fma_f64 v[24:25], v[20:21], v[24:25], 1.0
	v_fma_f64 v[26:27], v[20:21], v[26:27], s[4:5]
	s_mov_b32 s4, 0x5a6de8c4
	s_mov_b32 s5, 0xc0574d2f
	v_fma_f64 v[26:27], v[20:21], v[26:27], s[4:5]
	s_mov_b32 s4, 0x20cae8ea
	s_mov_b32 s5, 0xc06635cc
	;; [unrolled: 3-line block ×11, first 2 shown]
	v_fma_f64 v[31:32], v[20:21], v[31:32], s[4:5]
	v_fma_f64 v[20:21], v[20:21], v[22:23], 1.0
	v_div_scale_f64 v[22:23], s[4:5], v[24:25], v[24:25], v[20:21]
	s_mov_b32 s4, 0x9037ab78
	s_mov_b32 s5, 0x3e21eeb6
	v_rcp_f64_e32 v[33:34], v[22:23]
	v_fma_f64 v[35:36], -v[22:23], v[33:34], 1.0
	v_fma_f64 v[33:34], v[33:34], v[35:36], v[33:34]
	v_fma_f64 v[35:36], -v[22:23], v[33:34], 1.0
	v_fma_f64 v[33:34], v[33:34], v[35:36], v[33:34]
	v_div_scale_f64 v[35:36], vcc, v[20:21], v[24:25], v[20:21]
	v_mul_f64 v[37:38], v[35:36], v[33:34]
	v_fma_f64 v[22:23], -v[22:23], v[37:38], v[35:36]
	s_nop 1
	v_div_fmas_f64 v[22:23], v[22:23], v[33:34], v[37:38]
	v_mov_b32_e32 v38, s5
	v_mov_b32_e32 v37, s4
	s_mov_b32 s4, 0xb42fdfa7
	s_mov_b32 s5, 0xbe5ae600
	v_div_fixup_f64 v[20:21], v[22:23], v[24:25], v[20:21]
	v_mul_f64 v[22:23], v[16:17], v[16:17]
	v_mul_f64 v[24:25], v[22:23], 0.5
	v_fma_f64 v[48:49], v[22:23], s[10:11], v[37:38]
	v_add_f64 v[33:34], -v[24:25], 1.0
	v_fma_f64 v[48:49], v[22:23], v[48:49], s[14:15]
	v_add_f64 v[35:36], -v[33:34], 1.0
	v_fma_f64 v[48:49], v[22:23], v[48:49], s[12:13]
	v_add_f64 v[24:25], v[35:36], -v[24:25]
	v_fma_f64 v[48:49], v[22:23], v[48:49], s[16:17]
	v_mul_f64 v[35:36], v[22:23], v[22:23]
	v_fma_f64 v[24:25], v[16:17], -v[18:19], v[24:25]
	v_fma_f64 v[48:49], v[22:23], v[48:49], s[18:19]
	v_fma_f64 v[24:25], v[35:36], v[48:49], v[24:25]
	v_mul_f64 v[48:49], v[16:17], -v[22:23]
	v_add_f64 v[24:25], v[33:34], v[24:25]
	v_mov_b32_e32 v34, s5
	v_mov_b32_e32 v33, s4
	v_fma_f64 v[35:36], v[22:23], s[20:21], v[33:34]
	s_movk_i32 s4, 0x1f8
	v_cmp_class_f64_e64 s[4:5], v[10:11], s4
	v_and_b32_e32 v10, 1, v29
	v_fma_f64 v[35:36], v[22:23], v[35:36], s[28:29]
	v_fma_f64 v[35:36], v[22:23], v[35:36], s[24:25]
	;; [unrolled: 1-line block ×4, first 2 shown]
	v_fma_f64 v[18:19], v[22:23], v[35:36], -v[18:19]
	v_fma_f64 v[18:19], v[48:49], s[22:23], v[18:19]
	v_add_f64 v[16:17], v[16:17], -v[18:19]
	v_and_b32_e32 v18, 1, v30
	v_cmp_eq_u32_e32 vcc, 0, v18
	v_lshlrev_b32_e32 v18, 30, v30
	v_and_b32_e32 v18, 0x80000000, v18
	v_xor_b32_e32 v17, 0x80000000, v17
	v_cndmask_b32_e32 v17, v17, v25, vcc
	v_xor_b32_e32 v17, v17, v18
	v_div_scale_f64 v[18:19], s[42:43], v[2:3], v[2:3], s[40:41]
	v_cndmask_b32_e32 v16, v16, v24, vcc
	v_cndmask_b32_e64 v16, 0, v16, s[4:5]
	v_cndmask_b32_e64 v17, v39, v17, s[4:5]
	v_rcp_f64_e32 v[22:23], v[18:19]
	v_fma_f64 v[24:25], -v[18:19], v[22:23], 1.0
	v_fma_f64 v[22:23], v[22:23], v[24:25], v[22:23]
	v_fma_f64 v[24:25], -v[18:19], v[22:23], 1.0
	v_fma_f64 v[22:23], v[22:23], v[24:25], v[22:23]
	v_div_scale_f64 v[24:25], vcc, s[40:41], v[2:3], s[40:41]
	v_mul_f64 v[35:36], v[24:25], v[22:23]
	v_fma_f64 v[18:19], -v[18:19], v[35:36], v[24:25]
	s_nop 1
	v_div_fmas_f64 v[18:19], v[18:19], v[22:23], v[35:36]
	v_div_fixup_f64 v[18:19], v[18:19], v[2:3], s[40:41]
	v_div_scale_f64 v[22:23], s[40:41], v[31:32], v[31:32], v[26:27]
	v_rcp_f64_e32 v[24:25], v[22:23]
	v_fma_f64 v[35:36], -v[22:23], v[24:25], 1.0
	v_fma_f64 v[24:25], v[24:25], v[35:36], v[24:25]
	v_fma_f64 v[35:36], -v[22:23], v[24:25], 1.0
	v_fma_f64 v[24:25], v[24:25], v[35:36], v[24:25]
	v_div_scale_f64 v[35:36], vcc, v[26:27], v[31:32], v[26:27]
	v_mul_f64 v[48:49], v[35:36], v[24:25]
	v_fma_f64 v[22:23], -v[22:23], v[48:49], v[35:36]
	s_nop 1
	v_div_fmas_f64 v[22:23], v[22:23], v[24:25], v[48:49]
	v_cmp_eq_u32_e32 vcc, 0, v10
	v_div_fixup_f64 v[22:23], v[22:23], v[31:32], v[26:27]
	v_mul_f64 v[18:19], v[18:19], v[22:23]
	v_mul_f64 v[22:23], v[12:13], v[12:13]
	v_mul_f64 v[24:25], v[22:23], 0.5
	v_fma_f64 v[35:36], v[22:23], s[10:11], v[37:38]
	v_add_f64 v[26:27], -v[24:25], 1.0
	v_fma_f64 v[35:36], v[22:23], v[35:36], s[14:15]
	v_add_f64 v[30:31], -v[26:27], 1.0
	v_fma_f64 v[35:36], v[22:23], v[35:36], s[12:13]
	v_add_f64 v[24:25], v[30:31], -v[24:25]
	v_fma_f64 v[35:36], v[22:23], v[35:36], s[16:17]
	v_mul_f64 v[30:31], v[22:23], v[22:23]
	v_fma_f64 v[24:25], v[12:13], -v[14:15], v[24:25]
	v_fma_f64 v[35:36], v[22:23], v[35:36], s[18:19]
	v_fma_f64 v[24:25], v[30:31], v[35:36], v[24:25]
	v_mul_f64 v[30:31], v[12:13], -v[22:23]
	v_add_f64 v[24:25], v[26:27], v[24:25]
	v_fma_f64 v[26:27], v[22:23], s[20:21], v[33:34]
	v_mul_f64 v[32:33], v[14:15], 0.5
	v_fma_f64 v[26:27], v[22:23], v[26:27], s[28:29]
	v_fma_f64 v[26:27], v[22:23], v[26:27], s[24:25]
	;; [unrolled: 1-line block ×4, first 2 shown]
	v_fma_f64 v[14:15], v[22:23], v[26:27], -v[14:15]
	v_fma_f64 v[14:15], v[30:31], s[22:23], v[14:15]
	v_add_f64 v[12:13], v[12:13], -v[14:15]
	v_cndmask_b32_e32 v10, v24, v12, vcc
	v_cndmask_b32_e32 v12, v25, v13, vcc
	v_lshlrev_b32_e32 v13, 30, v29
	v_xor_b32_e32 v11, v13, v11
	v_and_b32_e32 v11, 0x80000000, v11
	v_xor_b32_e32 v11, v12, v11
	v_cndmask_b32_e64 v10, 0, v10, s[4:5]
	v_cndmask_b32_e64 v11, v39, v11, s[4:5]
	v_mul_f64 v[10:11], v[18:19], v[10:11]
	s_mov_b32 s4, 0x33d43651
	s_mov_b32 s5, 0x3fe98845
	v_mov_b32_e32 v12, 0x100
	v_fma_f64 v[10:11], v[20:21], v[16:17], v[10:11]
	v_mul_f64 v[10:11], v[10:11], s[4:5]
	s_mov_b32 s4, 0
	s_brev_b32 s5, 8
	v_cmp_gt_f64_e32 vcc, s[4:5], v[2:3]
	v_cndmask_b32_e32 v12, 0, v12, vcc
	v_ldexp_f64 v[2:3], v[2:3], v12
	v_rsq_f64_e32 v[12:13], v[2:3]
	v_mul_f64 v[14:15], v[2:3], v[12:13]
	v_mul_f64 v[12:13], v[12:13], 0.5
	v_fma_f64 v[16:17], -v[12:13], v[14:15], 0.5
	v_fma_f64 v[14:15], v[14:15], v[16:17], v[14:15]
	v_fma_f64 v[12:13], v[12:13], v[16:17], v[12:13]
	v_fma_f64 v[18:19], -v[14:15], v[14:15], v[2:3]
	v_fma_f64 v[14:15], v[18:19], v[12:13], v[14:15]
	v_fma_f64 v[16:17], -v[14:15], v[14:15], v[2:3]
	v_fma_f64 v[12:13], v[16:17], v[12:13], v[14:15]
	v_mov_b32_e32 v14, 0xffffff80
	v_cndmask_b32_e32 v14, 0, v14, vcc
	v_ldexp_f64 v[12:13], v[12:13], v14
	v_mov_b32_e32 v14, 0x260
	v_cmp_class_f64_e32 vcc, v[2:3], v14
	v_cndmask_b32_e32 v3, v13, v3, vcc
	v_cndmask_b32_e32 v2, v12, v2, vcc
	v_div_scale_f64 v[12:13], s[4:5], v[2:3], v[2:3], v[10:11]
	v_rcp_f64_e32 v[14:15], v[12:13]
	v_fma_f64 v[16:17], -v[12:13], v[14:15], 1.0
	v_fma_f64 v[14:15], v[14:15], v[16:17], v[14:15]
	v_fma_f64 v[16:17], -v[12:13], v[14:15], 1.0
	v_fma_f64 v[14:15], v[14:15], v[16:17], v[14:15]
	v_div_scale_f64 v[16:17], vcc, v[10:11], v[2:3], v[10:11]
	v_mul_f64 v[18:19], v[16:17], v[14:15]
	v_fma_f64 v[12:13], -v[12:13], v[18:19], v[16:17]
	s_nop 1
	v_div_fmas_f64 v[12:13], v[12:13], v[14:15], v[18:19]
	v_div_fixup_f64 v[10:11], v[12:13], v[2:3], v[10:11]
.LBB1_48:
	s_or_b64 exec, exec, s[8:9]
	v_cmp_gt_f64_e32 vcc, 0, v[4:5]
	v_xor_b32_e32 v2, 0x80000000, v5
	s_mov_b32 s4, 0
	s_mov_b32 s5, 0x40140000
	v_cndmask_b32_e32 v5, v5, v2, vcc
	v_cmp_ge_f64_e32 vcc, s[4:5], v[4:5]
	v_mul_f64 v[20:21], v[4:5], v[4:5]
	s_and_saveexec_b64 s[4:5], vcc
	s_xor_b64 s[4:5], exec, s[4:5]
	s_cbranch_execz .LBB1_54
; %bb.49:
	s_mov_b32 s8, 0x88e368f1
	s_mov_b32 s9, 0x3ee4f8b5
	v_cmp_ngt_f64_e32 vcc, s[8:9], v[4:5]
	s_and_saveexec_b64 s[8:9], vcc
	s_xor_b64 s[8:9], exec, s[8:9]
	s_cbranch_execz .LBB1_51
; %bb.50:
	v_mov_b32_e32 v2, 0xa696b78c
	v_mov_b32_e32 v3, 0x407f3902
	v_fma_f64 v[2:3], v[20:21], 0, v[2:3]
	s_mov_b32 s10, 0x36a21a67
	s_mov_b32 s11, 0x410536cb
	;; [unrolled: 1-line block ×3, first 2 shown]
	v_mov_b32_e32 v4, 0xad1c8325
	v_mov_b32_e32 v5, 0xc1f1dc53
	s_mov_b32 s13, 0x4204d5b0
	v_fma_f64 v[4:5], v[20:21], 0, v[4:5]
	v_fma_f64 v[2:3], v[20:21], v[2:3], s[10:11]
	s_mov_b32 s10, 0x2eac0634
	s_mov_b32 s11, 0x41871934
	;; [unrolled: 1-line block ×6, first 2 shown]
	v_fma_f64 v[2:3], v[20:21], v[2:3], s[10:11]
	s_mov_b32 s10, 0xc772990d
	s_mov_b32 s11, 0x427c7751
	v_fma_f64 v[4:5], v[20:21], v[4:5], s[10:11]
	s_mov_b32 s10, 0x80462bbb
	s_mov_b32 s11, 0xc01721fb
	v_add_f64 v[12:13], v[20:21], s[10:11]
	s_mov_b32 s10, 0x7e7b2e9c
	v_fma_f64 v[2:3], v[20:21], v[2:3], s[12:13]
	s_mov_b32 s12, 0xe0d900f7
	s_mov_b32 s13, 0xc2ec5614
	v_fma_f64 v[4:5], v[20:21], v[4:5], s[12:13]
	s_mov_b32 s12, 0x69ff5fb4
	s_mov_b32 s11, 0x435c4141
	;; [unrolled: 1-line block ×3, first 2 shown]
	v_fma_f64 v[2:3], v[20:21], v[2:3], s[14:15]
	s_mov_b32 s14, 0xa621dd6f
	s_mov_b32 s15, 0xc03e78a4
	v_add_f64 v[14:15], v[20:21], s[14:15]
	v_fma_f64 v[4:5], v[20:21], v[4:5], s[12:13]
	v_fma_f64 v[2:3], v[20:21], v[2:3], s[16:17]
	v_mul_f64 v[12:13], v[12:13], v[14:15]
	v_fma_f64 v[2:3], v[20:21], v[2:3], s[10:11]
	s_mov_b32 s10, 0xc7b662cc
	s_mov_b32 s11, 0x43b7be34
	v_mul_f64 v[4:5], v[12:13], v[4:5]
	v_fma_f64 v[2:3], v[20:21], v[2:3], s[10:11]
                                        ; implicit-def: $vgpr20_vgpr21
	v_div_scale_f64 v[12:13], s[10:11], v[2:3], v[2:3], v[4:5]
	v_div_scale_f64 v[18:19], vcc, v[4:5], v[2:3], v[4:5]
	v_rcp_f64_e32 v[14:15], v[12:13]
	v_fma_f64 v[16:17], -v[12:13], v[14:15], 1.0
	v_fma_f64 v[14:15], v[14:15], v[16:17], v[14:15]
	v_fma_f64 v[16:17], -v[12:13], v[14:15], 1.0
	v_fma_f64 v[14:15], v[14:15], v[16:17], v[14:15]
	v_mul_f64 v[16:17], v[18:19], v[14:15]
	v_fma_f64 v[12:13], -v[12:13], v[16:17], v[18:19]
	v_div_fmas_f64 v[12:13], v[12:13], v[14:15], v[16:17]
	v_div_fixup_f64 v[12:13], v[12:13], v[2:3], v[4:5]
.LBB1_51:
	s_andn2_saveexec_b64 s[8:9], s[8:9]
	s_cbranch_execz .LBB1_53
; %bb.52:
	s_mov_b32 s10, 0
	s_mov_b32 s11, 0xbfd00000
	v_fma_f64 v[12:13], v[20:21], s[10:11], 1.0
.LBB1_53:
	s_or_b64 exec, exec, s[8:9]
                                        ; implicit-def: $vgpr20_vgpr21
                                        ; implicit-def: $vgpr4_vgpr5
.LBB1_54:
	s_andn2_saveexec_b64 s[8:9], s[4:5]
	s_cbranch_execz .LBB1_64
; %bb.55:
	s_mov_b32 s13, 0xbfe921fb
	s_mov_b32 s12, 0x54442d18
	v_add_f64 v[2:3], v[4:5], s[12:13]
	s_mov_b32 s4, 0
	s_mov_b32 s5, 0x41d00000
                                        ; implicit-def: $vgpr30
                                        ; implicit-def: $vgpr16_vgpr17
                                        ; implicit-def: $vgpr18_vgpr19
	v_trig_preop_f64 v[26:27], |v[2:3]|, 0
	v_trig_preop_f64 v[24:25], |v[2:3]|, 1
	v_trig_preop_f64 v[22:23], |v[2:3]|, 2
	v_cmp_nlt_f64_e64 s[10:11], |v[2:3]|, s[4:5]
	s_and_saveexec_b64 s[4:5], s[10:11]
	s_xor_b64 s[14:15], exec, s[4:5]
	s_cbranch_execz .LBB1_57
; %bb.56:
	s_mov_b32 s4, 0
	s_mov_b32 s5, 0x7b000000
	v_cmp_ge_f64_e64 vcc, |v[2:3]|, s[4:5]
	s_movk_i32 s4, 0xff80
	v_ldexp_f64 v[12:13], |v[2:3]|, s4
	v_and_b32_e32 v14, 0x7fffffff, v3
	s_mov_b32 s4, 0
	s_mov_b32 s5, 0x7ff00000
	;; [unrolled: 1-line block ×3, first 2 shown]
	v_cndmask_b32_e32 v13, v14, v13, vcc
	v_cndmask_b32_e32 v12, v2, v12, vcc
	v_mul_f64 v[16:17], v[26:27], v[12:13]
	v_mul_f64 v[14:15], v[24:25], v[12:13]
	v_fma_f64 v[18:19], v[26:27], v[12:13], -v[16:17]
	v_add_f64 v[29:30], v[14:15], v[18:19]
	v_add_f64 v[37:38], v[29:30], -v[14:15]
	v_add_f64 v[31:32], v[16:17], v[29:30]
	v_add_f64 v[18:19], v[18:19], -v[37:38]
	v_add_f64 v[37:38], v[29:30], -v[37:38]
	v_ldexp_f64 v[33:34], v[31:32], -2
	v_add_f64 v[16:17], v[31:32], -v[16:17]
	v_add_f64 v[37:38], v[14:15], -v[37:38]
	v_fma_f64 v[14:15], v[24:25], v[12:13], -v[14:15]
	v_add_f64 v[16:17], v[29:30], -v[16:17]
	v_fract_f64_e32 v[35:36], v[33:34]
	v_cmp_neq_f64_e64 vcc, |v[33:34]|, s[4:5]
	v_add_f64 v[18:19], v[18:19], v[37:38]
	v_mul_f64 v[37:38], v[22:23], v[12:13]
	v_add_f64 v[48:49], v[37:38], v[14:15]
	v_fma_f64 v[12:13], v[22:23], v[12:13], -v[37:38]
	v_add_f64 v[50:51], v[48:49], v[18:19]
	v_add_f64 v[31:32], v[50:51], -v[48:49]
	v_add_f64 v[29:30], v[16:17], v[50:51]
	v_add_f64 v[18:19], v[18:19], -v[31:32]
	v_add_f64 v[31:32], v[50:51], -v[31:32]
	;; [unrolled: 1-line block ×5, first 2 shown]
	v_add_f64 v[18:19], v[18:19], v[31:32]
	v_add_f64 v[31:32], v[48:49], -v[37:38]
	v_add_f64 v[14:15], v[14:15], -v[31:32]
	;; [unrolled: 1-line block ×4, first 2 shown]
	v_add_f64 v[14:15], v[14:15], v[31:32]
	v_add_f64 v[14:15], v[14:15], v[18:19]
	;; [unrolled: 1-line block ×3, first 2 shown]
	v_ldexp_f64 v[14:15], v[35:36], 2
	v_add_f64 v[12:13], v[16:17], v[12:13]
	v_cndmask_b32_e32 v15, 0, v15, vcc
	v_cndmask_b32_e32 v14, 0, v14, vcc
	v_add_f64 v[16:17], v[29:30], v[14:15]
	v_cmp_gt_f64_e32 vcc, 0, v[16:17]
	v_mov_b32_e32 v16, 0x40100000
	v_cndmask_b32_e32 v17, 0, v16, vcc
	v_mov_b32_e32 v16, 0
	v_add_f64 v[14:15], v[14:15], v[16:17]
	v_add_f64 v[17:18], v[29:30], v[14:15]
	v_cvt_i32_f64_e32 v31, v[17:18]
	v_cvt_f64_i32_e32 v[17:18], v31
	v_add_f64 v[14:15], v[14:15], -v[17:18]
	v_add_f64 v[18:19], v[29:30], v[14:15]
	v_add_f64 v[14:15], v[18:19], -v[14:15]
	v_cmp_le_f64_e32 vcc, 0.5, v[18:19]
	v_add_f64 v[14:15], v[29:30], -v[14:15]
	v_addc_co_u32_e64 v30, s[4:5], 0, v31, vcc
	s_mov_b32 s4, 0x33145c07
	s_mov_b32 s5, 0x3c91a626
	v_add_f64 v[12:13], v[12:13], v[14:15]
	v_mov_b32_e32 v14, 0x3ff00000
	v_cndmask_b32_e32 v17, 0, v14, vcc
	v_add_f64 v[14:15], v[18:19], -v[16:17]
	v_add_f64 v[16:17], v[14:15], v[12:13]
	v_add_f64 v[14:15], v[16:17], -v[14:15]
	v_add_f64 v[12:13], v[12:13], -v[14:15]
	v_mul_f64 v[14:15], v[16:17], s[12:13]
	v_fma_f64 v[18:19], v[16:17], s[12:13], -v[14:15]
	v_fma_f64 v[16:17], v[16:17], s[4:5], v[18:19]
	v_fma_f64 v[12:13], v[12:13], s[12:13], v[16:17]
	v_add_f64 v[16:17], v[14:15], v[12:13]
	v_add_f64 v[14:15], v[16:17], -v[14:15]
	v_add_f64 v[18:19], v[12:13], -v[14:15]
	s_andn2_saveexec_b64 s[4:5], s[14:15]
	s_cbranch_execz .LBB1_59
	s_branch .LBB1_58
.LBB1_57:
	s_andn2_saveexec_b64 s[4:5], s[14:15]
	s_cbranch_execz .LBB1_59
.LBB1_58:
	s_mov_b32 s12, 0x6dc9c883
	s_mov_b32 s13, 0x3fe45f30
	v_mul_f64 v[12:13], |v[2:3]|, s[12:13]
	s_mov_b32 s12, 0x54442d18
	s_mov_b32 s13, 0xbff921fb
	;; [unrolled: 1-line block ×4, first 2 shown]
	v_rndne_f64_e32 v[12:13], v[12:13]
	v_fma_f64 v[14:15], v[12:13], s[12:13], |v[2:3]|
	v_mul_f64 v[16:17], v[12:13], s[14:15]
	s_mov_b32 s12, 0x252049c0
	s_mov_b32 s13, 0xb97b839a
	v_add_f64 v[18:19], v[14:15], v[16:17]
	v_add_f64 v[29:30], v[14:15], -v[18:19]
	v_fma_f64 v[14:15], v[12:13], s[14:15], v[14:15]
	s_mov_b32 s15, 0x3c91a626
	v_add_f64 v[29:30], v[29:30], v[16:17]
	v_add_f64 v[18:19], v[18:19], -v[14:15]
	v_fma_f64 v[16:17], v[12:13], s[14:15], v[16:17]
	v_add_f64 v[18:19], v[18:19], v[29:30]
	v_cvt_i32_f64_e32 v30, v[12:13]
	v_add_f64 v[16:17], v[18:19], -v[16:17]
	v_fma_f64 v[18:19], v[12:13], s[12:13], v[16:17]
	v_add_f64 v[16:17], v[14:15], v[18:19]
	v_add_f64 v[14:15], v[16:17], -v[14:15]
	v_add_f64 v[18:19], v[18:19], -v[14:15]
.LBB1_59:
	s_or_b64 exec, exec, s[4:5]
                                        ; implicit-def: $vgpr29
                                        ; implicit-def: $vgpr12_vgpr13
                                        ; implicit-def: $vgpr14_vgpr15
	s_and_saveexec_b64 s[4:5], s[10:11]
	s_xor_b64 s[10:11], exec, s[4:5]
	s_cbranch_execz .LBB1_61
; %bb.60:
	s_mov_b32 s4, 0
	s_mov_b32 s5, 0x7b000000
	v_cmp_ge_f64_e64 vcc, |v[2:3]|, s[4:5]
	s_movk_i32 s4, 0xff80
	v_ldexp_f64 v[12:13], |v[2:3]|, s4
	v_and_b32_e32 v14, 0x7fffffff, v3
	s_mov_b32 s4, 0
	s_mov_b32 s5, 0x7ff00000
	;; [unrolled: 1-line block ×4, first 2 shown]
	v_cndmask_b32_e32 v13, v14, v13, vcc
	v_cndmask_b32_e32 v12, v2, v12, vcc
	v_mul_f64 v[31:32], v[26:27], v[12:13]
	v_mul_f64 v[14:15], v[24:25], v[12:13]
	v_fma_f64 v[26:27], v[26:27], v[12:13], -v[31:32]
	v_add_f64 v[33:34], v[14:15], v[26:27]
	v_add_f64 v[50:51], v[33:34], -v[14:15]
	v_add_f64 v[35:36], v[31:32], v[33:34]
	v_add_f64 v[26:27], v[26:27], -v[50:51]
	v_add_f64 v[50:51], v[33:34], -v[50:51]
	v_ldexp_f64 v[37:38], v[35:36], -2
	v_add_f64 v[31:32], v[35:36], -v[31:32]
	v_add_f64 v[50:51], v[14:15], -v[50:51]
	v_fma_f64 v[14:15], v[24:25], v[12:13], -v[14:15]
	v_mul_f64 v[24:25], v[22:23], v[12:13]
	v_fract_f64_e32 v[48:49], v[37:38]
	v_add_f64 v[31:32], v[33:34], -v[31:32]
	v_cmp_neq_f64_e64 vcc, |v[37:38]|, s[4:5]
	v_add_f64 v[26:27], v[26:27], v[50:51]
	v_add_f64 v[50:51], v[24:25], v[14:15]
	v_fma_f64 v[12:13], v[22:23], v[12:13], -v[24:25]
	v_add_f64 v[52:53], v[50:51], v[26:27]
	v_add_f64 v[35:36], v[52:53], -v[50:51]
	v_add_f64 v[33:34], v[31:32], v[52:53]
	v_add_f64 v[26:27], v[26:27], -v[35:36]
	v_add_f64 v[35:36], v[52:53], -v[35:36]
	;; [unrolled: 1-line block ×5, first 2 shown]
	v_add_f64 v[26:27], v[26:27], v[35:36]
	v_add_f64 v[35:36], v[50:51], -v[24:25]
	v_add_f64 v[14:15], v[14:15], -v[35:36]
	;; [unrolled: 1-line block ×4, first 2 shown]
	v_add_f64 v[14:15], v[14:15], v[35:36]
	v_add_f64 v[14:15], v[14:15], v[26:27]
	;; [unrolled: 1-line block ×3, first 2 shown]
	v_ldexp_f64 v[14:15], v[48:49], 2
	v_add_f64 v[12:13], v[31:32], v[12:13]
	v_cndmask_b32_e32 v15, 0, v15, vcc
	v_cndmask_b32_e32 v14, 0, v14, vcc
	v_add_f64 v[22:23], v[33:34], v[14:15]
	v_cmp_gt_f64_e32 vcc, 0, v[22:23]
	v_mov_b32_e32 v22, 0x40100000
	v_cndmask_b32_e32 v23, 0, v22, vcc
	v_mov_b32_e32 v22, 0
	v_add_f64 v[14:15], v[14:15], v[22:23]
	v_add_f64 v[23:24], v[33:34], v[14:15]
	v_cvt_i32_f64_e32 v26, v[23:24]
	v_cvt_f64_i32_e32 v[23:24], v26
	v_add_f64 v[14:15], v[14:15], -v[23:24]
	v_add_f64 v[24:25], v[33:34], v[14:15]
	v_add_f64 v[14:15], v[24:25], -v[14:15]
	v_cmp_le_f64_e32 vcc, 0.5, v[24:25]
	v_add_f64 v[14:15], v[33:34], -v[14:15]
	v_addc_co_u32_e64 v29, s[4:5], 0, v26, vcc
	s_mov_b32 s4, 0x54442d18
	s_mov_b32 s5, 0x3ff921fb
	v_add_f64 v[12:13], v[12:13], v[14:15]
	v_mov_b32_e32 v14, 0x3ff00000
	v_cndmask_b32_e32 v23, 0, v14, vcc
	v_add_f64 v[14:15], v[24:25], -v[22:23]
	v_add_f64 v[22:23], v[14:15], v[12:13]
	v_add_f64 v[14:15], v[22:23], -v[14:15]
	v_add_f64 v[12:13], v[12:13], -v[14:15]
	v_mul_f64 v[14:15], v[22:23], s[4:5]
	v_fma_f64 v[24:25], v[22:23], s[4:5], -v[14:15]
	v_fma_f64 v[22:23], v[22:23], s[12:13], v[24:25]
	v_fma_f64 v[22:23], v[12:13], s[4:5], v[22:23]
	v_add_f64 v[12:13], v[14:15], v[22:23]
	v_add_f64 v[14:15], v[12:13], -v[14:15]
	v_add_f64 v[14:15], v[22:23], -v[14:15]
	s_andn2_saveexec_b64 s[4:5], s[10:11]
	s_cbranch_execnz .LBB1_62
	s_branch .LBB1_63
.LBB1_61:
	s_andn2_saveexec_b64 s[4:5], s[10:11]
	s_cbranch_execz .LBB1_63
.LBB1_62:
	s_mov_b32 s10, 0x6dc9c883
	s_mov_b32 s11, 0x3fe45f30
	v_mul_f64 v[12:13], |v[2:3]|, s[10:11]
	s_mov_b32 s10, 0x54442d18
	s_mov_b32 s11, 0xbff921fb
	;; [unrolled: 1-line block ×4, first 2 shown]
	v_rndne_f64_e32 v[22:23], v[12:13]
	v_fma_f64 v[12:13], v[22:23], s[10:11], |v[2:3]|
	v_mul_f64 v[14:15], v[22:23], s[12:13]
	s_mov_b32 s10, 0x252049c0
	s_mov_b32 s11, 0xb97b839a
	v_cvt_i32_f64_e32 v29, v[22:23]
	v_fma_f64 v[31:32], v[22:23], s[12:13], v[12:13]
	v_add_f64 v[24:25], v[12:13], v[14:15]
	s_mov_b32 s13, 0x3c91a626
	v_add_f64 v[26:27], v[12:13], -v[24:25]
	v_add_f64 v[24:25], v[24:25], -v[31:32]
	v_add_f64 v[12:13], v[26:27], v[14:15]
	v_fma_f64 v[14:15], v[22:23], s[12:13], v[14:15]
	v_add_f64 v[12:13], v[24:25], v[12:13]
	v_add_f64 v[12:13], v[12:13], -v[14:15]
	v_fma_f64 v[14:15], v[22:23], s[10:11], v[12:13]
	v_add_f64 v[12:13], v[31:32], v[14:15]
	v_add_f64 v[24:25], v[12:13], -v[31:32]
	v_add_f64 v[14:15], v[14:15], -v[24:25]
.LBB1_63:
	s_or_b64 exec, exec, s[4:5]
	s_mov_b32 s4, 0
	s_mov_b32 s5, 0x40390000
	v_div_scale_f64 v[22:23], s[10:11], v[20:21], v[20:21], s[4:5]
	s_mov_b32 s10, 0x46cc5e42
	s_mov_b32 s11, 0xbda907db
	;; [unrolled: 1-line block ×14, first 2 shown]
	v_rcp_f64_e32 v[24:25], v[22:23]
	s_mov_b32 s24, 0x19e83e5c
	s_mov_b32 s25, 0xbf2a01a0
	;; [unrolled: 1-line block ×4, first 2 shown]
	v_mul_f64 v[50:51], v[18:19], 0.5
	s_mov_b32 s23, 0xbfc55555
	s_mov_b32 s22, s18
	;; [unrolled: 1-line block ×4, first 2 shown]
	v_mov_b32_e32 v39, 0x7ff80000
	v_fma_f64 v[26:27], -v[22:23], v[24:25], 1.0
	v_fma_f64 v[24:25], v[24:25], v[26:27], v[24:25]
	v_fma_f64 v[26:27], -v[22:23], v[24:25], 1.0
	v_fma_f64 v[24:25], v[24:25], v[26:27], v[24:25]
	v_div_scale_f64 v[26:27], vcc, s[4:5], v[20:21], s[4:5]
	v_mul_f64 v[31:32], v[26:27], v[24:25]
	v_fma_f64 v[22:23], -v[22:23], v[31:32], v[26:27]
	v_mov_b32_e32 v26, 0x38a5384a
	v_mov_b32_e32 v27, 0xbf874742
	v_div_fmas_f64 v[22:23], v[22:23], v[24:25], v[31:32]
	v_mov_b32_e32 v24, 0xce039737
	v_mov_b32_e32 v25, 0x3f4e4a80
	;; [unrolled: 1-line block ×4, first 2 shown]
	v_div_fixup_f64 v[20:21], v[22:23], v[20:21], s[4:5]
	v_mov_b32_e32 v22, 0x983b6b27
	v_mov_b32_e32 v23, 0x3f4a1d30
	s_mov_b32 s4, 0xb35dd1cf
	s_mov_b32 s5, 0x3fb534b0
	v_fma_f64 v[22:23], v[20:21], 0, v[22:23]
	v_fma_f64 v[24:25], v[20:21], 0, v[24:25]
	;; [unrolled: 1-line block ×5, first 2 shown]
	s_mov_b32 s4, 0x4e680b98
	s_mov_b32 s5, 0x3ff3d521
	v_fma_f64 v[22:23], v[20:21], v[22:23], s[4:5]
	s_mov_b32 s4, 0xe97a0956
	s_mov_b32 s5, 0x4015c9fb
	v_fma_f64 v[22:23], v[20:21], v[22:23], s[4:5]
	;; [unrolled: 3-line block ×10, first 2 shown]
	s_mov_b32 s4, 0xf50e2c0c
	s_mov_b32 s5, 0xc0338dcf
	v_fma_f64 v[24:25], v[20:21], v[24:25], 1.0
	v_fma_f64 v[26:27], v[20:21], v[26:27], s[4:5]
	s_mov_b32 s4, 0x5a6de8c4
	s_mov_b32 s5, 0xc0574d2f
	v_fma_f64 v[26:27], v[20:21], v[26:27], s[4:5]
	s_mov_b32 s4, 0x20cae8ea
	s_mov_b32 s5, 0xc06635cc
	;; [unrolled: 3-line block ×11, first 2 shown]
	v_fma_f64 v[31:32], v[20:21], v[31:32], s[4:5]
	v_fma_f64 v[20:21], v[20:21], v[22:23], 1.0
	v_div_scale_f64 v[22:23], s[4:5], v[24:25], v[24:25], v[20:21]
	s_mov_b32 s4, 0x9037ab78
	s_mov_b32 s5, 0x3e21eeb6
	v_rcp_f64_e32 v[33:34], v[22:23]
	v_fma_f64 v[35:36], -v[22:23], v[33:34], 1.0
	v_fma_f64 v[33:34], v[33:34], v[35:36], v[33:34]
	v_fma_f64 v[35:36], -v[22:23], v[33:34], 1.0
	v_fma_f64 v[33:34], v[33:34], v[35:36], v[33:34]
	v_div_scale_f64 v[35:36], vcc, v[20:21], v[24:25], v[20:21]
	v_mul_f64 v[37:38], v[35:36], v[33:34]
	v_fma_f64 v[22:23], -v[22:23], v[37:38], v[35:36]
	s_nop 1
	v_div_fmas_f64 v[22:23], v[22:23], v[33:34], v[37:38]
	v_mov_b32_e32 v38, s5
	v_mov_b32_e32 v37, s4
	s_mov_b32 s4, 0xb42fdfa7
	s_mov_b32 s5, 0xbe5ae600
	v_div_fixup_f64 v[20:21], v[22:23], v[24:25], v[20:21]
	v_mul_f64 v[22:23], v[16:17], v[16:17]
	v_mul_f64 v[24:25], v[22:23], 0.5
	v_fma_f64 v[48:49], v[22:23], s[10:11], v[37:38]
	v_add_f64 v[33:34], -v[24:25], 1.0
	v_fma_f64 v[48:49], v[22:23], v[48:49], s[14:15]
	v_add_f64 v[35:36], -v[33:34], 1.0
	v_fma_f64 v[48:49], v[22:23], v[48:49], s[12:13]
	v_add_f64 v[24:25], v[35:36], -v[24:25]
	v_fma_f64 v[48:49], v[22:23], v[48:49], s[16:17]
	v_mul_f64 v[35:36], v[22:23], v[22:23]
	v_fma_f64 v[24:25], v[16:17], -v[18:19], v[24:25]
	v_fma_f64 v[48:49], v[22:23], v[48:49], s[18:19]
	v_fma_f64 v[24:25], v[35:36], v[48:49], v[24:25]
	v_mul_f64 v[48:49], v[16:17], -v[22:23]
	v_add_f64 v[24:25], v[33:34], v[24:25]
	v_mov_b32_e32 v34, s5
	v_mov_b32_e32 v33, s4
	v_fma_f64 v[35:36], v[22:23], s[20:21], v[33:34]
	s_movk_i32 s4, 0x1f8
	v_cmp_class_f64_e64 s[4:5], v[2:3], s4
	v_and_b32_e32 v2, 1, v29
	v_fma_f64 v[35:36], v[22:23], v[35:36], s[28:29]
	v_fma_f64 v[35:36], v[22:23], v[35:36], s[24:25]
	;; [unrolled: 1-line block ×4, first 2 shown]
	v_fma_f64 v[18:19], v[22:23], v[35:36], -v[18:19]
	v_fma_f64 v[18:19], v[48:49], s[22:23], v[18:19]
	v_add_f64 v[16:17], v[16:17], -v[18:19]
	v_and_b32_e32 v18, 1, v30
	v_cmp_eq_u32_e32 vcc, 0, v18
	v_lshlrev_b32_e32 v18, 30, v30
	v_and_b32_e32 v18, 0x80000000, v18
	v_xor_b32_e32 v17, 0x80000000, v17
	v_cndmask_b32_e32 v17, v17, v25, vcc
	v_xor_b32_e32 v17, v17, v18
	v_div_scale_f64 v[18:19], s[42:43], v[4:5], v[4:5], s[40:41]
	v_cndmask_b32_e32 v16, v16, v24, vcc
	v_cndmask_b32_e64 v16, 0, v16, s[4:5]
	v_cndmask_b32_e64 v17, v39, v17, s[4:5]
	v_rcp_f64_e32 v[22:23], v[18:19]
	v_fma_f64 v[24:25], -v[18:19], v[22:23], 1.0
	v_fma_f64 v[22:23], v[22:23], v[24:25], v[22:23]
	v_fma_f64 v[24:25], -v[18:19], v[22:23], 1.0
	v_fma_f64 v[22:23], v[22:23], v[24:25], v[22:23]
	v_div_scale_f64 v[24:25], vcc, s[40:41], v[4:5], s[40:41]
	v_mul_f64 v[35:36], v[24:25], v[22:23]
	v_fma_f64 v[18:19], -v[18:19], v[35:36], v[24:25]
	s_nop 1
	v_div_fmas_f64 v[18:19], v[18:19], v[22:23], v[35:36]
	v_div_fixup_f64 v[18:19], v[18:19], v[4:5], s[40:41]
	v_div_scale_f64 v[22:23], s[40:41], v[31:32], v[31:32], v[26:27]
	v_rcp_f64_e32 v[24:25], v[22:23]
	v_fma_f64 v[35:36], -v[22:23], v[24:25], 1.0
	v_fma_f64 v[24:25], v[24:25], v[35:36], v[24:25]
	v_fma_f64 v[35:36], -v[22:23], v[24:25], 1.0
	v_fma_f64 v[24:25], v[24:25], v[35:36], v[24:25]
	v_div_scale_f64 v[35:36], vcc, v[26:27], v[31:32], v[26:27]
	v_mul_f64 v[48:49], v[35:36], v[24:25]
	v_fma_f64 v[22:23], -v[22:23], v[48:49], v[35:36]
	s_nop 1
	v_div_fmas_f64 v[22:23], v[22:23], v[24:25], v[48:49]
	v_cmp_eq_u32_e32 vcc, 0, v2
	v_div_fixup_f64 v[22:23], v[22:23], v[31:32], v[26:27]
	v_mul_f64 v[18:19], v[18:19], v[22:23]
	v_mul_f64 v[22:23], v[12:13], v[12:13]
	v_mul_f64 v[24:25], v[22:23], 0.5
	v_fma_f64 v[35:36], v[22:23], s[10:11], v[37:38]
	v_add_f64 v[26:27], -v[24:25], 1.0
	v_fma_f64 v[35:36], v[22:23], v[35:36], s[14:15]
	v_add_f64 v[30:31], -v[26:27], 1.0
	v_fma_f64 v[35:36], v[22:23], v[35:36], s[12:13]
	v_add_f64 v[24:25], v[30:31], -v[24:25]
	v_fma_f64 v[35:36], v[22:23], v[35:36], s[16:17]
	v_mul_f64 v[30:31], v[22:23], v[22:23]
	v_fma_f64 v[24:25], v[12:13], -v[14:15], v[24:25]
	v_fma_f64 v[35:36], v[22:23], v[35:36], s[18:19]
	v_fma_f64 v[24:25], v[30:31], v[35:36], v[24:25]
	v_mul_f64 v[30:31], v[12:13], -v[22:23]
	v_add_f64 v[24:25], v[26:27], v[24:25]
	v_fma_f64 v[26:27], v[22:23], s[20:21], v[33:34]
	v_mul_f64 v[32:33], v[14:15], 0.5
	v_fma_f64 v[26:27], v[22:23], v[26:27], s[28:29]
	v_fma_f64 v[26:27], v[22:23], v[26:27], s[24:25]
	;; [unrolled: 1-line block ×4, first 2 shown]
	v_fma_f64 v[14:15], v[22:23], v[26:27], -v[14:15]
	v_fma_f64 v[14:15], v[30:31], s[22:23], v[14:15]
	v_add_f64 v[12:13], v[12:13], -v[14:15]
	v_cndmask_b32_e32 v2, v24, v12, vcc
	v_cndmask_b32_e32 v12, v25, v13, vcc
	v_lshlrev_b32_e32 v13, 30, v29
	v_xor_b32_e32 v3, v13, v3
	v_and_b32_e32 v3, 0x80000000, v3
	v_xor_b32_e32 v3, v12, v3
	v_cndmask_b32_e64 v2, 0, v2, s[4:5]
	v_cndmask_b32_e64 v3, v39, v3, s[4:5]
	v_mul_f64 v[2:3], v[18:19], v[2:3]
	s_mov_b32 s4, 0x33d43651
	s_mov_b32 s5, 0x3fe98845
	v_mov_b32_e32 v12, 0x100
	v_fma_f64 v[2:3], v[20:21], v[16:17], v[2:3]
	v_mul_f64 v[2:3], v[2:3], s[4:5]
	s_mov_b32 s4, 0
	s_brev_b32 s5, 8
	v_cmp_gt_f64_e32 vcc, s[4:5], v[4:5]
	v_cndmask_b32_e32 v12, 0, v12, vcc
	v_ldexp_f64 v[4:5], v[4:5], v12
	v_rsq_f64_e32 v[12:13], v[4:5]
	v_mul_f64 v[14:15], v[4:5], v[12:13]
	v_mul_f64 v[12:13], v[12:13], 0.5
	v_fma_f64 v[16:17], -v[12:13], v[14:15], 0.5
	v_fma_f64 v[14:15], v[14:15], v[16:17], v[14:15]
	v_fma_f64 v[12:13], v[12:13], v[16:17], v[12:13]
	v_fma_f64 v[18:19], -v[14:15], v[14:15], v[4:5]
	v_fma_f64 v[14:15], v[18:19], v[12:13], v[14:15]
	v_fma_f64 v[16:17], -v[14:15], v[14:15], v[4:5]
	v_fma_f64 v[12:13], v[16:17], v[12:13], v[14:15]
	v_mov_b32_e32 v14, 0xffffff80
	v_cndmask_b32_e32 v14, 0, v14, vcc
	v_ldexp_f64 v[12:13], v[12:13], v14
	v_mov_b32_e32 v14, 0x260
	v_cmp_class_f64_e32 vcc, v[4:5], v14
	v_cndmask_b32_e32 v5, v13, v5, vcc
	v_cndmask_b32_e32 v4, v12, v4, vcc
	v_div_scale_f64 v[12:13], s[4:5], v[4:5], v[4:5], v[2:3]
	v_rcp_f64_e32 v[14:15], v[12:13]
	v_fma_f64 v[16:17], -v[12:13], v[14:15], 1.0
	v_fma_f64 v[14:15], v[14:15], v[16:17], v[14:15]
	v_fma_f64 v[16:17], -v[12:13], v[14:15], 1.0
	v_fma_f64 v[14:15], v[14:15], v[16:17], v[14:15]
	v_div_scale_f64 v[16:17], vcc, v[2:3], v[4:5], v[2:3]
	v_mul_f64 v[18:19], v[16:17], v[14:15]
	v_fma_f64 v[12:13], -v[12:13], v[18:19], v[16:17]
	s_nop 1
	v_div_fmas_f64 v[12:13], v[12:13], v[14:15], v[18:19]
	v_div_fixup_f64 v[12:13], v[12:13], v[4:5], v[2:3]
.LBB1_64:
	s_or_b64 exec, exec, s[8:9]
	v_mov_b32_e32 v2, s7
	v_add_co_u32_e32 v0, vcc, s6, v0
	v_addc_co_u32_e32 v1, vcc, v1, v2, vcc
	v_add_co_u32_e32 v0, vcc, v0, v28
	v_addc_co_u32_e32 v1, vcc, 0, v1, vcc
	flat_store_dwordx4 v[0:1], v[6:9]
	flat_store_dwordx4 v[0:1], v[10:13] offset:16
	s_waitcnt vmcnt(0) lgkmcnt(0)
	s_setpc_b64 s[30:31]
.Lfunc_end1:
	.size	_ZN2at6native25elementwise_kernel_helperILb0EZZZNS0_12_GLOBAL__N_121bessel_j0_kernel_cudaERNS_18TensorIteratorBaseEENKUlvE_clEvENKUlvE_clEvEUldE_NS0_6memory8policies10vectorizedILi4ESt5arrayIPcLm2EELi4EEEEEvT0_T1_, .Lfunc_end1-_ZN2at6native25elementwise_kernel_helperILb0EZZZNS0_12_GLOBAL__N_121bessel_j0_kernel_cudaERNS_18TensorIteratorBaseEENKUlvE_clEvENKUlvE_clEvEUldE_NS0_6memory8policies10vectorizedILi4ESt5arrayIPcLm2EELi4EEEEEvT0_T1_
                                        ; -- End function
	.set .L_ZN2at6native25elementwise_kernel_helperILb0EZZZNS0_12_GLOBAL__N_121bessel_j0_kernel_cudaERNS_18TensorIteratorBaseEENKUlvE_clEvENKUlvE_clEvEUldE_NS0_6memory8policies10vectorizedILi4ESt5arrayIPcLm2EELi4EEEEEvT0_T1_.num_vgpr, 54
	.set .L_ZN2at6native25elementwise_kernel_helperILb0EZZZNS0_12_GLOBAL__N_121bessel_j0_kernel_cudaERNS_18TensorIteratorBaseEENKUlvE_clEvENKUlvE_clEvEUldE_NS0_6memory8policies10vectorizedILi4ESt5arrayIPcLm2EELi4EEEEEvT0_T1_.num_agpr, 0
	.set .L_ZN2at6native25elementwise_kernel_helperILb0EZZZNS0_12_GLOBAL__N_121bessel_j0_kernel_cudaERNS_18TensorIteratorBaseEENKUlvE_clEvENKUlvE_clEvEUldE_NS0_6memory8policies10vectorizedILi4ESt5arrayIPcLm2EELi4EEEEEvT0_T1_.numbered_sgpr, 44
	.set .L_ZN2at6native25elementwise_kernel_helperILb0EZZZNS0_12_GLOBAL__N_121bessel_j0_kernel_cudaERNS_18TensorIteratorBaseEENKUlvE_clEvENKUlvE_clEvEUldE_NS0_6memory8policies10vectorizedILi4ESt5arrayIPcLm2EELi4EEEEEvT0_T1_.num_named_barrier, 0
	.set .L_ZN2at6native25elementwise_kernel_helperILb0EZZZNS0_12_GLOBAL__N_121bessel_j0_kernel_cudaERNS_18TensorIteratorBaseEENKUlvE_clEvENKUlvE_clEvEUldE_NS0_6memory8policies10vectorizedILi4ESt5arrayIPcLm2EELi4EEEEEvT0_T1_.private_seg_size, 0
	.set .L_ZN2at6native25elementwise_kernel_helperILb0EZZZNS0_12_GLOBAL__N_121bessel_j0_kernel_cudaERNS_18TensorIteratorBaseEENKUlvE_clEvENKUlvE_clEvEUldE_NS0_6memory8policies10vectorizedILi4ESt5arrayIPcLm2EELi4EEEEEvT0_T1_.uses_vcc, 1
	.set .L_ZN2at6native25elementwise_kernel_helperILb0EZZZNS0_12_GLOBAL__N_121bessel_j0_kernel_cudaERNS_18TensorIteratorBaseEENKUlvE_clEvENKUlvE_clEvEUldE_NS0_6memory8policies10vectorizedILi4ESt5arrayIPcLm2EELi4EEEEEvT0_T1_.uses_flat_scratch, 0
	.set .L_ZN2at6native25elementwise_kernel_helperILb0EZZZNS0_12_GLOBAL__N_121bessel_j0_kernel_cudaERNS_18TensorIteratorBaseEENKUlvE_clEvENKUlvE_clEvEUldE_NS0_6memory8policies10vectorizedILi4ESt5arrayIPcLm2EELi4EEEEEvT0_T1_.has_dyn_sized_stack, 0
	.set .L_ZN2at6native25elementwise_kernel_helperILb0EZZZNS0_12_GLOBAL__N_121bessel_j0_kernel_cudaERNS_18TensorIteratorBaseEENKUlvE_clEvENKUlvE_clEvEUldE_NS0_6memory8policies10vectorizedILi4ESt5arrayIPcLm2EELi4EEEEEvT0_T1_.has_recursion, 0
	.set .L_ZN2at6native25elementwise_kernel_helperILb0EZZZNS0_12_GLOBAL__N_121bessel_j0_kernel_cudaERNS_18TensorIteratorBaseEENKUlvE_clEvENKUlvE_clEvEUldE_NS0_6memory8policies10vectorizedILi4ESt5arrayIPcLm2EELi4EEEEEvT0_T1_.has_indirect_call, 0
	.section	.AMDGPU.csdata,"",@progbits
; Function info:
; codeLenInByte = 17404
; TotalNumSgprs: 48
; NumVgprs: 54
; ScratchSize: 0
; MemoryBound: 0
	.section	.text._ZN2at6native29vectorized_elementwise_kernelILi16EZZZNS0_12_GLOBAL__N_121bessel_j0_kernel_cudaERNS_18TensorIteratorBaseEENKUlvE_clEvENKUlvE_clEvEUldE_St5arrayIPcLm2EEEEviT0_T1_,"axG",@progbits,_ZN2at6native29vectorized_elementwise_kernelILi16EZZZNS0_12_GLOBAL__N_121bessel_j0_kernel_cudaERNS_18TensorIteratorBaseEENKUlvE_clEvENKUlvE_clEvEUldE_St5arrayIPcLm2EEEEviT0_T1_,comdat
	.globl	_ZN2at6native29vectorized_elementwise_kernelILi16EZZZNS0_12_GLOBAL__N_121bessel_j0_kernel_cudaERNS_18TensorIteratorBaseEENKUlvE_clEvENKUlvE_clEvEUldE_St5arrayIPcLm2EEEEviT0_T1_ ; -- Begin function _ZN2at6native29vectorized_elementwise_kernelILi16EZZZNS0_12_GLOBAL__N_121bessel_j0_kernel_cudaERNS_18TensorIteratorBaseEENKUlvE_clEvENKUlvE_clEvEUldE_St5arrayIPcLm2EEEEviT0_T1_
	.p2align	8
	.type	_ZN2at6native29vectorized_elementwise_kernelILi16EZZZNS0_12_GLOBAL__N_121bessel_j0_kernel_cudaERNS_18TensorIteratorBaseEENKUlvE_clEvENKUlvE_clEvEUldE_St5arrayIPcLm2EEEEviT0_T1_,@function
_ZN2at6native29vectorized_elementwise_kernelILi16EZZZNS0_12_GLOBAL__N_121bessel_j0_kernel_cudaERNS_18TensorIteratorBaseEENKUlvE_clEvENKUlvE_clEvEUldE_St5arrayIPcLm2EEEEviT0_T1_: ; @_ZN2at6native29vectorized_elementwise_kernelILi16EZZZNS0_12_GLOBAL__N_121bessel_j0_kernel_cudaERNS_18TensorIteratorBaseEENKUlvE_clEvENKUlvE_clEvEUldE_St5arrayIPcLm2EEEEviT0_T1_
; %bb.0:
	s_mov_b32 s33, s6
	s_load_dword s6, s[4:5], 0x0
	s_load_dwordx4 s[36:39], s[4:5], 0x8
	s_add_u32 s0, s0, s7
	s_addc_u32 s1, s1, 0
	s_lshl_b32 s4, s33, 10
	s_waitcnt lgkmcnt(0)
	s_sub_i32 s34, s6, s4
	v_mov_b32_e32 v40, v0
	s_cmpk_gt_i32 s34, 0x3ff
	s_mov_b64 s[4:5], -1
	s_mov_b32 s32, 0
	s_cbranch_scc1 .LBB2_3
; %bb.1:
	s_andn2_b64 vcc, exec, s[4:5]
	s_cbranch_vccz .LBB2_4
.LBB2_2:
	s_endpgm
.LBB2_3:
	s_getpc_b64 s[4:5]
	s_add_u32 s4, s4, _ZN2at6native25elementwise_kernel_helperILb0EZZZNS0_12_GLOBAL__N_121bessel_j0_kernel_cudaERNS_18TensorIteratorBaseEENKUlvE_clEvENKUlvE_clEvEUldE_NS0_6memory8policies10vectorizedILi4ESt5arrayIPcLm2EELi4EEEEEvT0_T1_@rel32@lo+4
	s_addc_u32 s5, s5, _ZN2at6native25elementwise_kernel_helperILb0EZZZNS0_12_GLOBAL__N_121bessel_j0_kernel_cudaERNS_18TensorIteratorBaseEENKUlvE_clEvENKUlvE_clEvEUldE_NS0_6memory8policies10vectorizedILi4ESt5arrayIPcLm2EELi4EEEEEvT0_T1_@rel32@hi+12
	s_mov_b32 s12, s33
	v_mov_b32_e32 v31, v40
	v_mov_b32_e32 v0, s36
	;; [unrolled: 1-line block ×5, first 2 shown]
	s_swappc_b64 s[30:31], s[4:5]
	s_cbranch_execnz .LBB2_2
.LBB2_4:
	s_getpc_b64 s[4:5]
	s_add_u32 s4, s4, _ZN2at6native25elementwise_kernel_helperILb0EZZZNS0_12_GLOBAL__N_121bessel_j0_kernel_cudaERNS_18TensorIteratorBaseEENKUlvE_clEvENKUlvE_clEvEUldE_NS0_6memory8policies11unroll_baseILi256ESt5arrayIPcLm2EE23TrivialOffsetCalculatorILi1EjESF_NS8_15LoadWithoutCastENS8_16StoreWithoutCastELi4ELi1EEEEEvT0_T1_@rel32@lo+4
	s_addc_u32 s5, s5, _ZN2at6native25elementwise_kernel_helperILb0EZZZNS0_12_GLOBAL__N_121bessel_j0_kernel_cudaERNS_18TensorIteratorBaseEENKUlvE_clEvENKUlvE_clEvEUldE_NS0_6memory8policies11unroll_baseILi256ESt5arrayIPcLm2EE23TrivialOffsetCalculatorILi1EjESF_NS8_15LoadWithoutCastENS8_16StoreWithoutCastELi4ELi1EEEEEvT0_T1_@rel32@hi+12
	s_mov_b32 s12, s33
	v_mov_b32_e32 v31, v40
	v_mov_b32_e32 v0, s36
	;; [unrolled: 1-line block ×6, first 2 shown]
	s_swappc_b64 s[30:31], s[4:5]
	s_endpgm
	.section	.rodata,"a",@progbits
	.p2align	6, 0x0
	.amdhsa_kernel _ZN2at6native29vectorized_elementwise_kernelILi16EZZZNS0_12_GLOBAL__N_121bessel_j0_kernel_cudaERNS_18TensorIteratorBaseEENKUlvE_clEvENKUlvE_clEvEUldE_St5arrayIPcLm2EEEEviT0_T1_
		.amdhsa_group_segment_fixed_size 0
		.amdhsa_private_segment_fixed_size 0
		.amdhsa_kernarg_size 24
		.amdhsa_user_sgpr_count 6
		.amdhsa_user_sgpr_private_segment_buffer 1
		.amdhsa_user_sgpr_dispatch_ptr 0
		.amdhsa_user_sgpr_queue_ptr 0
		.amdhsa_user_sgpr_kernarg_segment_ptr 1
		.amdhsa_user_sgpr_dispatch_id 0
		.amdhsa_user_sgpr_flat_scratch_init 0
		.amdhsa_user_sgpr_private_segment_size 0
		.amdhsa_uses_dynamic_stack 0
		.amdhsa_system_sgpr_private_segment_wavefront_offset 0
		.amdhsa_system_sgpr_workgroup_id_x 1
		.amdhsa_system_sgpr_workgroup_id_y 0
		.amdhsa_system_sgpr_workgroup_id_z 0
		.amdhsa_system_sgpr_workgroup_info 0
		.amdhsa_system_vgpr_workitem_id 0
		.amdhsa_next_free_vgpr 84
		.amdhsa_next_free_sgpr 48
		.amdhsa_reserve_vcc 1
		.amdhsa_reserve_flat_scratch 0
		.amdhsa_float_round_mode_32 0
		.amdhsa_float_round_mode_16_64 0
		.amdhsa_float_denorm_mode_32 3
		.amdhsa_float_denorm_mode_16_64 3
		.amdhsa_dx10_clamp 1
		.amdhsa_ieee_mode 1
		.amdhsa_fp16_overflow 0
		.amdhsa_exception_fp_ieee_invalid_op 0
		.amdhsa_exception_fp_denorm_src 0
		.amdhsa_exception_fp_ieee_div_zero 0
		.amdhsa_exception_fp_ieee_overflow 0
		.amdhsa_exception_fp_ieee_underflow 0
		.amdhsa_exception_fp_ieee_inexact 0
		.amdhsa_exception_int_div_zero 0
	.end_amdhsa_kernel
	.section	.text._ZN2at6native29vectorized_elementwise_kernelILi16EZZZNS0_12_GLOBAL__N_121bessel_j0_kernel_cudaERNS_18TensorIteratorBaseEENKUlvE_clEvENKUlvE_clEvEUldE_St5arrayIPcLm2EEEEviT0_T1_,"axG",@progbits,_ZN2at6native29vectorized_elementwise_kernelILi16EZZZNS0_12_GLOBAL__N_121bessel_j0_kernel_cudaERNS_18TensorIteratorBaseEENKUlvE_clEvENKUlvE_clEvEUldE_St5arrayIPcLm2EEEEviT0_T1_,comdat
.Lfunc_end2:
	.size	_ZN2at6native29vectorized_elementwise_kernelILi16EZZZNS0_12_GLOBAL__N_121bessel_j0_kernel_cudaERNS_18TensorIteratorBaseEENKUlvE_clEvENKUlvE_clEvEUldE_St5arrayIPcLm2EEEEviT0_T1_, .Lfunc_end2-_ZN2at6native29vectorized_elementwise_kernelILi16EZZZNS0_12_GLOBAL__N_121bessel_j0_kernel_cudaERNS_18TensorIteratorBaseEENKUlvE_clEvENKUlvE_clEvEUldE_St5arrayIPcLm2EEEEviT0_T1_
                                        ; -- End function
	.set _ZN2at6native29vectorized_elementwise_kernelILi16EZZZNS0_12_GLOBAL__N_121bessel_j0_kernel_cudaERNS_18TensorIteratorBaseEENKUlvE_clEvENKUlvE_clEvEUldE_St5arrayIPcLm2EEEEviT0_T1_.num_vgpr, max(41, .L_ZN2at6native25elementwise_kernel_helperILb0EZZZNS0_12_GLOBAL__N_121bessel_j0_kernel_cudaERNS_18TensorIteratorBaseEENKUlvE_clEvENKUlvE_clEvEUldE_NS0_6memory8policies10vectorizedILi4ESt5arrayIPcLm2EELi4EEEEEvT0_T1_.num_vgpr, .L_ZN2at6native25elementwise_kernel_helperILb0EZZZNS0_12_GLOBAL__N_121bessel_j0_kernel_cudaERNS_18TensorIteratorBaseEENKUlvE_clEvENKUlvE_clEvEUldE_NS0_6memory8policies11unroll_baseILi256ESt5arrayIPcLm2EE23TrivialOffsetCalculatorILi1EjESF_NS8_15LoadWithoutCastENS8_16StoreWithoutCastELi4ELi1EEEEEvT0_T1_.num_vgpr)
	.set _ZN2at6native29vectorized_elementwise_kernelILi16EZZZNS0_12_GLOBAL__N_121bessel_j0_kernel_cudaERNS_18TensorIteratorBaseEENKUlvE_clEvENKUlvE_clEvEUldE_St5arrayIPcLm2EEEEviT0_T1_.num_agpr, max(0, .L_ZN2at6native25elementwise_kernel_helperILb0EZZZNS0_12_GLOBAL__N_121bessel_j0_kernel_cudaERNS_18TensorIteratorBaseEENKUlvE_clEvENKUlvE_clEvEUldE_NS0_6memory8policies10vectorizedILi4ESt5arrayIPcLm2EELi4EEEEEvT0_T1_.num_agpr, .L_ZN2at6native25elementwise_kernel_helperILb0EZZZNS0_12_GLOBAL__N_121bessel_j0_kernel_cudaERNS_18TensorIteratorBaseEENKUlvE_clEvENKUlvE_clEvEUldE_NS0_6memory8policies11unroll_baseILi256ESt5arrayIPcLm2EE23TrivialOffsetCalculatorILi1EjESF_NS8_15LoadWithoutCastENS8_16StoreWithoutCastELi4ELi1EEEEEvT0_T1_.num_agpr)
	.set _ZN2at6native29vectorized_elementwise_kernelILi16EZZZNS0_12_GLOBAL__N_121bessel_j0_kernel_cudaERNS_18TensorIteratorBaseEENKUlvE_clEvENKUlvE_clEvEUldE_St5arrayIPcLm2EEEEviT0_T1_.numbered_sgpr, max(40, .L_ZN2at6native25elementwise_kernel_helperILb0EZZZNS0_12_GLOBAL__N_121bessel_j0_kernel_cudaERNS_18TensorIteratorBaseEENKUlvE_clEvENKUlvE_clEvEUldE_NS0_6memory8policies10vectorizedILi4ESt5arrayIPcLm2EELi4EEEEEvT0_T1_.numbered_sgpr, .L_ZN2at6native25elementwise_kernel_helperILb0EZZZNS0_12_GLOBAL__N_121bessel_j0_kernel_cudaERNS_18TensorIteratorBaseEENKUlvE_clEvENKUlvE_clEvEUldE_NS0_6memory8policies11unroll_baseILi256ESt5arrayIPcLm2EE23TrivialOffsetCalculatorILi1EjESF_NS8_15LoadWithoutCastENS8_16StoreWithoutCastELi4ELi1EEEEEvT0_T1_.numbered_sgpr)
	.set _ZN2at6native29vectorized_elementwise_kernelILi16EZZZNS0_12_GLOBAL__N_121bessel_j0_kernel_cudaERNS_18TensorIteratorBaseEENKUlvE_clEvENKUlvE_clEvEUldE_St5arrayIPcLm2EEEEviT0_T1_.num_named_barrier, max(0, .L_ZN2at6native25elementwise_kernel_helperILb0EZZZNS0_12_GLOBAL__N_121bessel_j0_kernel_cudaERNS_18TensorIteratorBaseEENKUlvE_clEvENKUlvE_clEvEUldE_NS0_6memory8policies10vectorizedILi4ESt5arrayIPcLm2EELi4EEEEEvT0_T1_.num_named_barrier, .L_ZN2at6native25elementwise_kernel_helperILb0EZZZNS0_12_GLOBAL__N_121bessel_j0_kernel_cudaERNS_18TensorIteratorBaseEENKUlvE_clEvENKUlvE_clEvEUldE_NS0_6memory8policies11unroll_baseILi256ESt5arrayIPcLm2EE23TrivialOffsetCalculatorILi1EjESF_NS8_15LoadWithoutCastENS8_16StoreWithoutCastELi4ELi1EEEEEvT0_T1_.num_named_barrier)
	.set _ZN2at6native29vectorized_elementwise_kernelILi16EZZZNS0_12_GLOBAL__N_121bessel_j0_kernel_cudaERNS_18TensorIteratorBaseEENKUlvE_clEvENKUlvE_clEvEUldE_St5arrayIPcLm2EEEEviT0_T1_.private_seg_size, 0+max(.L_ZN2at6native25elementwise_kernel_helperILb0EZZZNS0_12_GLOBAL__N_121bessel_j0_kernel_cudaERNS_18TensorIteratorBaseEENKUlvE_clEvENKUlvE_clEvEUldE_NS0_6memory8policies10vectorizedILi4ESt5arrayIPcLm2EELi4EEEEEvT0_T1_.private_seg_size, .L_ZN2at6native25elementwise_kernel_helperILb0EZZZNS0_12_GLOBAL__N_121bessel_j0_kernel_cudaERNS_18TensorIteratorBaseEENKUlvE_clEvENKUlvE_clEvEUldE_NS0_6memory8policies11unroll_baseILi256ESt5arrayIPcLm2EE23TrivialOffsetCalculatorILi1EjESF_NS8_15LoadWithoutCastENS8_16StoreWithoutCastELi4ELi1EEEEEvT0_T1_.private_seg_size)
	.set _ZN2at6native29vectorized_elementwise_kernelILi16EZZZNS0_12_GLOBAL__N_121bessel_j0_kernel_cudaERNS_18TensorIteratorBaseEENKUlvE_clEvENKUlvE_clEvEUldE_St5arrayIPcLm2EEEEviT0_T1_.uses_vcc, or(1, .L_ZN2at6native25elementwise_kernel_helperILb0EZZZNS0_12_GLOBAL__N_121bessel_j0_kernel_cudaERNS_18TensorIteratorBaseEENKUlvE_clEvENKUlvE_clEvEUldE_NS0_6memory8policies10vectorizedILi4ESt5arrayIPcLm2EELi4EEEEEvT0_T1_.uses_vcc, .L_ZN2at6native25elementwise_kernel_helperILb0EZZZNS0_12_GLOBAL__N_121bessel_j0_kernel_cudaERNS_18TensorIteratorBaseEENKUlvE_clEvENKUlvE_clEvEUldE_NS0_6memory8policies11unroll_baseILi256ESt5arrayIPcLm2EE23TrivialOffsetCalculatorILi1EjESF_NS8_15LoadWithoutCastENS8_16StoreWithoutCastELi4ELi1EEEEEvT0_T1_.uses_vcc)
	.set _ZN2at6native29vectorized_elementwise_kernelILi16EZZZNS0_12_GLOBAL__N_121bessel_j0_kernel_cudaERNS_18TensorIteratorBaseEENKUlvE_clEvENKUlvE_clEvEUldE_St5arrayIPcLm2EEEEviT0_T1_.uses_flat_scratch, or(0, .L_ZN2at6native25elementwise_kernel_helperILb0EZZZNS0_12_GLOBAL__N_121bessel_j0_kernel_cudaERNS_18TensorIteratorBaseEENKUlvE_clEvENKUlvE_clEvEUldE_NS0_6memory8policies10vectorizedILi4ESt5arrayIPcLm2EELi4EEEEEvT0_T1_.uses_flat_scratch, .L_ZN2at6native25elementwise_kernel_helperILb0EZZZNS0_12_GLOBAL__N_121bessel_j0_kernel_cudaERNS_18TensorIteratorBaseEENKUlvE_clEvENKUlvE_clEvEUldE_NS0_6memory8policies11unroll_baseILi256ESt5arrayIPcLm2EE23TrivialOffsetCalculatorILi1EjESF_NS8_15LoadWithoutCastENS8_16StoreWithoutCastELi4ELi1EEEEEvT0_T1_.uses_flat_scratch)
	.set _ZN2at6native29vectorized_elementwise_kernelILi16EZZZNS0_12_GLOBAL__N_121bessel_j0_kernel_cudaERNS_18TensorIteratorBaseEENKUlvE_clEvENKUlvE_clEvEUldE_St5arrayIPcLm2EEEEviT0_T1_.has_dyn_sized_stack, or(0, .L_ZN2at6native25elementwise_kernel_helperILb0EZZZNS0_12_GLOBAL__N_121bessel_j0_kernel_cudaERNS_18TensorIteratorBaseEENKUlvE_clEvENKUlvE_clEvEUldE_NS0_6memory8policies10vectorizedILi4ESt5arrayIPcLm2EELi4EEEEEvT0_T1_.has_dyn_sized_stack, .L_ZN2at6native25elementwise_kernel_helperILb0EZZZNS0_12_GLOBAL__N_121bessel_j0_kernel_cudaERNS_18TensorIteratorBaseEENKUlvE_clEvENKUlvE_clEvEUldE_NS0_6memory8policies11unroll_baseILi256ESt5arrayIPcLm2EE23TrivialOffsetCalculatorILi1EjESF_NS8_15LoadWithoutCastENS8_16StoreWithoutCastELi4ELi1EEEEEvT0_T1_.has_dyn_sized_stack)
	.set _ZN2at6native29vectorized_elementwise_kernelILi16EZZZNS0_12_GLOBAL__N_121bessel_j0_kernel_cudaERNS_18TensorIteratorBaseEENKUlvE_clEvENKUlvE_clEvEUldE_St5arrayIPcLm2EEEEviT0_T1_.has_recursion, or(0, .L_ZN2at6native25elementwise_kernel_helperILb0EZZZNS0_12_GLOBAL__N_121bessel_j0_kernel_cudaERNS_18TensorIteratorBaseEENKUlvE_clEvENKUlvE_clEvEUldE_NS0_6memory8policies10vectorizedILi4ESt5arrayIPcLm2EELi4EEEEEvT0_T1_.has_recursion, .L_ZN2at6native25elementwise_kernel_helperILb0EZZZNS0_12_GLOBAL__N_121bessel_j0_kernel_cudaERNS_18TensorIteratorBaseEENKUlvE_clEvENKUlvE_clEvEUldE_NS0_6memory8policies11unroll_baseILi256ESt5arrayIPcLm2EE23TrivialOffsetCalculatorILi1EjESF_NS8_15LoadWithoutCastENS8_16StoreWithoutCastELi4ELi1EEEEEvT0_T1_.has_recursion)
	.set _ZN2at6native29vectorized_elementwise_kernelILi16EZZZNS0_12_GLOBAL__N_121bessel_j0_kernel_cudaERNS_18TensorIteratorBaseEENKUlvE_clEvENKUlvE_clEvEUldE_St5arrayIPcLm2EEEEviT0_T1_.has_indirect_call, or(0, .L_ZN2at6native25elementwise_kernel_helperILb0EZZZNS0_12_GLOBAL__N_121bessel_j0_kernel_cudaERNS_18TensorIteratorBaseEENKUlvE_clEvENKUlvE_clEvEUldE_NS0_6memory8policies10vectorizedILi4ESt5arrayIPcLm2EELi4EEEEEvT0_T1_.has_indirect_call, .L_ZN2at6native25elementwise_kernel_helperILb0EZZZNS0_12_GLOBAL__N_121bessel_j0_kernel_cudaERNS_18TensorIteratorBaseEENKUlvE_clEvENKUlvE_clEvEUldE_NS0_6memory8policies11unroll_baseILi256ESt5arrayIPcLm2EE23TrivialOffsetCalculatorILi1EjESF_NS8_15LoadWithoutCastENS8_16StoreWithoutCastELi4ELi1EEEEEvT0_T1_.has_indirect_call)
	.section	.AMDGPU.csdata,"",@progbits
; Kernel info:
; codeLenInByte = 180
; TotalNumSgprs: 52
; NumVgprs: 84
; ScratchSize: 0
; MemoryBound: 0
; FloatMode: 240
; IeeeMode: 1
; LDSByteSize: 0 bytes/workgroup (compile time only)
; SGPRBlocks: 6
; VGPRBlocks: 20
; NumSGPRsForWavesPerEU: 52
; NumVGPRsForWavesPerEU: 84
; Occupancy: 3
; WaveLimiterHint : 0
; COMPUTE_PGM_RSRC2:SCRATCH_EN: 0
; COMPUTE_PGM_RSRC2:USER_SGPR: 6
; COMPUTE_PGM_RSRC2:TRAP_HANDLER: 0
; COMPUTE_PGM_RSRC2:TGID_X_EN: 1
; COMPUTE_PGM_RSRC2:TGID_Y_EN: 0
; COMPUTE_PGM_RSRC2:TGID_Z_EN: 0
; COMPUTE_PGM_RSRC2:TIDIG_COMP_CNT: 0
	.section	.text._ZN2at6native29vectorized_elementwise_kernelILi8EZZZNS0_12_GLOBAL__N_121bessel_j0_kernel_cudaERNS_18TensorIteratorBaseEENKUlvE_clEvENKUlvE_clEvEUldE_St5arrayIPcLm2EEEEviT0_T1_,"axG",@progbits,_ZN2at6native29vectorized_elementwise_kernelILi8EZZZNS0_12_GLOBAL__N_121bessel_j0_kernel_cudaERNS_18TensorIteratorBaseEENKUlvE_clEvENKUlvE_clEvEUldE_St5arrayIPcLm2EEEEviT0_T1_,comdat
	.globl	_ZN2at6native29vectorized_elementwise_kernelILi8EZZZNS0_12_GLOBAL__N_121bessel_j0_kernel_cudaERNS_18TensorIteratorBaseEENKUlvE_clEvENKUlvE_clEvEUldE_St5arrayIPcLm2EEEEviT0_T1_ ; -- Begin function _ZN2at6native29vectorized_elementwise_kernelILi8EZZZNS0_12_GLOBAL__N_121bessel_j0_kernel_cudaERNS_18TensorIteratorBaseEENKUlvE_clEvENKUlvE_clEvEUldE_St5arrayIPcLm2EEEEviT0_T1_
	.p2align	8
	.type	_ZN2at6native29vectorized_elementwise_kernelILi8EZZZNS0_12_GLOBAL__N_121bessel_j0_kernel_cudaERNS_18TensorIteratorBaseEENKUlvE_clEvENKUlvE_clEvEUldE_St5arrayIPcLm2EEEEviT0_T1_,@function
_ZN2at6native29vectorized_elementwise_kernelILi8EZZZNS0_12_GLOBAL__N_121bessel_j0_kernel_cudaERNS_18TensorIteratorBaseEENKUlvE_clEvENKUlvE_clEvEUldE_St5arrayIPcLm2EEEEviT0_T1_: ; @_ZN2at6native29vectorized_elementwise_kernelILi8EZZZNS0_12_GLOBAL__N_121bessel_j0_kernel_cudaERNS_18TensorIteratorBaseEENKUlvE_clEvENKUlvE_clEvEUldE_St5arrayIPcLm2EEEEviT0_T1_
; %bb.0:
	s_mov_b32 s33, s6
	s_load_dword s6, s[4:5], 0x0
	s_load_dwordx4 s[36:39], s[4:5], 0x8
	s_add_u32 s0, s0, s7
	s_addc_u32 s1, s1, 0
	s_lshl_b32 s4, s33, 10
	s_waitcnt lgkmcnt(0)
	s_sub_i32 s34, s6, s4
	v_mov_b32_e32 v40, v0
	s_cmpk_gt_i32 s34, 0x3ff
	s_mov_b64 s[4:5], -1
	s_mov_b32 s32, 0
	s_cbranch_scc1 .LBB3_3
; %bb.1:
	s_andn2_b64 vcc, exec, s[4:5]
	s_cbranch_vccz .LBB3_4
.LBB3_2:
	s_endpgm
.LBB3_3:
	s_getpc_b64 s[4:5]
	s_add_u32 s4, s4, _ZN2at6native25elementwise_kernel_helperILb0EZZZNS0_12_GLOBAL__N_121bessel_j0_kernel_cudaERNS_18TensorIteratorBaseEENKUlvE_clEvENKUlvE_clEvEUldE_NS0_6memory8policies10vectorizedILi4ESt5arrayIPcLm2EELi4EEEEEvT0_T1_@rel32@lo+4
	s_addc_u32 s5, s5, _ZN2at6native25elementwise_kernel_helperILb0EZZZNS0_12_GLOBAL__N_121bessel_j0_kernel_cudaERNS_18TensorIteratorBaseEENKUlvE_clEvENKUlvE_clEvEUldE_NS0_6memory8policies10vectorizedILi4ESt5arrayIPcLm2EELi4EEEEEvT0_T1_@rel32@hi+12
	s_mov_b32 s12, s33
	v_mov_b32_e32 v31, v40
	v_mov_b32_e32 v0, s36
	;; [unrolled: 1-line block ×5, first 2 shown]
	s_swappc_b64 s[30:31], s[4:5]
	s_cbranch_execnz .LBB3_2
.LBB3_4:
	s_getpc_b64 s[4:5]
	s_add_u32 s4, s4, _ZN2at6native25elementwise_kernel_helperILb0EZZZNS0_12_GLOBAL__N_121bessel_j0_kernel_cudaERNS_18TensorIteratorBaseEENKUlvE_clEvENKUlvE_clEvEUldE_NS0_6memory8policies11unroll_baseILi256ESt5arrayIPcLm2EE23TrivialOffsetCalculatorILi1EjESF_NS8_15LoadWithoutCastENS8_16StoreWithoutCastELi4ELi1EEEEEvT0_T1_@rel32@lo+4
	s_addc_u32 s5, s5, _ZN2at6native25elementwise_kernel_helperILb0EZZZNS0_12_GLOBAL__N_121bessel_j0_kernel_cudaERNS_18TensorIteratorBaseEENKUlvE_clEvENKUlvE_clEvEUldE_NS0_6memory8policies11unroll_baseILi256ESt5arrayIPcLm2EE23TrivialOffsetCalculatorILi1EjESF_NS8_15LoadWithoutCastENS8_16StoreWithoutCastELi4ELi1EEEEEvT0_T1_@rel32@hi+12
	s_mov_b32 s12, s33
	v_mov_b32_e32 v31, v40
	v_mov_b32_e32 v0, s36
	;; [unrolled: 1-line block ×6, first 2 shown]
	s_swappc_b64 s[30:31], s[4:5]
	s_endpgm
	.section	.rodata,"a",@progbits
	.p2align	6, 0x0
	.amdhsa_kernel _ZN2at6native29vectorized_elementwise_kernelILi8EZZZNS0_12_GLOBAL__N_121bessel_j0_kernel_cudaERNS_18TensorIteratorBaseEENKUlvE_clEvENKUlvE_clEvEUldE_St5arrayIPcLm2EEEEviT0_T1_
		.amdhsa_group_segment_fixed_size 0
		.amdhsa_private_segment_fixed_size 0
		.amdhsa_kernarg_size 24
		.amdhsa_user_sgpr_count 6
		.amdhsa_user_sgpr_private_segment_buffer 1
		.amdhsa_user_sgpr_dispatch_ptr 0
		.amdhsa_user_sgpr_queue_ptr 0
		.amdhsa_user_sgpr_kernarg_segment_ptr 1
		.amdhsa_user_sgpr_dispatch_id 0
		.amdhsa_user_sgpr_flat_scratch_init 0
		.amdhsa_user_sgpr_private_segment_size 0
		.amdhsa_uses_dynamic_stack 0
		.amdhsa_system_sgpr_private_segment_wavefront_offset 0
		.amdhsa_system_sgpr_workgroup_id_x 1
		.amdhsa_system_sgpr_workgroup_id_y 0
		.amdhsa_system_sgpr_workgroup_id_z 0
		.amdhsa_system_sgpr_workgroup_info 0
		.amdhsa_system_vgpr_workitem_id 0
		.amdhsa_next_free_vgpr 84
		.amdhsa_next_free_sgpr 48
		.amdhsa_reserve_vcc 1
		.amdhsa_reserve_flat_scratch 0
		.amdhsa_float_round_mode_32 0
		.amdhsa_float_round_mode_16_64 0
		.amdhsa_float_denorm_mode_32 3
		.amdhsa_float_denorm_mode_16_64 3
		.amdhsa_dx10_clamp 1
		.amdhsa_ieee_mode 1
		.amdhsa_fp16_overflow 0
		.amdhsa_exception_fp_ieee_invalid_op 0
		.amdhsa_exception_fp_denorm_src 0
		.amdhsa_exception_fp_ieee_div_zero 0
		.amdhsa_exception_fp_ieee_overflow 0
		.amdhsa_exception_fp_ieee_underflow 0
		.amdhsa_exception_fp_ieee_inexact 0
		.amdhsa_exception_int_div_zero 0
	.end_amdhsa_kernel
	.section	.text._ZN2at6native29vectorized_elementwise_kernelILi8EZZZNS0_12_GLOBAL__N_121bessel_j0_kernel_cudaERNS_18TensorIteratorBaseEENKUlvE_clEvENKUlvE_clEvEUldE_St5arrayIPcLm2EEEEviT0_T1_,"axG",@progbits,_ZN2at6native29vectorized_elementwise_kernelILi8EZZZNS0_12_GLOBAL__N_121bessel_j0_kernel_cudaERNS_18TensorIteratorBaseEENKUlvE_clEvENKUlvE_clEvEUldE_St5arrayIPcLm2EEEEviT0_T1_,comdat
.Lfunc_end3:
	.size	_ZN2at6native29vectorized_elementwise_kernelILi8EZZZNS0_12_GLOBAL__N_121bessel_j0_kernel_cudaERNS_18TensorIteratorBaseEENKUlvE_clEvENKUlvE_clEvEUldE_St5arrayIPcLm2EEEEviT0_T1_, .Lfunc_end3-_ZN2at6native29vectorized_elementwise_kernelILi8EZZZNS0_12_GLOBAL__N_121bessel_j0_kernel_cudaERNS_18TensorIteratorBaseEENKUlvE_clEvENKUlvE_clEvEUldE_St5arrayIPcLm2EEEEviT0_T1_
                                        ; -- End function
	.set _ZN2at6native29vectorized_elementwise_kernelILi8EZZZNS0_12_GLOBAL__N_121bessel_j0_kernel_cudaERNS_18TensorIteratorBaseEENKUlvE_clEvENKUlvE_clEvEUldE_St5arrayIPcLm2EEEEviT0_T1_.num_vgpr, max(41, .L_ZN2at6native25elementwise_kernel_helperILb0EZZZNS0_12_GLOBAL__N_121bessel_j0_kernel_cudaERNS_18TensorIteratorBaseEENKUlvE_clEvENKUlvE_clEvEUldE_NS0_6memory8policies10vectorizedILi4ESt5arrayIPcLm2EELi4EEEEEvT0_T1_.num_vgpr, .L_ZN2at6native25elementwise_kernel_helperILb0EZZZNS0_12_GLOBAL__N_121bessel_j0_kernel_cudaERNS_18TensorIteratorBaseEENKUlvE_clEvENKUlvE_clEvEUldE_NS0_6memory8policies11unroll_baseILi256ESt5arrayIPcLm2EE23TrivialOffsetCalculatorILi1EjESF_NS8_15LoadWithoutCastENS8_16StoreWithoutCastELi4ELi1EEEEEvT0_T1_.num_vgpr)
	.set _ZN2at6native29vectorized_elementwise_kernelILi8EZZZNS0_12_GLOBAL__N_121bessel_j0_kernel_cudaERNS_18TensorIteratorBaseEENKUlvE_clEvENKUlvE_clEvEUldE_St5arrayIPcLm2EEEEviT0_T1_.num_agpr, max(0, .L_ZN2at6native25elementwise_kernel_helperILb0EZZZNS0_12_GLOBAL__N_121bessel_j0_kernel_cudaERNS_18TensorIteratorBaseEENKUlvE_clEvENKUlvE_clEvEUldE_NS0_6memory8policies10vectorizedILi4ESt5arrayIPcLm2EELi4EEEEEvT0_T1_.num_agpr, .L_ZN2at6native25elementwise_kernel_helperILb0EZZZNS0_12_GLOBAL__N_121bessel_j0_kernel_cudaERNS_18TensorIteratorBaseEENKUlvE_clEvENKUlvE_clEvEUldE_NS0_6memory8policies11unroll_baseILi256ESt5arrayIPcLm2EE23TrivialOffsetCalculatorILi1EjESF_NS8_15LoadWithoutCastENS8_16StoreWithoutCastELi4ELi1EEEEEvT0_T1_.num_agpr)
	.set _ZN2at6native29vectorized_elementwise_kernelILi8EZZZNS0_12_GLOBAL__N_121bessel_j0_kernel_cudaERNS_18TensorIteratorBaseEENKUlvE_clEvENKUlvE_clEvEUldE_St5arrayIPcLm2EEEEviT0_T1_.numbered_sgpr, max(40, .L_ZN2at6native25elementwise_kernel_helperILb0EZZZNS0_12_GLOBAL__N_121bessel_j0_kernel_cudaERNS_18TensorIteratorBaseEENKUlvE_clEvENKUlvE_clEvEUldE_NS0_6memory8policies10vectorizedILi4ESt5arrayIPcLm2EELi4EEEEEvT0_T1_.numbered_sgpr, .L_ZN2at6native25elementwise_kernel_helperILb0EZZZNS0_12_GLOBAL__N_121bessel_j0_kernel_cudaERNS_18TensorIteratorBaseEENKUlvE_clEvENKUlvE_clEvEUldE_NS0_6memory8policies11unroll_baseILi256ESt5arrayIPcLm2EE23TrivialOffsetCalculatorILi1EjESF_NS8_15LoadWithoutCastENS8_16StoreWithoutCastELi4ELi1EEEEEvT0_T1_.numbered_sgpr)
	.set _ZN2at6native29vectorized_elementwise_kernelILi8EZZZNS0_12_GLOBAL__N_121bessel_j0_kernel_cudaERNS_18TensorIteratorBaseEENKUlvE_clEvENKUlvE_clEvEUldE_St5arrayIPcLm2EEEEviT0_T1_.num_named_barrier, max(0, .L_ZN2at6native25elementwise_kernel_helperILb0EZZZNS0_12_GLOBAL__N_121bessel_j0_kernel_cudaERNS_18TensorIteratorBaseEENKUlvE_clEvENKUlvE_clEvEUldE_NS0_6memory8policies10vectorizedILi4ESt5arrayIPcLm2EELi4EEEEEvT0_T1_.num_named_barrier, .L_ZN2at6native25elementwise_kernel_helperILb0EZZZNS0_12_GLOBAL__N_121bessel_j0_kernel_cudaERNS_18TensorIteratorBaseEENKUlvE_clEvENKUlvE_clEvEUldE_NS0_6memory8policies11unroll_baseILi256ESt5arrayIPcLm2EE23TrivialOffsetCalculatorILi1EjESF_NS8_15LoadWithoutCastENS8_16StoreWithoutCastELi4ELi1EEEEEvT0_T1_.num_named_barrier)
	.set _ZN2at6native29vectorized_elementwise_kernelILi8EZZZNS0_12_GLOBAL__N_121bessel_j0_kernel_cudaERNS_18TensorIteratorBaseEENKUlvE_clEvENKUlvE_clEvEUldE_St5arrayIPcLm2EEEEviT0_T1_.private_seg_size, 0+max(.L_ZN2at6native25elementwise_kernel_helperILb0EZZZNS0_12_GLOBAL__N_121bessel_j0_kernel_cudaERNS_18TensorIteratorBaseEENKUlvE_clEvENKUlvE_clEvEUldE_NS0_6memory8policies10vectorizedILi4ESt5arrayIPcLm2EELi4EEEEEvT0_T1_.private_seg_size, .L_ZN2at6native25elementwise_kernel_helperILb0EZZZNS0_12_GLOBAL__N_121bessel_j0_kernel_cudaERNS_18TensorIteratorBaseEENKUlvE_clEvENKUlvE_clEvEUldE_NS0_6memory8policies11unroll_baseILi256ESt5arrayIPcLm2EE23TrivialOffsetCalculatorILi1EjESF_NS8_15LoadWithoutCastENS8_16StoreWithoutCastELi4ELi1EEEEEvT0_T1_.private_seg_size)
	.set _ZN2at6native29vectorized_elementwise_kernelILi8EZZZNS0_12_GLOBAL__N_121bessel_j0_kernel_cudaERNS_18TensorIteratorBaseEENKUlvE_clEvENKUlvE_clEvEUldE_St5arrayIPcLm2EEEEviT0_T1_.uses_vcc, or(1, .L_ZN2at6native25elementwise_kernel_helperILb0EZZZNS0_12_GLOBAL__N_121bessel_j0_kernel_cudaERNS_18TensorIteratorBaseEENKUlvE_clEvENKUlvE_clEvEUldE_NS0_6memory8policies10vectorizedILi4ESt5arrayIPcLm2EELi4EEEEEvT0_T1_.uses_vcc, .L_ZN2at6native25elementwise_kernel_helperILb0EZZZNS0_12_GLOBAL__N_121bessel_j0_kernel_cudaERNS_18TensorIteratorBaseEENKUlvE_clEvENKUlvE_clEvEUldE_NS0_6memory8policies11unroll_baseILi256ESt5arrayIPcLm2EE23TrivialOffsetCalculatorILi1EjESF_NS8_15LoadWithoutCastENS8_16StoreWithoutCastELi4ELi1EEEEEvT0_T1_.uses_vcc)
	.set _ZN2at6native29vectorized_elementwise_kernelILi8EZZZNS0_12_GLOBAL__N_121bessel_j0_kernel_cudaERNS_18TensorIteratorBaseEENKUlvE_clEvENKUlvE_clEvEUldE_St5arrayIPcLm2EEEEviT0_T1_.uses_flat_scratch, or(0, .L_ZN2at6native25elementwise_kernel_helperILb0EZZZNS0_12_GLOBAL__N_121bessel_j0_kernel_cudaERNS_18TensorIteratorBaseEENKUlvE_clEvENKUlvE_clEvEUldE_NS0_6memory8policies10vectorizedILi4ESt5arrayIPcLm2EELi4EEEEEvT0_T1_.uses_flat_scratch, .L_ZN2at6native25elementwise_kernel_helperILb0EZZZNS0_12_GLOBAL__N_121bessel_j0_kernel_cudaERNS_18TensorIteratorBaseEENKUlvE_clEvENKUlvE_clEvEUldE_NS0_6memory8policies11unroll_baseILi256ESt5arrayIPcLm2EE23TrivialOffsetCalculatorILi1EjESF_NS8_15LoadWithoutCastENS8_16StoreWithoutCastELi4ELi1EEEEEvT0_T1_.uses_flat_scratch)
	.set _ZN2at6native29vectorized_elementwise_kernelILi8EZZZNS0_12_GLOBAL__N_121bessel_j0_kernel_cudaERNS_18TensorIteratorBaseEENKUlvE_clEvENKUlvE_clEvEUldE_St5arrayIPcLm2EEEEviT0_T1_.has_dyn_sized_stack, or(0, .L_ZN2at6native25elementwise_kernel_helperILb0EZZZNS0_12_GLOBAL__N_121bessel_j0_kernel_cudaERNS_18TensorIteratorBaseEENKUlvE_clEvENKUlvE_clEvEUldE_NS0_6memory8policies10vectorizedILi4ESt5arrayIPcLm2EELi4EEEEEvT0_T1_.has_dyn_sized_stack, .L_ZN2at6native25elementwise_kernel_helperILb0EZZZNS0_12_GLOBAL__N_121bessel_j0_kernel_cudaERNS_18TensorIteratorBaseEENKUlvE_clEvENKUlvE_clEvEUldE_NS0_6memory8policies11unroll_baseILi256ESt5arrayIPcLm2EE23TrivialOffsetCalculatorILi1EjESF_NS8_15LoadWithoutCastENS8_16StoreWithoutCastELi4ELi1EEEEEvT0_T1_.has_dyn_sized_stack)
	.set _ZN2at6native29vectorized_elementwise_kernelILi8EZZZNS0_12_GLOBAL__N_121bessel_j0_kernel_cudaERNS_18TensorIteratorBaseEENKUlvE_clEvENKUlvE_clEvEUldE_St5arrayIPcLm2EEEEviT0_T1_.has_recursion, or(0, .L_ZN2at6native25elementwise_kernel_helperILb0EZZZNS0_12_GLOBAL__N_121bessel_j0_kernel_cudaERNS_18TensorIteratorBaseEENKUlvE_clEvENKUlvE_clEvEUldE_NS0_6memory8policies10vectorizedILi4ESt5arrayIPcLm2EELi4EEEEEvT0_T1_.has_recursion, .L_ZN2at6native25elementwise_kernel_helperILb0EZZZNS0_12_GLOBAL__N_121bessel_j0_kernel_cudaERNS_18TensorIteratorBaseEENKUlvE_clEvENKUlvE_clEvEUldE_NS0_6memory8policies11unroll_baseILi256ESt5arrayIPcLm2EE23TrivialOffsetCalculatorILi1EjESF_NS8_15LoadWithoutCastENS8_16StoreWithoutCastELi4ELi1EEEEEvT0_T1_.has_recursion)
	.set _ZN2at6native29vectorized_elementwise_kernelILi8EZZZNS0_12_GLOBAL__N_121bessel_j0_kernel_cudaERNS_18TensorIteratorBaseEENKUlvE_clEvENKUlvE_clEvEUldE_St5arrayIPcLm2EEEEviT0_T1_.has_indirect_call, or(0, .L_ZN2at6native25elementwise_kernel_helperILb0EZZZNS0_12_GLOBAL__N_121bessel_j0_kernel_cudaERNS_18TensorIteratorBaseEENKUlvE_clEvENKUlvE_clEvEUldE_NS0_6memory8policies10vectorizedILi4ESt5arrayIPcLm2EELi4EEEEEvT0_T1_.has_indirect_call, .L_ZN2at6native25elementwise_kernel_helperILb0EZZZNS0_12_GLOBAL__N_121bessel_j0_kernel_cudaERNS_18TensorIteratorBaseEENKUlvE_clEvENKUlvE_clEvEUldE_NS0_6memory8policies11unroll_baseILi256ESt5arrayIPcLm2EE23TrivialOffsetCalculatorILi1EjESF_NS8_15LoadWithoutCastENS8_16StoreWithoutCastELi4ELi1EEEEEvT0_T1_.has_indirect_call)
	.section	.AMDGPU.csdata,"",@progbits
; Kernel info:
; codeLenInByte = 180
; TotalNumSgprs: 52
; NumVgprs: 84
; ScratchSize: 0
; MemoryBound: 0
; FloatMode: 240
; IeeeMode: 1
; LDSByteSize: 0 bytes/workgroup (compile time only)
; SGPRBlocks: 6
; VGPRBlocks: 20
; NumSGPRsForWavesPerEU: 52
; NumVGPRsForWavesPerEU: 84
; Occupancy: 3
; WaveLimiterHint : 0
; COMPUTE_PGM_RSRC2:SCRATCH_EN: 0
; COMPUTE_PGM_RSRC2:USER_SGPR: 6
; COMPUTE_PGM_RSRC2:TRAP_HANDLER: 0
; COMPUTE_PGM_RSRC2:TGID_X_EN: 1
; COMPUTE_PGM_RSRC2:TGID_Y_EN: 0
; COMPUTE_PGM_RSRC2:TGID_Z_EN: 0
; COMPUTE_PGM_RSRC2:TIDIG_COMP_CNT: 0
	.section	.text._ZN2at6native29vectorized_elementwise_kernelILi4EZZZNS0_12_GLOBAL__N_121bessel_j0_kernel_cudaERNS_18TensorIteratorBaseEENKUlvE_clEvENKUlvE_clEvEUldE_St5arrayIPcLm2EEEEviT0_T1_,"axG",@progbits,_ZN2at6native29vectorized_elementwise_kernelILi4EZZZNS0_12_GLOBAL__N_121bessel_j0_kernel_cudaERNS_18TensorIteratorBaseEENKUlvE_clEvENKUlvE_clEvEUldE_St5arrayIPcLm2EEEEviT0_T1_,comdat
	.globl	_ZN2at6native29vectorized_elementwise_kernelILi4EZZZNS0_12_GLOBAL__N_121bessel_j0_kernel_cudaERNS_18TensorIteratorBaseEENKUlvE_clEvENKUlvE_clEvEUldE_St5arrayIPcLm2EEEEviT0_T1_ ; -- Begin function _ZN2at6native29vectorized_elementwise_kernelILi4EZZZNS0_12_GLOBAL__N_121bessel_j0_kernel_cudaERNS_18TensorIteratorBaseEENKUlvE_clEvENKUlvE_clEvEUldE_St5arrayIPcLm2EEEEviT0_T1_
	.p2align	8
	.type	_ZN2at6native29vectorized_elementwise_kernelILi4EZZZNS0_12_GLOBAL__N_121bessel_j0_kernel_cudaERNS_18TensorIteratorBaseEENKUlvE_clEvENKUlvE_clEvEUldE_St5arrayIPcLm2EEEEviT0_T1_,@function
_ZN2at6native29vectorized_elementwise_kernelILi4EZZZNS0_12_GLOBAL__N_121bessel_j0_kernel_cudaERNS_18TensorIteratorBaseEENKUlvE_clEvENKUlvE_clEvEUldE_St5arrayIPcLm2EEEEviT0_T1_: ; @_ZN2at6native29vectorized_elementwise_kernelILi4EZZZNS0_12_GLOBAL__N_121bessel_j0_kernel_cudaERNS_18TensorIteratorBaseEENKUlvE_clEvENKUlvE_clEvEUldE_St5arrayIPcLm2EEEEviT0_T1_
; %bb.0:
	s_mov_b32 s33, s6
	s_load_dword s6, s[4:5], 0x0
	s_load_dwordx4 s[36:39], s[4:5], 0x8
	s_add_u32 s0, s0, s7
	s_addc_u32 s1, s1, 0
	s_lshl_b32 s4, s33, 10
	s_waitcnt lgkmcnt(0)
	s_sub_i32 s34, s6, s4
	v_mov_b32_e32 v40, v0
	s_cmpk_gt_i32 s34, 0x3ff
	s_mov_b64 s[4:5], -1
	s_mov_b32 s32, 0
	s_cbranch_scc1 .LBB4_3
; %bb.1:
	s_andn2_b64 vcc, exec, s[4:5]
	s_cbranch_vccz .LBB4_4
.LBB4_2:
	s_endpgm
.LBB4_3:
	s_getpc_b64 s[4:5]
	s_add_u32 s4, s4, _ZN2at6native25elementwise_kernel_helperILb0EZZZNS0_12_GLOBAL__N_121bessel_j0_kernel_cudaERNS_18TensorIteratorBaseEENKUlvE_clEvENKUlvE_clEvEUldE_NS0_6memory8policies10vectorizedILi4ESt5arrayIPcLm2EELi4EEEEEvT0_T1_@rel32@lo+4
	s_addc_u32 s5, s5, _ZN2at6native25elementwise_kernel_helperILb0EZZZNS0_12_GLOBAL__N_121bessel_j0_kernel_cudaERNS_18TensorIteratorBaseEENKUlvE_clEvENKUlvE_clEvEUldE_NS0_6memory8policies10vectorizedILi4ESt5arrayIPcLm2EELi4EEEEEvT0_T1_@rel32@hi+12
	s_mov_b32 s12, s33
	v_mov_b32_e32 v31, v40
	v_mov_b32_e32 v0, s36
	;; [unrolled: 1-line block ×5, first 2 shown]
	s_swappc_b64 s[30:31], s[4:5]
	s_cbranch_execnz .LBB4_2
.LBB4_4:
	s_getpc_b64 s[4:5]
	s_add_u32 s4, s4, _ZN2at6native25elementwise_kernel_helperILb0EZZZNS0_12_GLOBAL__N_121bessel_j0_kernel_cudaERNS_18TensorIteratorBaseEENKUlvE_clEvENKUlvE_clEvEUldE_NS0_6memory8policies11unroll_baseILi256ESt5arrayIPcLm2EE23TrivialOffsetCalculatorILi1EjESF_NS8_15LoadWithoutCastENS8_16StoreWithoutCastELi4ELi1EEEEEvT0_T1_@rel32@lo+4
	s_addc_u32 s5, s5, _ZN2at6native25elementwise_kernel_helperILb0EZZZNS0_12_GLOBAL__N_121bessel_j0_kernel_cudaERNS_18TensorIteratorBaseEENKUlvE_clEvENKUlvE_clEvEUldE_NS0_6memory8policies11unroll_baseILi256ESt5arrayIPcLm2EE23TrivialOffsetCalculatorILi1EjESF_NS8_15LoadWithoutCastENS8_16StoreWithoutCastELi4ELi1EEEEEvT0_T1_@rel32@hi+12
	s_mov_b32 s12, s33
	v_mov_b32_e32 v31, v40
	v_mov_b32_e32 v0, s36
	;; [unrolled: 1-line block ×6, first 2 shown]
	s_swappc_b64 s[30:31], s[4:5]
	s_endpgm
	.section	.rodata,"a",@progbits
	.p2align	6, 0x0
	.amdhsa_kernel _ZN2at6native29vectorized_elementwise_kernelILi4EZZZNS0_12_GLOBAL__N_121bessel_j0_kernel_cudaERNS_18TensorIteratorBaseEENKUlvE_clEvENKUlvE_clEvEUldE_St5arrayIPcLm2EEEEviT0_T1_
		.amdhsa_group_segment_fixed_size 0
		.amdhsa_private_segment_fixed_size 0
		.amdhsa_kernarg_size 24
		.amdhsa_user_sgpr_count 6
		.amdhsa_user_sgpr_private_segment_buffer 1
		.amdhsa_user_sgpr_dispatch_ptr 0
		.amdhsa_user_sgpr_queue_ptr 0
		.amdhsa_user_sgpr_kernarg_segment_ptr 1
		.amdhsa_user_sgpr_dispatch_id 0
		.amdhsa_user_sgpr_flat_scratch_init 0
		.amdhsa_user_sgpr_private_segment_size 0
		.amdhsa_uses_dynamic_stack 0
		.amdhsa_system_sgpr_private_segment_wavefront_offset 0
		.amdhsa_system_sgpr_workgroup_id_x 1
		.amdhsa_system_sgpr_workgroup_id_y 0
		.amdhsa_system_sgpr_workgroup_id_z 0
		.amdhsa_system_sgpr_workgroup_info 0
		.amdhsa_system_vgpr_workitem_id 0
		.amdhsa_next_free_vgpr 84
		.amdhsa_next_free_sgpr 48
		.amdhsa_reserve_vcc 1
		.amdhsa_reserve_flat_scratch 0
		.amdhsa_float_round_mode_32 0
		.amdhsa_float_round_mode_16_64 0
		.amdhsa_float_denorm_mode_32 3
		.amdhsa_float_denorm_mode_16_64 3
		.amdhsa_dx10_clamp 1
		.amdhsa_ieee_mode 1
		.amdhsa_fp16_overflow 0
		.amdhsa_exception_fp_ieee_invalid_op 0
		.amdhsa_exception_fp_denorm_src 0
		.amdhsa_exception_fp_ieee_div_zero 0
		.amdhsa_exception_fp_ieee_overflow 0
		.amdhsa_exception_fp_ieee_underflow 0
		.amdhsa_exception_fp_ieee_inexact 0
		.amdhsa_exception_int_div_zero 0
	.end_amdhsa_kernel
	.section	.text._ZN2at6native29vectorized_elementwise_kernelILi4EZZZNS0_12_GLOBAL__N_121bessel_j0_kernel_cudaERNS_18TensorIteratorBaseEENKUlvE_clEvENKUlvE_clEvEUldE_St5arrayIPcLm2EEEEviT0_T1_,"axG",@progbits,_ZN2at6native29vectorized_elementwise_kernelILi4EZZZNS0_12_GLOBAL__N_121bessel_j0_kernel_cudaERNS_18TensorIteratorBaseEENKUlvE_clEvENKUlvE_clEvEUldE_St5arrayIPcLm2EEEEviT0_T1_,comdat
.Lfunc_end4:
	.size	_ZN2at6native29vectorized_elementwise_kernelILi4EZZZNS0_12_GLOBAL__N_121bessel_j0_kernel_cudaERNS_18TensorIteratorBaseEENKUlvE_clEvENKUlvE_clEvEUldE_St5arrayIPcLm2EEEEviT0_T1_, .Lfunc_end4-_ZN2at6native29vectorized_elementwise_kernelILi4EZZZNS0_12_GLOBAL__N_121bessel_j0_kernel_cudaERNS_18TensorIteratorBaseEENKUlvE_clEvENKUlvE_clEvEUldE_St5arrayIPcLm2EEEEviT0_T1_
                                        ; -- End function
	.set _ZN2at6native29vectorized_elementwise_kernelILi4EZZZNS0_12_GLOBAL__N_121bessel_j0_kernel_cudaERNS_18TensorIteratorBaseEENKUlvE_clEvENKUlvE_clEvEUldE_St5arrayIPcLm2EEEEviT0_T1_.num_vgpr, max(41, .L_ZN2at6native25elementwise_kernel_helperILb0EZZZNS0_12_GLOBAL__N_121bessel_j0_kernel_cudaERNS_18TensorIteratorBaseEENKUlvE_clEvENKUlvE_clEvEUldE_NS0_6memory8policies10vectorizedILi4ESt5arrayIPcLm2EELi4EEEEEvT0_T1_.num_vgpr, .L_ZN2at6native25elementwise_kernel_helperILb0EZZZNS0_12_GLOBAL__N_121bessel_j0_kernel_cudaERNS_18TensorIteratorBaseEENKUlvE_clEvENKUlvE_clEvEUldE_NS0_6memory8policies11unroll_baseILi256ESt5arrayIPcLm2EE23TrivialOffsetCalculatorILi1EjESF_NS8_15LoadWithoutCastENS8_16StoreWithoutCastELi4ELi1EEEEEvT0_T1_.num_vgpr)
	.set _ZN2at6native29vectorized_elementwise_kernelILi4EZZZNS0_12_GLOBAL__N_121bessel_j0_kernel_cudaERNS_18TensorIteratorBaseEENKUlvE_clEvENKUlvE_clEvEUldE_St5arrayIPcLm2EEEEviT0_T1_.num_agpr, max(0, .L_ZN2at6native25elementwise_kernel_helperILb0EZZZNS0_12_GLOBAL__N_121bessel_j0_kernel_cudaERNS_18TensorIteratorBaseEENKUlvE_clEvENKUlvE_clEvEUldE_NS0_6memory8policies10vectorizedILi4ESt5arrayIPcLm2EELi4EEEEEvT0_T1_.num_agpr, .L_ZN2at6native25elementwise_kernel_helperILb0EZZZNS0_12_GLOBAL__N_121bessel_j0_kernel_cudaERNS_18TensorIteratorBaseEENKUlvE_clEvENKUlvE_clEvEUldE_NS0_6memory8policies11unroll_baseILi256ESt5arrayIPcLm2EE23TrivialOffsetCalculatorILi1EjESF_NS8_15LoadWithoutCastENS8_16StoreWithoutCastELi4ELi1EEEEEvT0_T1_.num_agpr)
	.set _ZN2at6native29vectorized_elementwise_kernelILi4EZZZNS0_12_GLOBAL__N_121bessel_j0_kernel_cudaERNS_18TensorIteratorBaseEENKUlvE_clEvENKUlvE_clEvEUldE_St5arrayIPcLm2EEEEviT0_T1_.numbered_sgpr, max(40, .L_ZN2at6native25elementwise_kernel_helperILb0EZZZNS0_12_GLOBAL__N_121bessel_j0_kernel_cudaERNS_18TensorIteratorBaseEENKUlvE_clEvENKUlvE_clEvEUldE_NS0_6memory8policies10vectorizedILi4ESt5arrayIPcLm2EELi4EEEEEvT0_T1_.numbered_sgpr, .L_ZN2at6native25elementwise_kernel_helperILb0EZZZNS0_12_GLOBAL__N_121bessel_j0_kernel_cudaERNS_18TensorIteratorBaseEENKUlvE_clEvENKUlvE_clEvEUldE_NS0_6memory8policies11unroll_baseILi256ESt5arrayIPcLm2EE23TrivialOffsetCalculatorILi1EjESF_NS8_15LoadWithoutCastENS8_16StoreWithoutCastELi4ELi1EEEEEvT0_T1_.numbered_sgpr)
	.set _ZN2at6native29vectorized_elementwise_kernelILi4EZZZNS0_12_GLOBAL__N_121bessel_j0_kernel_cudaERNS_18TensorIteratorBaseEENKUlvE_clEvENKUlvE_clEvEUldE_St5arrayIPcLm2EEEEviT0_T1_.num_named_barrier, max(0, .L_ZN2at6native25elementwise_kernel_helperILb0EZZZNS0_12_GLOBAL__N_121bessel_j0_kernel_cudaERNS_18TensorIteratorBaseEENKUlvE_clEvENKUlvE_clEvEUldE_NS0_6memory8policies10vectorizedILi4ESt5arrayIPcLm2EELi4EEEEEvT0_T1_.num_named_barrier, .L_ZN2at6native25elementwise_kernel_helperILb0EZZZNS0_12_GLOBAL__N_121bessel_j0_kernel_cudaERNS_18TensorIteratorBaseEENKUlvE_clEvENKUlvE_clEvEUldE_NS0_6memory8policies11unroll_baseILi256ESt5arrayIPcLm2EE23TrivialOffsetCalculatorILi1EjESF_NS8_15LoadWithoutCastENS8_16StoreWithoutCastELi4ELi1EEEEEvT0_T1_.num_named_barrier)
	.set _ZN2at6native29vectorized_elementwise_kernelILi4EZZZNS0_12_GLOBAL__N_121bessel_j0_kernel_cudaERNS_18TensorIteratorBaseEENKUlvE_clEvENKUlvE_clEvEUldE_St5arrayIPcLm2EEEEviT0_T1_.private_seg_size, 0+max(.L_ZN2at6native25elementwise_kernel_helperILb0EZZZNS0_12_GLOBAL__N_121bessel_j0_kernel_cudaERNS_18TensorIteratorBaseEENKUlvE_clEvENKUlvE_clEvEUldE_NS0_6memory8policies10vectorizedILi4ESt5arrayIPcLm2EELi4EEEEEvT0_T1_.private_seg_size, .L_ZN2at6native25elementwise_kernel_helperILb0EZZZNS0_12_GLOBAL__N_121bessel_j0_kernel_cudaERNS_18TensorIteratorBaseEENKUlvE_clEvENKUlvE_clEvEUldE_NS0_6memory8policies11unroll_baseILi256ESt5arrayIPcLm2EE23TrivialOffsetCalculatorILi1EjESF_NS8_15LoadWithoutCastENS8_16StoreWithoutCastELi4ELi1EEEEEvT0_T1_.private_seg_size)
	.set _ZN2at6native29vectorized_elementwise_kernelILi4EZZZNS0_12_GLOBAL__N_121bessel_j0_kernel_cudaERNS_18TensorIteratorBaseEENKUlvE_clEvENKUlvE_clEvEUldE_St5arrayIPcLm2EEEEviT0_T1_.uses_vcc, or(1, .L_ZN2at6native25elementwise_kernel_helperILb0EZZZNS0_12_GLOBAL__N_121bessel_j0_kernel_cudaERNS_18TensorIteratorBaseEENKUlvE_clEvENKUlvE_clEvEUldE_NS0_6memory8policies10vectorizedILi4ESt5arrayIPcLm2EELi4EEEEEvT0_T1_.uses_vcc, .L_ZN2at6native25elementwise_kernel_helperILb0EZZZNS0_12_GLOBAL__N_121bessel_j0_kernel_cudaERNS_18TensorIteratorBaseEENKUlvE_clEvENKUlvE_clEvEUldE_NS0_6memory8policies11unroll_baseILi256ESt5arrayIPcLm2EE23TrivialOffsetCalculatorILi1EjESF_NS8_15LoadWithoutCastENS8_16StoreWithoutCastELi4ELi1EEEEEvT0_T1_.uses_vcc)
	.set _ZN2at6native29vectorized_elementwise_kernelILi4EZZZNS0_12_GLOBAL__N_121bessel_j0_kernel_cudaERNS_18TensorIteratorBaseEENKUlvE_clEvENKUlvE_clEvEUldE_St5arrayIPcLm2EEEEviT0_T1_.uses_flat_scratch, or(0, .L_ZN2at6native25elementwise_kernel_helperILb0EZZZNS0_12_GLOBAL__N_121bessel_j0_kernel_cudaERNS_18TensorIteratorBaseEENKUlvE_clEvENKUlvE_clEvEUldE_NS0_6memory8policies10vectorizedILi4ESt5arrayIPcLm2EELi4EEEEEvT0_T1_.uses_flat_scratch, .L_ZN2at6native25elementwise_kernel_helperILb0EZZZNS0_12_GLOBAL__N_121bessel_j0_kernel_cudaERNS_18TensorIteratorBaseEENKUlvE_clEvENKUlvE_clEvEUldE_NS0_6memory8policies11unroll_baseILi256ESt5arrayIPcLm2EE23TrivialOffsetCalculatorILi1EjESF_NS8_15LoadWithoutCastENS8_16StoreWithoutCastELi4ELi1EEEEEvT0_T1_.uses_flat_scratch)
	.set _ZN2at6native29vectorized_elementwise_kernelILi4EZZZNS0_12_GLOBAL__N_121bessel_j0_kernel_cudaERNS_18TensorIteratorBaseEENKUlvE_clEvENKUlvE_clEvEUldE_St5arrayIPcLm2EEEEviT0_T1_.has_dyn_sized_stack, or(0, .L_ZN2at6native25elementwise_kernel_helperILb0EZZZNS0_12_GLOBAL__N_121bessel_j0_kernel_cudaERNS_18TensorIteratorBaseEENKUlvE_clEvENKUlvE_clEvEUldE_NS0_6memory8policies10vectorizedILi4ESt5arrayIPcLm2EELi4EEEEEvT0_T1_.has_dyn_sized_stack, .L_ZN2at6native25elementwise_kernel_helperILb0EZZZNS0_12_GLOBAL__N_121bessel_j0_kernel_cudaERNS_18TensorIteratorBaseEENKUlvE_clEvENKUlvE_clEvEUldE_NS0_6memory8policies11unroll_baseILi256ESt5arrayIPcLm2EE23TrivialOffsetCalculatorILi1EjESF_NS8_15LoadWithoutCastENS8_16StoreWithoutCastELi4ELi1EEEEEvT0_T1_.has_dyn_sized_stack)
	.set _ZN2at6native29vectorized_elementwise_kernelILi4EZZZNS0_12_GLOBAL__N_121bessel_j0_kernel_cudaERNS_18TensorIteratorBaseEENKUlvE_clEvENKUlvE_clEvEUldE_St5arrayIPcLm2EEEEviT0_T1_.has_recursion, or(0, .L_ZN2at6native25elementwise_kernel_helperILb0EZZZNS0_12_GLOBAL__N_121bessel_j0_kernel_cudaERNS_18TensorIteratorBaseEENKUlvE_clEvENKUlvE_clEvEUldE_NS0_6memory8policies10vectorizedILi4ESt5arrayIPcLm2EELi4EEEEEvT0_T1_.has_recursion, .L_ZN2at6native25elementwise_kernel_helperILb0EZZZNS0_12_GLOBAL__N_121bessel_j0_kernel_cudaERNS_18TensorIteratorBaseEENKUlvE_clEvENKUlvE_clEvEUldE_NS0_6memory8policies11unroll_baseILi256ESt5arrayIPcLm2EE23TrivialOffsetCalculatorILi1EjESF_NS8_15LoadWithoutCastENS8_16StoreWithoutCastELi4ELi1EEEEEvT0_T1_.has_recursion)
	.set _ZN2at6native29vectorized_elementwise_kernelILi4EZZZNS0_12_GLOBAL__N_121bessel_j0_kernel_cudaERNS_18TensorIteratorBaseEENKUlvE_clEvENKUlvE_clEvEUldE_St5arrayIPcLm2EEEEviT0_T1_.has_indirect_call, or(0, .L_ZN2at6native25elementwise_kernel_helperILb0EZZZNS0_12_GLOBAL__N_121bessel_j0_kernel_cudaERNS_18TensorIteratorBaseEENKUlvE_clEvENKUlvE_clEvEUldE_NS0_6memory8policies10vectorizedILi4ESt5arrayIPcLm2EELi4EEEEEvT0_T1_.has_indirect_call, .L_ZN2at6native25elementwise_kernel_helperILb0EZZZNS0_12_GLOBAL__N_121bessel_j0_kernel_cudaERNS_18TensorIteratorBaseEENKUlvE_clEvENKUlvE_clEvEUldE_NS0_6memory8policies11unroll_baseILi256ESt5arrayIPcLm2EE23TrivialOffsetCalculatorILi1EjESF_NS8_15LoadWithoutCastENS8_16StoreWithoutCastELi4ELi1EEEEEvT0_T1_.has_indirect_call)
	.section	.AMDGPU.csdata,"",@progbits
; Kernel info:
; codeLenInByte = 180
; TotalNumSgprs: 52
; NumVgprs: 84
; ScratchSize: 0
; MemoryBound: 0
; FloatMode: 240
; IeeeMode: 1
; LDSByteSize: 0 bytes/workgroup (compile time only)
; SGPRBlocks: 6
; VGPRBlocks: 20
; NumSGPRsForWavesPerEU: 52
; NumVGPRsForWavesPerEU: 84
; Occupancy: 3
; WaveLimiterHint : 0
; COMPUTE_PGM_RSRC2:SCRATCH_EN: 0
; COMPUTE_PGM_RSRC2:USER_SGPR: 6
; COMPUTE_PGM_RSRC2:TRAP_HANDLER: 0
; COMPUTE_PGM_RSRC2:TGID_X_EN: 1
; COMPUTE_PGM_RSRC2:TGID_Y_EN: 0
; COMPUTE_PGM_RSRC2:TGID_Z_EN: 0
; COMPUTE_PGM_RSRC2:TIDIG_COMP_CNT: 0
	.section	.text._ZN2at6native29vectorized_elementwise_kernelILi2EZZZNS0_12_GLOBAL__N_121bessel_j0_kernel_cudaERNS_18TensorIteratorBaseEENKUlvE_clEvENKUlvE_clEvEUldE_St5arrayIPcLm2EEEEviT0_T1_,"axG",@progbits,_ZN2at6native29vectorized_elementwise_kernelILi2EZZZNS0_12_GLOBAL__N_121bessel_j0_kernel_cudaERNS_18TensorIteratorBaseEENKUlvE_clEvENKUlvE_clEvEUldE_St5arrayIPcLm2EEEEviT0_T1_,comdat
	.globl	_ZN2at6native29vectorized_elementwise_kernelILi2EZZZNS0_12_GLOBAL__N_121bessel_j0_kernel_cudaERNS_18TensorIteratorBaseEENKUlvE_clEvENKUlvE_clEvEUldE_St5arrayIPcLm2EEEEviT0_T1_ ; -- Begin function _ZN2at6native29vectorized_elementwise_kernelILi2EZZZNS0_12_GLOBAL__N_121bessel_j0_kernel_cudaERNS_18TensorIteratorBaseEENKUlvE_clEvENKUlvE_clEvEUldE_St5arrayIPcLm2EEEEviT0_T1_
	.p2align	8
	.type	_ZN2at6native29vectorized_elementwise_kernelILi2EZZZNS0_12_GLOBAL__N_121bessel_j0_kernel_cudaERNS_18TensorIteratorBaseEENKUlvE_clEvENKUlvE_clEvEUldE_St5arrayIPcLm2EEEEviT0_T1_,@function
_ZN2at6native29vectorized_elementwise_kernelILi2EZZZNS0_12_GLOBAL__N_121bessel_j0_kernel_cudaERNS_18TensorIteratorBaseEENKUlvE_clEvENKUlvE_clEvEUldE_St5arrayIPcLm2EEEEviT0_T1_: ; @_ZN2at6native29vectorized_elementwise_kernelILi2EZZZNS0_12_GLOBAL__N_121bessel_j0_kernel_cudaERNS_18TensorIteratorBaseEENKUlvE_clEvENKUlvE_clEvEUldE_St5arrayIPcLm2EEEEviT0_T1_
; %bb.0:
	s_add_u32 s0, s0, s7
	s_load_dword s7, s[4:5], 0x0
	s_load_dwordx4 s[8:11], s[4:5], 0x8
	s_addc_u32 s1, s1, 0
	s_lshl_b32 s4, s6, 10
	s_mov_b64 s[12:13], -1
	s_waitcnt lgkmcnt(0)
	s_sub_i32 s7, s7, s4
	s_cmpk_gt_i32 s7, 0x3ff
	s_mov_b32 s32, 0
	s_cbranch_scc0 .LBB5_10
; %bb.1:
	s_ashr_i32 s5, s4, 31
	s_lshl_b64 s[12:13], s[4:5], 3
	s_add_u32 s4, s10, s12
	s_addc_u32 s5, s11, s13
	v_lshlrev_b32_e32 v27, 4, v0
	global_load_dwordx4 v[7:10], v27, s[4:5]
	v_mov_b32_e32 v1, s5
	v_add_co_u32_e32 v2, vcc, s4, v27
	v_addc_co_u32_e32 v3, vcc, 0, v1, vcc
	v_add_co_u32_e32 v1, vcc, 0x1000, v2
	v_addc_co_u32_e32 v2, vcc, 0, v3, vcc
	global_load_dwordx4 v[1:4], v[1:2], off
	s_mov_b32 s4, 0
	s_mov_b32 s5, 0x40140000
	s_waitcnt vmcnt(1)
	v_cmp_gt_f64_e32 vcc, 0, v[7:8]
	v_xor_b32_e32 v5, 0x80000000, v8
	v_cndmask_b32_e32 v8, v8, v5, vcc
	v_cmp_ge_f64_e32 vcc, s[4:5], v[7:8]
	v_mul_f64 v[19:20], v[7:8], v[7:8]
                                        ; implicit-def: $vgpr5_vgpr6
	s_and_saveexec_b64 s[4:5], vcc
	s_xor_b64 s[4:5], exec, s[4:5]
	s_cbranch_execz .LBB5_7
; %bb.2:
	s_mov_b32 s14, 0x88e368f1
	s_mov_b32 s15, 0x3ee4f8b5
	v_cmp_ngt_f64_e32 vcc, s[14:15], v[7:8]
                                        ; implicit-def: $vgpr5_vgpr6
	s_and_saveexec_b64 s[14:15], vcc
	s_xor_b64 s[14:15], exec, s[14:15]
	s_cbranch_execz .LBB5_4
; %bb.3:
	v_mov_b32_e32 v5, 0xa696b78c
	v_mov_b32_e32 v6, 0x407f3902
	v_fma_f64 v[5:6], v[19:20], 0, v[5:6]
	s_mov_b32 s16, 0x36a21a67
	s_mov_b32 s17, 0x410536cb
	;; [unrolled: 1-line block ×3, first 2 shown]
	v_mov_b32_e32 v7, 0xad1c8325
	v_mov_b32_e32 v8, 0xc1f1dc53
	s_mov_b32 s19, 0x4204d5b0
	v_fma_f64 v[7:8], v[19:20], 0, v[7:8]
	v_fma_f64 v[5:6], v[19:20], v[5:6], s[16:17]
	s_mov_b32 s16, 0x2eac0634
	s_mov_b32 s17, 0x41871934
	;; [unrolled: 1-line block ×6, first 2 shown]
	v_fma_f64 v[5:6], v[19:20], v[5:6], s[16:17]
	s_mov_b32 s16, 0xc772990d
	s_mov_b32 s17, 0x427c7751
	v_fma_f64 v[7:8], v[19:20], v[7:8], s[16:17]
	s_mov_b32 s16, 0x80462bbb
	s_mov_b32 s17, 0xc01721fb
	v_add_f64 v[11:12], v[19:20], s[16:17]
	s_mov_b32 s16, 0x7e7b2e9c
	v_fma_f64 v[5:6], v[19:20], v[5:6], s[18:19]
	s_mov_b32 s18, 0xe0d900f7
	s_mov_b32 s19, 0xc2ec5614
	v_fma_f64 v[7:8], v[19:20], v[7:8], s[18:19]
	s_mov_b32 s18, 0x69ff5fb4
	s_mov_b32 s17, 0x435c4141
	;; [unrolled: 1-line block ×3, first 2 shown]
	v_fma_f64 v[5:6], v[19:20], v[5:6], s[20:21]
	s_mov_b32 s20, 0xa621dd6f
	s_mov_b32 s21, 0xc03e78a4
	v_add_f64 v[13:14], v[19:20], s[20:21]
	v_fma_f64 v[7:8], v[19:20], v[7:8], s[18:19]
	v_fma_f64 v[5:6], v[19:20], v[5:6], s[22:23]
	v_mul_f64 v[11:12], v[11:12], v[13:14]
	v_fma_f64 v[5:6], v[19:20], v[5:6], s[16:17]
	s_mov_b32 s16, 0xc7b662cc
	s_mov_b32 s17, 0x43b7be34
	v_mul_f64 v[7:8], v[11:12], v[7:8]
	v_fma_f64 v[5:6], v[19:20], v[5:6], s[16:17]
                                        ; implicit-def: $vgpr19_vgpr20
	v_div_scale_f64 v[11:12], s[16:17], v[5:6], v[5:6], v[7:8]
	v_div_scale_f64 v[17:18], vcc, v[7:8], v[5:6], v[7:8]
	v_rcp_f64_e32 v[13:14], v[11:12]
	v_fma_f64 v[15:16], -v[11:12], v[13:14], 1.0
	v_fma_f64 v[13:14], v[13:14], v[15:16], v[13:14]
	v_fma_f64 v[15:16], -v[11:12], v[13:14], 1.0
	v_fma_f64 v[13:14], v[13:14], v[15:16], v[13:14]
	v_mul_f64 v[15:16], v[17:18], v[13:14]
	v_fma_f64 v[11:12], -v[11:12], v[15:16], v[17:18]
	v_div_fmas_f64 v[11:12], v[11:12], v[13:14], v[15:16]
	v_div_fixup_f64 v[5:6], v[11:12], v[5:6], v[7:8]
.LBB5_4:
	s_andn2_saveexec_b64 s[14:15], s[14:15]
	s_cbranch_execz .LBB5_6
; %bb.5:
	s_mov_b32 s16, 0
	s_mov_b32 s17, 0xbfd00000
	v_fma_f64 v[5:6], v[19:20], s[16:17], 1.0
.LBB5_6:
	s_or_b64 exec, exec, s[14:15]
                                        ; implicit-def: $vgpr19_vgpr20
.LBB5_7:
	s_andn2_saveexec_b64 s[14:15], s[4:5]
	s_cbranch_execz .LBB5_19
; %bb.8:
	s_mov_b32 s19, 0xbfe921fb
	s_mov_b32 s18, 0x54442d18
	v_add_f64 v[5:6], v[7:8], s[18:19]
	s_mov_b32 s4, 0
	s_mov_b32 s5, 0x41d00000
                                        ; implicit-def: $vgpr29
                                        ; implicit-def: $vgpr15_vgpr16
                                        ; implicit-def: $vgpr17_vgpr18
	v_trig_preop_f64 v[25:26], |v[5:6]|, 0
	v_trig_preop_f64 v[23:24], |v[5:6]|, 1
	;; [unrolled: 1-line block ×3, first 2 shown]
	v_cmp_nlt_f64_e64 s[16:17], |v[5:6]|, s[4:5]
	s_and_saveexec_b64 s[4:5], s[16:17]
	s_xor_b64 s[20:21], exec, s[4:5]
	s_cbranch_execz .LBB5_12
; %bb.9:
	s_mov_b32 s4, 0
	s_mov_b32 s5, 0x7b000000
	s_movk_i32 s19, 0xff80
	v_ldexp_f64 v[11:12], |v[5:6]|, s19
	v_cmp_ge_f64_e64 vcc, |v[5:6]|, s[4:5]
	v_and_b32_e32 v13, 0x7fffffff, v6
	s_mov_b32 s4, 0
	s_mov_b32 s5, 0x7ff00000
	v_mov_b32_e32 v41, 0x40100000
	v_mov_b32_e32 v40, 0
	s_mov_b32 s19, 0x3ff921fb
	v_cndmask_b32_e32 v12, v13, v12, vcc
	v_cndmask_b32_e32 v11, v5, v11, vcc
	v_mul_f64 v[13:14], v[25:26], v[11:12]
	v_mul_f64 v[15:16], v[23:24], v[11:12]
	;; [unrolled: 1-line block ×3, first 2 shown]
	v_fma_f64 v[17:18], v[25:26], v[11:12], -v[13:14]
	v_fma_f64 v[36:37], v[23:24], v[11:12], -v[15:16]
	;; [unrolled: 1-line block ×3, first 2 shown]
	v_add_f64 v[28:29], v[15:16], v[17:18]
	v_add_f64 v[30:31], v[28:29], -v[15:16]
	v_add_f64 v[38:39], v[13:14], v[28:29]
	v_add_f64 v[32:33], v[28:29], -v[30:31]
	v_add_f64 v[17:18], v[17:18], -v[30:31]
	v_add_f64 v[30:31], v[34:35], v[36:37]
	v_add_f64 v[13:14], v[38:39], -v[13:14]
	v_add_f64 v[15:16], v[15:16], -v[32:33]
	v_ldexp_f64 v[32:33], v[38:39], -2
	v_add_f64 v[42:43], v[30:31], -v[34:35]
	v_add_f64 v[13:14], v[28:29], -v[13:14]
	v_add_f64 v[15:16], v[17:18], v[15:16]
	v_fract_f64_e32 v[17:18], v[32:33]
	v_cmp_neq_f64_e64 vcc, |v[32:33]|, s[4:5]
	v_add_f64 v[36:37], v[36:37], -v[42:43]
	v_add_f64 v[28:29], v[30:31], v[15:16]
	v_ldexp_f64 v[17:18], v[17:18], 2
	v_add_f64 v[32:33], v[13:14], v[28:29]
	v_cndmask_b32_e32 v18, 0, v18, vcc
	v_cndmask_b32_e32 v17, 0, v17, vcc
	v_add_f64 v[44:45], v[28:29], -v[30:31]
	v_add_f64 v[38:39], v[32:33], v[17:18]
	v_add_f64 v[13:14], v[32:33], -v[13:14]
	v_add_f64 v[46:47], v[28:29], -v[44:45]
	;; [unrolled: 1-line block ×3, first 2 shown]
	v_cmp_gt_f64_e32 vcc, 0, v[38:39]
	v_add_f64 v[38:39], v[30:31], -v[42:43]
	v_add_f64 v[13:14], v[28:29], -v[13:14]
	;; [unrolled: 1-line block ×3, first 2 shown]
	v_cndmask_b32_e32 v41, 0, v41, vcc
	v_add_f64 v[17:18], v[17:18], v[40:41]
	v_add_f64 v[38:39], v[34:35], -v[38:39]
	v_add_f64 v[15:16], v[15:16], v[30:31]
	v_add_f64 v[48:49], v[32:33], v[17:18]
	;; [unrolled: 1-line block ×3, first 2 shown]
	v_cvt_i32_f64_e32 v43, v[48:49]
	v_add_f64 v[15:16], v[36:37], v[15:16]
	v_cvt_f64_i32_e32 v[41:42], v43
	v_add_f64 v[17:18], v[17:18], -v[41:42]
	v_add_f64 v[11:12], v[11:12], v[15:16]
	v_add_f64 v[30:31], v[32:33], v[17:18]
	;; [unrolled: 1-line block ×3, first 2 shown]
	v_add_f64 v[15:16], v[30:31], -v[17:18]
	v_cmp_le_f64_e32 vcc, 0.5, v[30:31]
	v_add_f64 v[13:14], v[32:33], -v[15:16]
	v_mov_b32_e32 v15, 0x3ff00000
	v_cndmask_b32_e32 v41, 0, v15, vcc
	v_addc_co_u32_e64 v29, s[4:5], 0, v43, vcc
	s_mov_b32 s4, 0x33145c07
	s_mov_b32 s5, 0x3c91a626
	v_add_f64 v[11:12], v[11:12], v[13:14]
	v_add_f64 v[13:14], v[30:31], -v[40:41]
	v_add_f64 v[15:16], v[13:14], v[11:12]
	v_mul_f64 v[17:18], v[15:16], s[18:19]
	v_add_f64 v[13:14], v[15:16], -v[13:14]
	v_fma_f64 v[30:31], v[15:16], s[18:19], -v[17:18]
	v_add_f64 v[11:12], v[11:12], -v[13:14]
	v_fma_f64 v[13:14], v[15:16], s[4:5], v[30:31]
	v_fma_f64 v[11:12], v[11:12], s[18:19], v[13:14]
	v_add_f64 v[15:16], v[17:18], v[11:12]
	v_add_f64 v[13:14], v[15:16], -v[17:18]
	v_add_f64 v[17:18], v[11:12], -v[13:14]
	s_andn2_saveexec_b64 s[4:5], s[20:21]
	s_cbranch_execz .LBB5_14
	s_branch .LBB5_13
.LBB5_10:
	s_and_b64 vcc, exec, s[12:13]
	s_cbranch_vccz .LBB5_68
; %bb.11:
	s_getpc_b64 s[4:5]
	s_add_u32 s4, s4, _ZN2at6native25elementwise_kernel_helperILb0EZZZNS0_12_GLOBAL__N_121bessel_j0_kernel_cudaERNS_18TensorIteratorBaseEENKUlvE_clEvENKUlvE_clEvEUldE_NS0_6memory8policies11unroll_baseILi256ESt5arrayIPcLm2EE23TrivialOffsetCalculatorILi1EjESF_NS8_15LoadWithoutCastENS8_16StoreWithoutCastELi4ELi1EEEEEvT0_T1_@rel32@lo+4
	s_addc_u32 s5, s5, _ZN2at6native25elementwise_kernel_helperILb0EZZZNS0_12_GLOBAL__N_121bessel_j0_kernel_cudaERNS_18TensorIteratorBaseEENKUlvE_clEvENKUlvE_clEvEUldE_NS0_6memory8policies11unroll_baseILi256ESt5arrayIPcLm2EE23TrivialOffsetCalculatorILi1EjESF_NS8_15LoadWithoutCastENS8_16StoreWithoutCastELi4ELi1EEEEEvT0_T1_@rel32@hi+12
	s_mov_b32 s12, s6
	v_mov_b32_e32 v31, v0
	v_mov_b32_e32 v0, s8
	;; [unrolled: 1-line block ×6, first 2 shown]
	s_swappc_b64 s[30:31], s[4:5]
	s_endpgm
.LBB5_12:
	s_andn2_saveexec_b64 s[4:5], s[20:21]
	s_cbranch_execz .LBB5_14
.LBB5_13:
	s_mov_b32 s18, 0x6dc9c883
	s_mov_b32 s19, 0x3fe45f30
	v_mul_f64 v[11:12], |v[5:6]|, s[18:19]
	s_mov_b32 s18, 0x54442d18
	s_mov_b32 s19, 0xbff921fb
	;; [unrolled: 1-line block ×4, first 2 shown]
	v_rndne_f64_e32 v[11:12], v[11:12]
	v_fma_f64 v[13:14], v[11:12], s[18:19], |v[5:6]|
	v_mul_f64 v[15:16], v[11:12], s[20:21]
	s_mov_b32 s18, 0x252049c0
	s_mov_b32 s19, 0xb97b839a
	v_add_f64 v[17:18], v[13:14], v[15:16]
	v_add_f64 v[28:29], v[13:14], -v[17:18]
	v_fma_f64 v[13:14], v[11:12], s[20:21], v[13:14]
	s_mov_b32 s21, 0x3c91a626
	v_add_f64 v[28:29], v[28:29], v[15:16]
	v_add_f64 v[17:18], v[17:18], -v[13:14]
	v_fma_f64 v[15:16], v[11:12], s[20:21], v[15:16]
	v_add_f64 v[17:18], v[17:18], v[28:29]
	v_cvt_i32_f64_e32 v29, v[11:12]
	v_add_f64 v[15:16], v[17:18], -v[15:16]
	v_fma_f64 v[17:18], v[11:12], s[18:19], v[15:16]
	v_add_f64 v[15:16], v[13:14], v[17:18]
	v_add_f64 v[13:14], v[15:16], -v[13:14]
	v_add_f64 v[17:18], v[17:18], -v[13:14]
.LBB5_14:
	s_or_b64 exec, exec, s[4:5]
                                        ; implicit-def: $vgpr28
                                        ; implicit-def: $vgpr11_vgpr12
                                        ; implicit-def: $vgpr13_vgpr14
	s_and_saveexec_b64 s[4:5], s[16:17]
	s_xor_b64 s[4:5], exec, s[4:5]
	s_cbranch_execz .LBB5_16
; %bb.15:
	s_mov_b32 s16, 0
	s_mov_b32 s17, 0x7b000000
	s_movk_i32 s18, 0xff80
	v_ldexp_f64 v[11:12], |v[5:6]|, s18
	v_cmp_ge_f64_e64 vcc, |v[5:6]|, s[16:17]
	v_and_b32_e32 v13, 0x7fffffff, v6
	s_mov_b32 s16, 0
	s_mov_b32 s17, 0x7ff00000
	v_mov_b32_e32 v28, 0x40100000
	v_mov_b32_e32 v42, 0
	s_mov_b32 s18, 0x33145c07
	s_mov_b32 s19, 0x3c91a626
	v_cndmask_b32_e32 v12, v13, v12, vcc
	v_cndmask_b32_e32 v11, v5, v11, vcc
	v_mul_f64 v[13:14], v[25:26], v[11:12]
	v_mul_f64 v[30:31], v[23:24], v[11:12]
	v_mul_f64 v[38:39], v[21:22], v[11:12]
	v_fma_f64 v[25:26], v[25:26], v[11:12], -v[13:14]
	v_fma_f64 v[23:24], v[23:24], v[11:12], -v[30:31]
	;; [unrolled: 1-line block ×3, first 2 shown]
	v_add_f64 v[32:33], v[30:31], v[25:26]
	v_add_f64 v[34:35], v[32:33], -v[30:31]
	v_add_f64 v[40:41], v[13:14], v[32:33]
	v_add_f64 v[36:37], v[32:33], -v[34:35]
	v_add_f64 v[25:26], v[25:26], -v[34:35]
	v_add_f64 v[34:35], v[38:39], v[23:24]
	v_add_f64 v[13:14], v[40:41], -v[13:14]
	v_add_f64 v[30:31], v[30:31], -v[36:37]
	v_ldexp_f64 v[36:37], v[40:41], -2
	v_add_f64 v[13:14], v[32:33], -v[13:14]
	v_add_f64 v[25:26], v[25:26], v[30:31]
	v_fract_f64_e32 v[30:31], v[36:37]
	v_cmp_neq_f64_e64 vcc, |v[36:37]|, s[16:17]
	s_mov_b32 s16, 0x54442d18
	s_mov_b32 s17, 0x3ff921fb
	v_add_f64 v[32:33], v[34:35], v[25:26]
	v_ldexp_f64 v[30:31], v[30:31], 2
	v_add_f64 v[36:37], v[13:14], v[32:33]
	v_cndmask_b32_e32 v31, 0, v31, vcc
	v_cndmask_b32_e32 v30, 0, v30, vcc
	v_add_f64 v[44:45], v[32:33], -v[34:35]
	v_add_f64 v[40:41], v[36:37], v[30:31]
	v_add_f64 v[13:14], v[36:37], -v[13:14]
	v_add_f64 v[48:49], v[32:33], -v[44:45]
	;; [unrolled: 1-line block ×3, first 2 shown]
	v_cmp_gt_f64_e32 vcc, 0, v[40:41]
	v_add_f64 v[40:41], v[34:35], -v[38:39]
	v_add_f64 v[13:14], v[32:33], -v[13:14]
	v_cndmask_b32_e32 v43, 0, v28, vcc
	v_add_f64 v[30:31], v[30:31], v[42:43]
	v_add_f64 v[46:47], v[34:35], -v[40:41]
	v_add_f64 v[23:24], v[23:24], -v[40:41]
	;; [unrolled: 1-line block ×3, first 2 shown]
	v_add_f64 v[50:51], v[36:37], v[30:31]
	v_add_f64 v[40:41], v[38:39], -v[46:47]
	v_add_f64 v[25:26], v[25:26], v[34:35]
	v_cvt_i32_f64_e32 v28, v[50:51]
	v_add_f64 v[23:24], v[23:24], v[40:41]
	v_cvt_f64_i32_e32 v[43:44], v28
	v_add_f64 v[30:31], v[30:31], -v[43:44]
	v_add_f64 v[21:22], v[23:24], v[25:26]
	v_add_f64 v[23:24], v[36:37], v[30:31]
	;; [unrolled: 1-line block ×3, first 2 shown]
	v_add_f64 v[21:22], v[23:24], -v[30:31]
	v_cmp_le_f64_e32 vcc, 0.5, v[23:24]
	v_add_f64 v[11:12], v[13:14], v[11:12]
	v_add_f64 v[13:14], v[36:37], -v[21:22]
	v_mov_b32_e32 v21, 0x3ff00000
	v_cndmask_b32_e32 v43, 0, v21, vcc
	v_addc_co_u32_e32 v28, vcc, 0, v28, vcc
	v_add_f64 v[11:12], v[11:12], v[13:14]
	v_add_f64 v[13:14], v[23:24], -v[42:43]
	v_add_f64 v[21:22], v[13:14], v[11:12]
	v_mul_f64 v[23:24], v[21:22], s[16:17]
	v_add_f64 v[13:14], v[21:22], -v[13:14]
	v_fma_f64 v[25:26], v[21:22], s[16:17], -v[23:24]
	v_add_f64 v[11:12], v[11:12], -v[13:14]
	v_fma_f64 v[13:14], v[21:22], s[18:19], v[25:26]
	v_fma_f64 v[13:14], v[11:12], s[16:17], v[13:14]
	v_add_f64 v[11:12], v[23:24], v[13:14]
	v_add_f64 v[21:22], v[11:12], -v[23:24]
	v_add_f64 v[13:14], v[13:14], -v[21:22]
	s_andn2_saveexec_b64 s[4:5], s[4:5]
	s_cbranch_execnz .LBB5_17
	s_branch .LBB5_18
.LBB5_16:
	s_andn2_saveexec_b64 s[4:5], s[4:5]
	s_cbranch_execz .LBB5_18
.LBB5_17:
	s_mov_b32 s16, 0x6dc9c883
	s_mov_b32 s17, 0x3fe45f30
	v_mul_f64 v[11:12], |v[5:6]|, s[16:17]
	s_mov_b32 s16, 0x54442d18
	s_mov_b32 s17, 0xbff921fb
	;; [unrolled: 1-line block ×4, first 2 shown]
	v_rndne_f64_e32 v[21:22], v[11:12]
	v_fma_f64 v[11:12], v[21:22], s[16:17], |v[5:6]|
	v_mul_f64 v[13:14], v[21:22], s[18:19]
	s_mov_b32 s16, 0x252049c0
	s_mov_b32 s17, 0xb97b839a
	v_cvt_i32_f64_e32 v28, v[21:22]
	v_fma_f64 v[30:31], v[21:22], s[18:19], v[11:12]
	v_add_f64 v[23:24], v[11:12], v[13:14]
	s_mov_b32 s19, 0x3c91a626
	v_add_f64 v[25:26], v[11:12], -v[23:24]
	v_add_f64 v[23:24], v[23:24], -v[30:31]
	v_add_f64 v[11:12], v[25:26], v[13:14]
	v_fma_f64 v[13:14], v[21:22], s[18:19], v[13:14]
	v_add_f64 v[11:12], v[23:24], v[11:12]
	v_add_f64 v[11:12], v[11:12], -v[13:14]
	v_fma_f64 v[13:14], v[21:22], s[16:17], v[11:12]
	v_add_f64 v[11:12], v[30:31], v[13:14]
	v_add_f64 v[23:24], v[11:12], -v[30:31]
	v_add_f64 v[13:14], v[13:14], -v[23:24]
.LBB5_18:
	s_or_b64 exec, exec, s[4:5]
	s_mov_b32 s4, 0
	s_mov_b32 s5, 0x40390000
	v_div_scale_f64 v[21:22], s[16:17], v[19:20], v[19:20], s[4:5]
	s_mov_b32 s16, 0x46cc5e42
	s_mov_b32 s17, 0xbda907db
	;; [unrolled: 1-line block ×14, first 2 shown]
	v_rcp_f64_e32 v[23:24], v[21:22]
	s_mov_b32 s30, 0x19e83e5c
	s_mov_b32 s31, 0xbf2a01a0
	s_mov_b32 s34, 0x11110bb3
	s_mov_b32 s35, 0x3f811111
	v_mul_f64 v[40:41], v[17:18], 0.5
	s_mov_b32 s37, 0xbfc55555
	s_mov_b32 s36, s24
	;; [unrolled: 1-line block ×4, first 2 shown]
	v_fma_f64 v[25:26], -v[21:22], v[23:24], 1.0
	v_fma_f64 v[23:24], v[23:24], v[25:26], v[23:24]
	v_fma_f64 v[25:26], -v[21:22], v[23:24], 1.0
	v_fma_f64 v[23:24], v[23:24], v[25:26], v[23:24]
	v_div_scale_f64 v[25:26], vcc, s[4:5], v[19:20], s[4:5]
	v_mul_f64 v[30:31], v[25:26], v[23:24]
	v_fma_f64 v[21:22], -v[21:22], v[30:31], v[25:26]
	s_nop 1
	v_div_fmas_f64 v[21:22], v[21:22], v[23:24], v[30:31]
	v_mov_b32_e32 v30, 0x413c25ac
	v_mov_b32_e32 v31, 0x40501457
	v_div_fixup_f64 v[21:22], v[21:22], v[19:20], s[4:5]
	v_mov_b32_e32 v19, 0x983b6b27
	v_mov_b32_e32 v20, 0x3f4a1d30
	s_mov_b32 s4, 0xb35dd1cf
	s_mov_b32 s5, 0x3fb534b0
	v_fma_f64 v[19:20], v[21:22], 0, v[19:20]
	v_fma_f64 v[30:31], v[21:22], 0, v[30:31]
	;; [unrolled: 1-line block ×3, first 2 shown]
	s_mov_b32 s4, 0x4e680b98
	s_mov_b32 s5, 0x3ff3d521
	v_fma_f64 v[19:20], v[21:22], v[19:20], s[4:5]
	s_mov_b32 s4, 0xe97a0956
	s_mov_b32 s5, 0x4015c9fb
	v_fma_f64 v[19:20], v[21:22], v[19:20], s[4:5]
	;; [unrolled: 3-line block ×4, first 2 shown]
	v_mov_b32_e32 v19, 0xce039737
	v_mov_b32_e32 v20, 0x3f4e4a80
	v_fma_f64 v[19:20], v[21:22], 0, v[19:20]
	s_mov_b32 s4, 0xab5454e3
	s_mov_b32 s5, 0x3fb5ebc5
	v_fma_f64 v[19:20], v[21:22], v[19:20], s[4:5]
	s_mov_b32 s4, 0xc9b3069f
	s_mov_b32 s5, 0x3ff40e72
	;; [unrolled: 3-line block ×6, first 2 shown]
	v_fma_f64 v[25:26], v[21:22], v[19:20], 1.0
	v_mov_b32_e32 v19, 0x38a5384a
	v_mov_b32_e32 v20, 0xbf874742
	v_fma_f64 v[19:20], v[21:22], 0, v[19:20]
	v_fma_f64 v[19:20], v[21:22], v[19:20], s[4:5]
	s_mov_b32 s4, 0xf50e2c0c
	s_mov_b32 s5, 0xc0338dcf
	v_fma_f64 v[19:20], v[21:22], v[19:20], s[4:5]
	s_mov_b32 s4, 0x5a6de8c4
	s_mov_b32 s5, 0xc0574d2f
	v_fma_f64 v[19:20], v[21:22], v[19:20], s[4:5]
	s_mov_b32 s4, 0x20cae8ea
	s_mov_b32 s5, 0xc06635cc
	v_fma_f64 v[19:20], v[21:22], v[19:20], s[4:5]
	s_mov_b32 s4, 0xec17392d
	s_mov_b32 s5, 0xc062627a
	v_fma_f64 v[19:20], v[21:22], v[19:20], s[4:5]
	s_mov_b32 s4, 0x55b218cd
	s_mov_b32 s5, 0xc049b48c
	v_fma_f64 v[19:20], v[21:22], v[19:20], s[4:5]
	s_mov_b32 s4, 0xd1b9a1dd
	s_mov_b32 s5, 0xc0183358
	v_fma_f64 v[19:20], v[21:22], v[19:20], s[4:5]
	s_mov_b32 s4, 0xb1759c7f
	s_mov_b32 s5, 0x408ac370
	v_fma_f64 v[30:31], v[21:22], v[30:31], s[4:5]
	s_mov_b32 s4, 0xbd748cb5
	s_mov_b32 s5, 0x40ae54cd
	v_fma_f64 v[30:31], v[21:22], v[30:31], s[4:5]
	s_mov_b32 s4, 0xbdefd63e
	s_mov_b32 s5, 0x40bc4877
	v_fma_f64 v[30:31], v[21:22], v[30:31], s[4:5]
	s_mov_b32 s4, 0x1d733b11
	s_mov_b32 s5, 0x40b72aba
	v_fma_f64 v[30:31], v[21:22], v[30:31], s[4:5]
	s_mov_b32 s4, 0xc7319e82
	s_mov_b32 s5, 0x40a01c2f
	v_fma_f64 v[30:31], v[21:22], v[30:31], s[4:5]
	s_mov_b32 s4, 0x6280a54
	s_mov_b32 s5, 0x406e402f
	v_fma_f64 v[30:31], v[21:22], v[30:31], s[4:5]
	v_fma_f64 v[21:22], v[21:22], v[23:24], 1.0
	v_div_scale_f64 v[23:24], s[4:5], v[25:26], v[25:26], v[21:22]
	s_mov_b32 s4, 0x9037ab78
	s_mov_b32 s5, 0x3e21eeb6
	v_rcp_f64_e32 v[32:33], v[23:24]
	v_fma_f64 v[34:35], -v[23:24], v[32:33], 1.0
	v_fma_f64 v[32:33], v[32:33], v[34:35], v[32:33]
	v_fma_f64 v[34:35], -v[23:24], v[32:33], 1.0
	v_fma_f64 v[32:33], v[32:33], v[34:35], v[32:33]
	v_div_scale_f64 v[34:35], vcc, v[21:22], v[25:26], v[21:22]
	v_mul_f64 v[36:37], v[34:35], v[32:33]
	v_fma_f64 v[23:24], -v[23:24], v[36:37], v[34:35]
	s_nop 1
	v_div_fmas_f64 v[23:24], v[23:24], v[32:33], v[36:37]
	v_mov_b32_e32 v37, s5
	v_mov_b32_e32 v36, s4
	s_mov_b32 s4, 0xb42fdfa7
	s_mov_b32 s5, 0xbe5ae600
	v_div_fixup_f64 v[21:22], v[23:24], v[25:26], v[21:22]
	v_mul_f64 v[23:24], v[15:16], v[15:16]
	v_mul_f64 v[25:26], v[23:24], 0.5
	v_fma_f64 v[38:39], v[23:24], s[16:17], v[36:37]
	v_add_f64 v[32:33], -v[25:26], 1.0
	v_fma_f64 v[38:39], v[23:24], v[38:39], s[18:19]
	v_add_f64 v[34:35], -v[32:33], 1.0
	v_fma_f64 v[38:39], v[23:24], v[38:39], s[20:21]
	v_add_f64 v[25:26], v[34:35], -v[25:26]
	v_fma_f64 v[38:39], v[23:24], v[38:39], s[22:23]
	v_mul_f64 v[34:35], v[23:24], v[23:24]
	v_fma_f64 v[25:26], v[15:16], -v[17:18], v[25:26]
	v_fma_f64 v[38:39], v[23:24], v[38:39], s[24:25]
	v_fma_f64 v[25:26], v[34:35], v[38:39], v[25:26]
	v_mul_f64 v[38:39], v[15:16], -v[23:24]
	v_add_f64 v[25:26], v[32:33], v[25:26]
	v_mov_b32_e32 v33, s5
	v_mov_b32_e32 v32, s4
	v_fma_f64 v[34:35], v[23:24], s[26:27], v[32:33]
	s_movk_i32 s4, 0x1f8
	v_cmp_class_f64_e64 s[4:5], v[5:6], s4
	v_and_b32_e32 v5, 1, v28
	v_fma_f64 v[34:35], v[23:24], v[34:35], s[28:29]
	v_fma_f64 v[34:35], v[23:24], v[34:35], s[30:31]
	;; [unrolled: 1-line block ×4, first 2 shown]
	v_mov_b32_e32 v40, 0x7ff80000
	v_fma_f64 v[17:18], v[23:24], v[34:35], -v[17:18]
	v_fma_f64 v[17:18], v[38:39], s[36:37], v[17:18]
	v_add_f64 v[15:16], v[15:16], -v[17:18]
	v_and_b32_e32 v17, 1, v29
	v_cmp_eq_u32_e32 vcc, 0, v17
	v_lshlrev_b32_e32 v17, 30, v29
	v_and_b32_e32 v17, 0x80000000, v17
	v_xor_b32_e32 v16, 0x80000000, v16
	v_cndmask_b32_e32 v16, v16, v26, vcc
	v_xor_b32_e32 v16, v16, v17
	v_div_scale_f64 v[17:18], s[40:41], v[7:8], v[7:8], s[38:39]
	v_cndmask_b32_e32 v15, v15, v25, vcc
	v_cndmask_b32_e64 v15, 0, v15, s[4:5]
	v_cndmask_b32_e64 v16, v40, v16, s[4:5]
	v_rcp_f64_e32 v[23:24], v[17:18]
	v_fma_f64 v[25:26], -v[17:18], v[23:24], 1.0
	v_fma_f64 v[23:24], v[23:24], v[25:26], v[23:24]
	v_fma_f64 v[25:26], -v[17:18], v[23:24], 1.0
	v_fma_f64 v[23:24], v[23:24], v[25:26], v[23:24]
	v_div_scale_f64 v[25:26], vcc, s[38:39], v[7:8], s[38:39]
	v_mul_f64 v[34:35], v[25:26], v[23:24]
	v_fma_f64 v[17:18], -v[17:18], v[34:35], v[25:26]
	s_nop 1
	v_div_fmas_f64 v[17:18], v[17:18], v[23:24], v[34:35]
	v_div_fixup_f64 v[17:18], v[17:18], v[7:8], s[38:39]
	v_div_scale_f64 v[23:24], s[38:39], v[30:31], v[30:31], v[19:20]
	v_rcp_f64_e32 v[25:26], v[23:24]
	v_fma_f64 v[34:35], -v[23:24], v[25:26], 1.0
	v_fma_f64 v[25:26], v[25:26], v[34:35], v[25:26]
	v_fma_f64 v[34:35], -v[23:24], v[25:26], 1.0
	v_fma_f64 v[25:26], v[25:26], v[34:35], v[25:26]
	v_div_scale_f64 v[34:35], vcc, v[19:20], v[30:31], v[19:20]
	v_mul_f64 v[38:39], v[34:35], v[25:26]
	v_fma_f64 v[23:24], -v[23:24], v[38:39], v[34:35]
	s_nop 1
	v_div_fmas_f64 v[23:24], v[23:24], v[25:26], v[38:39]
	v_cmp_eq_u32_e32 vcc, 0, v5
	v_div_fixup_f64 v[19:20], v[23:24], v[30:31], v[19:20]
	v_mul_f64 v[17:18], v[17:18], v[19:20]
	v_mul_f64 v[19:20], v[11:12], v[11:12]
	v_mul_f64 v[23:24], v[19:20], 0.5
	v_fma_f64 v[34:35], v[19:20], s[16:17], v[36:37]
	v_add_f64 v[25:26], -v[23:24], 1.0
	v_fma_f64 v[34:35], v[19:20], v[34:35], s[18:19]
	v_add_f64 v[29:30], -v[25:26], 1.0
	v_fma_f64 v[34:35], v[19:20], v[34:35], s[20:21]
	v_add_f64 v[23:24], v[29:30], -v[23:24]
	v_fma_f64 v[34:35], v[19:20], v[34:35], s[22:23]
	v_mul_f64 v[29:30], v[19:20], v[19:20]
	v_fma_f64 v[23:24], v[11:12], -v[13:14], v[23:24]
	v_fma_f64 v[34:35], v[19:20], v[34:35], s[24:25]
	v_fma_f64 v[23:24], v[29:30], v[34:35], v[23:24]
	v_mul_f64 v[29:30], v[11:12], -v[19:20]
	v_add_f64 v[23:24], v[25:26], v[23:24]
	v_fma_f64 v[25:26], v[19:20], s[26:27], v[32:33]
	v_mul_f64 v[31:32], v[13:14], 0.5
	v_fma_f64 v[25:26], v[19:20], v[25:26], s[28:29]
	v_fma_f64 v[25:26], v[19:20], v[25:26], s[30:31]
	;; [unrolled: 1-line block ×4, first 2 shown]
	v_fma_f64 v[13:14], v[19:20], v[25:26], -v[13:14]
	v_fma_f64 v[13:14], v[29:30], s[36:37], v[13:14]
	v_add_f64 v[11:12], v[11:12], -v[13:14]
	v_cndmask_b32_e32 v5, v23, v11, vcc
	v_cndmask_b32_e32 v11, v24, v12, vcc
	v_lshlrev_b32_e32 v12, 30, v28
	v_xor_b32_e32 v6, v12, v6
	v_and_b32_e32 v6, 0x80000000, v6
	v_xor_b32_e32 v6, v11, v6
	v_cndmask_b32_e64 v5, 0, v5, s[4:5]
	v_cndmask_b32_e64 v6, v40, v6, s[4:5]
	v_mul_f64 v[5:6], v[17:18], v[5:6]
	s_mov_b32 s4, 0x33d43651
	s_mov_b32 s5, 0x3fe98845
	v_mov_b32_e32 v11, 0x100
	v_fma_f64 v[5:6], v[21:22], v[15:16], v[5:6]
	v_mul_f64 v[5:6], v[5:6], s[4:5]
	s_mov_b32 s4, 0
	s_brev_b32 s5, 8
	v_cmp_gt_f64_e32 vcc, s[4:5], v[7:8]
	v_cndmask_b32_e32 v11, 0, v11, vcc
	v_ldexp_f64 v[7:8], v[7:8], v11
	v_rsq_f64_e32 v[11:12], v[7:8]
	v_mul_f64 v[13:14], v[7:8], v[11:12]
	v_mul_f64 v[11:12], v[11:12], 0.5
	v_fma_f64 v[15:16], -v[11:12], v[13:14], 0.5
	v_fma_f64 v[13:14], v[13:14], v[15:16], v[13:14]
	v_fma_f64 v[11:12], v[11:12], v[15:16], v[11:12]
	v_fma_f64 v[17:18], -v[13:14], v[13:14], v[7:8]
	v_fma_f64 v[13:14], v[17:18], v[11:12], v[13:14]
	v_fma_f64 v[15:16], -v[13:14], v[13:14], v[7:8]
	v_fma_f64 v[11:12], v[15:16], v[11:12], v[13:14]
	v_mov_b32_e32 v13, 0xffffff80
	v_cndmask_b32_e32 v13, 0, v13, vcc
	v_ldexp_f64 v[11:12], v[11:12], v13
	v_mov_b32_e32 v13, 0x260
	v_cmp_class_f64_e32 vcc, v[7:8], v13
	v_cndmask_b32_e32 v8, v12, v8, vcc
	v_cndmask_b32_e32 v7, v11, v7, vcc
	v_div_scale_f64 v[11:12], s[4:5], v[7:8], v[7:8], v[5:6]
	v_rcp_f64_e32 v[13:14], v[11:12]
	v_fma_f64 v[15:16], -v[11:12], v[13:14], 1.0
	v_fma_f64 v[13:14], v[13:14], v[15:16], v[13:14]
	v_fma_f64 v[15:16], -v[11:12], v[13:14], 1.0
	v_fma_f64 v[13:14], v[13:14], v[15:16], v[13:14]
	v_div_scale_f64 v[15:16], vcc, v[5:6], v[7:8], v[5:6]
	v_mul_f64 v[17:18], v[15:16], v[13:14]
	v_fma_f64 v[11:12], -v[11:12], v[17:18], v[15:16]
	s_nop 1
	v_div_fmas_f64 v[11:12], v[11:12], v[13:14], v[17:18]
	v_div_fixup_f64 v[5:6], v[11:12], v[7:8], v[5:6]
.LBB5_19:
	s_or_b64 exec, exec, s[14:15]
	v_cmp_gt_f64_e32 vcc, 0, v[9:10]
	v_xor_b32_e32 v7, 0x80000000, v10
	s_mov_b32 s4, 0
	s_mov_b32 s5, 0x40140000
	v_cndmask_b32_e32 v10, v10, v7, vcc
	v_cmp_ge_f64_e32 vcc, s[4:5], v[9:10]
	v_mul_f64 v[19:20], v[9:10], v[9:10]
	s_and_saveexec_b64 s[4:5], vcc
	s_xor_b64 s[4:5], exec, s[4:5]
	s_cbranch_execz .LBB5_25
; %bb.20:
	s_mov_b32 s14, 0x88e368f1
	s_mov_b32 s15, 0x3ee4f8b5
	v_cmp_ngt_f64_e32 vcc, s[14:15], v[9:10]
	s_and_saveexec_b64 s[14:15], vcc
	s_xor_b64 s[14:15], exec, s[14:15]
	s_cbranch_execz .LBB5_22
; %bb.21:
	v_mov_b32_e32 v7, 0xa696b78c
	v_mov_b32_e32 v8, 0x407f3902
	v_fma_f64 v[7:8], v[19:20], 0, v[7:8]
	s_mov_b32 s16, 0x36a21a67
	s_mov_b32 s17, 0x410536cb
	;; [unrolled: 1-line block ×3, first 2 shown]
	v_mov_b32_e32 v9, 0xad1c8325
	v_mov_b32_e32 v10, 0xc1f1dc53
	s_mov_b32 s19, 0x4204d5b0
	v_fma_f64 v[9:10], v[19:20], 0, v[9:10]
	v_fma_f64 v[7:8], v[19:20], v[7:8], s[16:17]
	s_mov_b32 s16, 0x2eac0634
	s_mov_b32 s17, 0x41871934
	;; [unrolled: 1-line block ×6, first 2 shown]
	v_fma_f64 v[7:8], v[19:20], v[7:8], s[16:17]
	s_mov_b32 s16, 0xc772990d
	s_mov_b32 s17, 0x427c7751
	v_fma_f64 v[9:10], v[19:20], v[9:10], s[16:17]
	s_mov_b32 s16, 0x80462bbb
	s_mov_b32 s17, 0xc01721fb
	v_add_f64 v[11:12], v[19:20], s[16:17]
	s_mov_b32 s16, 0x7e7b2e9c
	v_fma_f64 v[7:8], v[19:20], v[7:8], s[18:19]
	s_mov_b32 s18, 0xe0d900f7
	s_mov_b32 s19, 0xc2ec5614
	v_fma_f64 v[9:10], v[19:20], v[9:10], s[18:19]
	s_mov_b32 s18, 0x69ff5fb4
	s_mov_b32 s17, 0x435c4141
	;; [unrolled: 1-line block ×3, first 2 shown]
	v_fma_f64 v[7:8], v[19:20], v[7:8], s[20:21]
	s_mov_b32 s20, 0xa621dd6f
	s_mov_b32 s21, 0xc03e78a4
	v_add_f64 v[13:14], v[19:20], s[20:21]
	v_fma_f64 v[9:10], v[19:20], v[9:10], s[18:19]
	v_fma_f64 v[7:8], v[19:20], v[7:8], s[22:23]
	v_mul_f64 v[11:12], v[11:12], v[13:14]
	v_fma_f64 v[7:8], v[19:20], v[7:8], s[16:17]
	s_mov_b32 s16, 0xc7b662cc
	s_mov_b32 s17, 0x43b7be34
	v_mul_f64 v[9:10], v[11:12], v[9:10]
	v_fma_f64 v[7:8], v[19:20], v[7:8], s[16:17]
                                        ; implicit-def: $vgpr19_vgpr20
	v_div_scale_f64 v[11:12], s[16:17], v[7:8], v[7:8], v[9:10]
	v_div_scale_f64 v[17:18], vcc, v[9:10], v[7:8], v[9:10]
	v_rcp_f64_e32 v[13:14], v[11:12]
	v_fma_f64 v[15:16], -v[11:12], v[13:14], 1.0
	v_fma_f64 v[13:14], v[13:14], v[15:16], v[13:14]
	v_fma_f64 v[15:16], -v[11:12], v[13:14], 1.0
	v_fma_f64 v[13:14], v[13:14], v[15:16], v[13:14]
	v_mul_f64 v[15:16], v[17:18], v[13:14]
	v_fma_f64 v[11:12], -v[11:12], v[15:16], v[17:18]
	v_div_fmas_f64 v[11:12], v[11:12], v[13:14], v[15:16]
	v_div_fixup_f64 v[7:8], v[11:12], v[7:8], v[9:10]
.LBB5_22:
	s_andn2_saveexec_b64 s[14:15], s[14:15]
	s_cbranch_execz .LBB5_24
; %bb.23:
	s_mov_b32 s16, 0
	s_mov_b32 s17, 0xbfd00000
	v_fma_f64 v[7:8], v[19:20], s[16:17], 1.0
.LBB5_24:
	s_or_b64 exec, exec, s[14:15]
                                        ; implicit-def: $vgpr19_vgpr20
                                        ; implicit-def: $vgpr9_vgpr10
.LBB5_25:
	s_andn2_saveexec_b64 s[14:15], s[4:5]
	s_cbranch_execz .LBB5_35
; %bb.26:
	s_mov_b32 s19, 0xbfe921fb
	s_mov_b32 s18, 0x54442d18
	v_add_f64 v[7:8], v[9:10], s[18:19]
	s_mov_b32 s4, 0
	s_mov_b32 s5, 0x41d00000
                                        ; implicit-def: $vgpr29
                                        ; implicit-def: $vgpr15_vgpr16
                                        ; implicit-def: $vgpr17_vgpr18
	v_trig_preop_f64 v[25:26], |v[7:8]|, 0
	v_trig_preop_f64 v[23:24], |v[7:8]|, 1
	;; [unrolled: 1-line block ×3, first 2 shown]
	v_cmp_nlt_f64_e64 s[16:17], |v[7:8]|, s[4:5]
	s_and_saveexec_b64 s[4:5], s[16:17]
	s_xor_b64 s[20:21], exec, s[4:5]
	s_cbranch_execz .LBB5_28
; %bb.27:
	s_mov_b32 s4, 0
	s_mov_b32 s5, 0x7b000000
	s_movk_i32 s19, 0xff80
	v_ldexp_f64 v[11:12], |v[7:8]|, s19
	v_cmp_ge_f64_e64 vcc, |v[7:8]|, s[4:5]
	v_and_b32_e32 v13, 0x7fffffff, v8
	s_mov_b32 s4, 0
	s_mov_b32 s5, 0x7ff00000
	v_mov_b32_e32 v41, 0x40100000
	v_mov_b32_e32 v40, 0
	s_mov_b32 s19, 0x3ff921fb
	v_cndmask_b32_e32 v12, v13, v12, vcc
	v_cndmask_b32_e32 v11, v7, v11, vcc
	v_mul_f64 v[13:14], v[25:26], v[11:12]
	v_mul_f64 v[15:16], v[23:24], v[11:12]
	;; [unrolled: 1-line block ×3, first 2 shown]
	v_fma_f64 v[17:18], v[25:26], v[11:12], -v[13:14]
	v_fma_f64 v[36:37], v[23:24], v[11:12], -v[15:16]
	;; [unrolled: 1-line block ×3, first 2 shown]
	v_add_f64 v[28:29], v[15:16], v[17:18]
	v_add_f64 v[30:31], v[28:29], -v[15:16]
	v_add_f64 v[38:39], v[13:14], v[28:29]
	v_add_f64 v[32:33], v[28:29], -v[30:31]
	v_add_f64 v[17:18], v[17:18], -v[30:31]
	v_add_f64 v[30:31], v[34:35], v[36:37]
	v_add_f64 v[13:14], v[38:39], -v[13:14]
	v_add_f64 v[15:16], v[15:16], -v[32:33]
	v_ldexp_f64 v[32:33], v[38:39], -2
	v_add_f64 v[42:43], v[30:31], -v[34:35]
	v_add_f64 v[13:14], v[28:29], -v[13:14]
	v_add_f64 v[15:16], v[17:18], v[15:16]
	v_fract_f64_e32 v[17:18], v[32:33]
	v_cmp_neq_f64_e64 vcc, |v[32:33]|, s[4:5]
	v_add_f64 v[36:37], v[36:37], -v[42:43]
	v_add_f64 v[28:29], v[30:31], v[15:16]
	v_ldexp_f64 v[17:18], v[17:18], 2
	v_add_f64 v[32:33], v[13:14], v[28:29]
	v_cndmask_b32_e32 v18, 0, v18, vcc
	v_cndmask_b32_e32 v17, 0, v17, vcc
	v_add_f64 v[44:45], v[28:29], -v[30:31]
	v_add_f64 v[38:39], v[32:33], v[17:18]
	v_add_f64 v[13:14], v[32:33], -v[13:14]
	v_add_f64 v[46:47], v[28:29], -v[44:45]
	;; [unrolled: 1-line block ×3, first 2 shown]
	v_cmp_gt_f64_e32 vcc, 0, v[38:39]
	v_add_f64 v[38:39], v[30:31], -v[42:43]
	v_add_f64 v[13:14], v[28:29], -v[13:14]
	;; [unrolled: 1-line block ×3, first 2 shown]
	v_cndmask_b32_e32 v41, 0, v41, vcc
	v_add_f64 v[17:18], v[17:18], v[40:41]
	v_add_f64 v[38:39], v[34:35], -v[38:39]
	v_add_f64 v[15:16], v[15:16], v[30:31]
	v_add_f64 v[48:49], v[32:33], v[17:18]
	;; [unrolled: 1-line block ×3, first 2 shown]
	v_cvt_i32_f64_e32 v43, v[48:49]
	v_add_f64 v[15:16], v[36:37], v[15:16]
	v_cvt_f64_i32_e32 v[41:42], v43
	v_add_f64 v[17:18], v[17:18], -v[41:42]
	v_add_f64 v[11:12], v[11:12], v[15:16]
	v_add_f64 v[30:31], v[32:33], v[17:18]
	;; [unrolled: 1-line block ×3, first 2 shown]
	v_add_f64 v[15:16], v[30:31], -v[17:18]
	v_cmp_le_f64_e32 vcc, 0.5, v[30:31]
	v_add_f64 v[13:14], v[32:33], -v[15:16]
	v_mov_b32_e32 v15, 0x3ff00000
	v_cndmask_b32_e32 v41, 0, v15, vcc
	v_addc_co_u32_e64 v29, s[4:5], 0, v43, vcc
	s_mov_b32 s4, 0x33145c07
	s_mov_b32 s5, 0x3c91a626
	v_add_f64 v[11:12], v[11:12], v[13:14]
	v_add_f64 v[13:14], v[30:31], -v[40:41]
	v_add_f64 v[15:16], v[13:14], v[11:12]
	v_mul_f64 v[17:18], v[15:16], s[18:19]
	v_add_f64 v[13:14], v[15:16], -v[13:14]
	v_fma_f64 v[30:31], v[15:16], s[18:19], -v[17:18]
	v_add_f64 v[11:12], v[11:12], -v[13:14]
	v_fma_f64 v[13:14], v[15:16], s[4:5], v[30:31]
	v_fma_f64 v[11:12], v[11:12], s[18:19], v[13:14]
	v_add_f64 v[15:16], v[17:18], v[11:12]
	v_add_f64 v[13:14], v[15:16], -v[17:18]
	v_add_f64 v[17:18], v[11:12], -v[13:14]
	s_andn2_saveexec_b64 s[4:5], s[20:21]
	s_cbranch_execz .LBB5_30
	s_branch .LBB5_29
.LBB5_28:
	s_andn2_saveexec_b64 s[4:5], s[20:21]
	s_cbranch_execz .LBB5_30
.LBB5_29:
	s_mov_b32 s18, 0x6dc9c883
	s_mov_b32 s19, 0x3fe45f30
	v_mul_f64 v[11:12], |v[7:8]|, s[18:19]
	s_mov_b32 s18, 0x54442d18
	s_mov_b32 s19, 0xbff921fb
	;; [unrolled: 1-line block ×4, first 2 shown]
	v_rndne_f64_e32 v[11:12], v[11:12]
	v_fma_f64 v[13:14], v[11:12], s[18:19], |v[7:8]|
	v_mul_f64 v[15:16], v[11:12], s[20:21]
	s_mov_b32 s18, 0x252049c0
	s_mov_b32 s19, 0xb97b839a
	v_add_f64 v[17:18], v[13:14], v[15:16]
	v_add_f64 v[28:29], v[13:14], -v[17:18]
	v_fma_f64 v[13:14], v[11:12], s[20:21], v[13:14]
	s_mov_b32 s21, 0x3c91a626
	v_add_f64 v[28:29], v[28:29], v[15:16]
	v_add_f64 v[17:18], v[17:18], -v[13:14]
	v_fma_f64 v[15:16], v[11:12], s[20:21], v[15:16]
	v_add_f64 v[17:18], v[17:18], v[28:29]
	v_cvt_i32_f64_e32 v29, v[11:12]
	v_add_f64 v[15:16], v[17:18], -v[15:16]
	v_fma_f64 v[17:18], v[11:12], s[18:19], v[15:16]
	v_add_f64 v[15:16], v[13:14], v[17:18]
	v_add_f64 v[13:14], v[15:16], -v[13:14]
	v_add_f64 v[17:18], v[17:18], -v[13:14]
.LBB5_30:
	s_or_b64 exec, exec, s[4:5]
                                        ; implicit-def: $vgpr28
                                        ; implicit-def: $vgpr11_vgpr12
                                        ; implicit-def: $vgpr13_vgpr14
	s_and_saveexec_b64 s[4:5], s[16:17]
	s_xor_b64 s[16:17], exec, s[4:5]
	s_cbranch_execz .LBB5_32
; %bb.31:
	s_mov_b32 s4, 0
	s_mov_b32 s5, 0x7b000000
	s_movk_i32 s18, 0xff80
	v_ldexp_f64 v[11:12], |v[7:8]|, s18
	v_cmp_ge_f64_e64 vcc, |v[7:8]|, s[4:5]
	v_and_b32_e32 v13, 0x7fffffff, v8
	s_mov_b32 s4, 0
	s_mov_b32 s5, 0x7ff00000
	v_mov_b32_e32 v28, 0x40100000
	v_mov_b32_e32 v42, 0
	s_mov_b32 s18, 0x33145c07
	s_mov_b32 s19, 0x3c91a626
	v_cndmask_b32_e32 v12, v13, v12, vcc
	v_cndmask_b32_e32 v11, v7, v11, vcc
	v_mul_f64 v[13:14], v[25:26], v[11:12]
	v_mul_f64 v[30:31], v[23:24], v[11:12]
	v_mul_f64 v[38:39], v[21:22], v[11:12]
	v_fma_f64 v[25:26], v[25:26], v[11:12], -v[13:14]
	v_fma_f64 v[23:24], v[23:24], v[11:12], -v[30:31]
	v_fma_f64 v[11:12], v[21:22], v[11:12], -v[38:39]
	v_add_f64 v[32:33], v[30:31], v[25:26]
	v_add_f64 v[34:35], v[32:33], -v[30:31]
	v_add_f64 v[40:41], v[13:14], v[32:33]
	v_add_f64 v[36:37], v[32:33], -v[34:35]
	v_add_f64 v[25:26], v[25:26], -v[34:35]
	v_add_f64 v[34:35], v[38:39], v[23:24]
	v_add_f64 v[13:14], v[40:41], -v[13:14]
	v_add_f64 v[30:31], v[30:31], -v[36:37]
	v_ldexp_f64 v[36:37], v[40:41], -2
	v_add_f64 v[44:45], v[34:35], -v[38:39]
	v_add_f64 v[13:14], v[32:33], -v[13:14]
	v_add_f64 v[25:26], v[25:26], v[30:31]
	v_fract_f64_e32 v[30:31], v[36:37]
	v_cmp_neq_f64_e64 vcc, |v[36:37]|, s[4:5]
	v_add_f64 v[23:24], v[23:24], -v[44:45]
	v_add_f64 v[32:33], v[34:35], v[25:26]
	v_ldexp_f64 v[30:31], v[30:31], 2
	v_add_f64 v[36:37], v[13:14], v[32:33]
	v_cndmask_b32_e32 v31, 0, v31, vcc
	v_cndmask_b32_e32 v30, 0, v30, vcc
	v_add_f64 v[46:47], v[32:33], -v[34:35]
	v_add_f64 v[40:41], v[36:37], v[30:31]
	v_add_f64 v[13:14], v[36:37], -v[13:14]
	v_add_f64 v[48:49], v[32:33], -v[46:47]
	;; [unrolled: 1-line block ×3, first 2 shown]
	v_cmp_gt_f64_e32 vcc, 0, v[40:41]
	v_add_f64 v[40:41], v[34:35], -v[44:45]
	v_add_f64 v[13:14], v[32:33], -v[13:14]
	;; [unrolled: 1-line block ×3, first 2 shown]
	v_cndmask_b32_e32 v43, 0, v28, vcc
	v_add_f64 v[30:31], v[30:31], v[42:43]
	v_add_f64 v[40:41], v[38:39], -v[40:41]
	v_add_f64 v[25:26], v[25:26], v[34:35]
	v_add_f64 v[50:51], v[36:37], v[30:31]
	;; [unrolled: 1-line block ×3, first 2 shown]
	v_cvt_i32_f64_e32 v28, v[50:51]
	v_add_f64 v[21:22], v[23:24], v[25:26]
	v_cvt_f64_i32_e32 v[43:44], v28
	v_add_f64 v[30:31], v[30:31], -v[43:44]
	v_add_f64 v[11:12], v[11:12], v[21:22]
	v_add_f64 v[23:24], v[36:37], v[30:31]
	;; [unrolled: 1-line block ×3, first 2 shown]
	v_add_f64 v[21:22], v[23:24], -v[30:31]
	v_cmp_le_f64_e32 vcc, 0.5, v[23:24]
	v_add_f64 v[13:14], v[36:37], -v[21:22]
	v_mov_b32_e32 v21, 0x3ff00000
	v_cndmask_b32_e32 v43, 0, v21, vcc
	v_addc_co_u32_e64 v28, s[4:5], 0, v28, vcc
	s_mov_b32 s4, 0x54442d18
	s_mov_b32 s5, 0x3ff921fb
	v_add_f64 v[11:12], v[11:12], v[13:14]
	v_add_f64 v[13:14], v[23:24], -v[42:43]
	v_add_f64 v[21:22], v[13:14], v[11:12]
	v_mul_f64 v[23:24], v[21:22], s[4:5]
	v_add_f64 v[13:14], v[21:22], -v[13:14]
	v_fma_f64 v[25:26], v[21:22], s[4:5], -v[23:24]
	v_add_f64 v[11:12], v[11:12], -v[13:14]
	v_fma_f64 v[13:14], v[21:22], s[18:19], v[25:26]
	v_fma_f64 v[13:14], v[11:12], s[4:5], v[13:14]
	v_add_f64 v[11:12], v[23:24], v[13:14]
	v_add_f64 v[21:22], v[11:12], -v[23:24]
	v_add_f64 v[13:14], v[13:14], -v[21:22]
	s_andn2_saveexec_b64 s[4:5], s[16:17]
	s_cbranch_execnz .LBB5_33
	s_branch .LBB5_34
.LBB5_32:
	s_andn2_saveexec_b64 s[4:5], s[16:17]
	s_cbranch_execz .LBB5_34
.LBB5_33:
	s_mov_b32 s16, 0x6dc9c883
	s_mov_b32 s17, 0x3fe45f30
	v_mul_f64 v[11:12], |v[7:8]|, s[16:17]
	s_mov_b32 s16, 0x54442d18
	s_mov_b32 s17, 0xbff921fb
	;; [unrolled: 1-line block ×4, first 2 shown]
	v_rndne_f64_e32 v[21:22], v[11:12]
	v_fma_f64 v[11:12], v[21:22], s[16:17], |v[7:8]|
	v_mul_f64 v[13:14], v[21:22], s[18:19]
	s_mov_b32 s16, 0x252049c0
	s_mov_b32 s17, 0xb97b839a
	v_cvt_i32_f64_e32 v28, v[21:22]
	v_fma_f64 v[30:31], v[21:22], s[18:19], v[11:12]
	v_add_f64 v[23:24], v[11:12], v[13:14]
	s_mov_b32 s19, 0x3c91a626
	v_add_f64 v[25:26], v[11:12], -v[23:24]
	v_add_f64 v[23:24], v[23:24], -v[30:31]
	v_add_f64 v[11:12], v[25:26], v[13:14]
	v_fma_f64 v[13:14], v[21:22], s[18:19], v[13:14]
	v_add_f64 v[11:12], v[23:24], v[11:12]
	v_add_f64 v[11:12], v[11:12], -v[13:14]
	v_fma_f64 v[13:14], v[21:22], s[16:17], v[11:12]
	v_add_f64 v[11:12], v[30:31], v[13:14]
	v_add_f64 v[23:24], v[11:12], -v[30:31]
	v_add_f64 v[13:14], v[13:14], -v[23:24]
.LBB5_34:
	s_or_b64 exec, exec, s[4:5]
	s_mov_b32 s4, 0
	s_mov_b32 s5, 0x40390000
	v_div_scale_f64 v[21:22], s[16:17], v[19:20], v[19:20], s[4:5]
	s_mov_b32 s16, 0x46cc5e42
	s_mov_b32 s17, 0xbda907db
	;; [unrolled: 1-line block ×14, first 2 shown]
	v_rcp_f64_e32 v[23:24], v[21:22]
	s_mov_b32 s30, 0x19e83e5c
	s_mov_b32 s31, 0xbf2a01a0
	;; [unrolled: 1-line block ×4, first 2 shown]
	v_mul_f64 v[40:41], v[17:18], 0.5
	s_mov_b32 s37, 0xbfc55555
	s_mov_b32 s36, s24
	;; [unrolled: 1-line block ×4, first 2 shown]
	v_fma_f64 v[25:26], -v[21:22], v[23:24], 1.0
	v_fma_f64 v[23:24], v[23:24], v[25:26], v[23:24]
	v_fma_f64 v[25:26], -v[21:22], v[23:24], 1.0
	v_fma_f64 v[23:24], v[23:24], v[25:26], v[23:24]
	v_div_scale_f64 v[25:26], vcc, s[4:5], v[19:20], s[4:5]
	v_mul_f64 v[30:31], v[25:26], v[23:24]
	v_fma_f64 v[21:22], -v[21:22], v[30:31], v[25:26]
	s_nop 1
	v_div_fmas_f64 v[21:22], v[21:22], v[23:24], v[30:31]
	v_mov_b32_e32 v30, 0x413c25ac
	v_mov_b32_e32 v31, 0x40501457
	v_div_fixup_f64 v[21:22], v[21:22], v[19:20], s[4:5]
	v_mov_b32_e32 v19, 0x983b6b27
	v_mov_b32_e32 v20, 0x3f4a1d30
	s_mov_b32 s4, 0xb35dd1cf
	s_mov_b32 s5, 0x3fb534b0
	v_fma_f64 v[19:20], v[21:22], 0, v[19:20]
	v_fma_f64 v[30:31], v[21:22], 0, v[30:31]
	;; [unrolled: 1-line block ×3, first 2 shown]
	s_mov_b32 s4, 0x4e680b98
	s_mov_b32 s5, 0x3ff3d521
	v_fma_f64 v[19:20], v[21:22], v[19:20], s[4:5]
	s_mov_b32 s4, 0xe97a0956
	s_mov_b32 s5, 0x4015c9fb
	v_fma_f64 v[19:20], v[21:22], v[19:20], s[4:5]
	s_mov_b32 s4, 0x69409888
	s_mov_b32 s5, 0x40217e8c
	v_fma_f64 v[19:20], v[21:22], v[19:20], s[4:5]
	s_mov_b32 s4, 0xa59425a1
	s_mov_b32 s5, 0x40153684
	v_fma_f64 v[23:24], v[21:22], v[19:20], s[4:5]
	v_mov_b32_e32 v19, 0xce039737
	v_mov_b32_e32 v20, 0x3f4e4a80
	v_fma_f64 v[19:20], v[21:22], 0, v[19:20]
	s_mov_b32 s4, 0xab5454e3
	s_mov_b32 s5, 0x3fb5ebc5
	v_fma_f64 v[19:20], v[21:22], v[19:20], s[4:5]
	s_mov_b32 s4, 0xc9b3069f
	s_mov_b32 s5, 0x3ff40e72
	v_fma_f64 v[19:20], v[21:22], v[19:20], s[4:5]
	s_mov_b32 s4, 0xe68162bb
	s_mov_b32 s5, 0x4015e247
	v_fma_f64 v[19:20], v[21:22], v[19:20], s[4:5]
	s_mov_b32 s4, 0xea1b21a1
	s_mov_b32 s5, 0x40218618
	v_fma_f64 v[19:20], v[21:22], v[19:20], s[4:5]
	s_mov_b32 s4, 0xed423a19
	s_mov_b32 s5, 0x40153965
	v_fma_f64 v[19:20], v[21:22], v[19:20], s[4:5]
	s_mov_b32 s4, 0x3a321174
	s_mov_b32 s5, 0xbff4853b
	v_fma_f64 v[25:26], v[21:22], v[19:20], 1.0
	v_mov_b32_e32 v19, 0x38a5384a
	v_mov_b32_e32 v20, 0xbf874742
	v_fma_f64 v[19:20], v[21:22], 0, v[19:20]
	v_fma_f64 v[19:20], v[21:22], v[19:20], s[4:5]
	s_mov_b32 s4, 0xf50e2c0c
	s_mov_b32 s5, 0xc0338dcf
	v_fma_f64 v[19:20], v[21:22], v[19:20], s[4:5]
	s_mov_b32 s4, 0x5a6de8c4
	s_mov_b32 s5, 0xc0574d2f
	;; [unrolled: 3-line block ×12, first 2 shown]
	v_fma_f64 v[30:31], v[21:22], v[30:31], s[4:5]
	v_fma_f64 v[21:22], v[21:22], v[23:24], 1.0
	v_div_scale_f64 v[23:24], s[4:5], v[25:26], v[25:26], v[21:22]
	s_mov_b32 s4, 0x9037ab78
	s_mov_b32 s5, 0x3e21eeb6
	v_rcp_f64_e32 v[32:33], v[23:24]
	v_fma_f64 v[34:35], -v[23:24], v[32:33], 1.0
	v_fma_f64 v[32:33], v[32:33], v[34:35], v[32:33]
	v_fma_f64 v[34:35], -v[23:24], v[32:33], 1.0
	v_fma_f64 v[32:33], v[32:33], v[34:35], v[32:33]
	v_div_scale_f64 v[34:35], vcc, v[21:22], v[25:26], v[21:22]
	v_mul_f64 v[36:37], v[34:35], v[32:33]
	v_fma_f64 v[23:24], -v[23:24], v[36:37], v[34:35]
	s_nop 1
	v_div_fmas_f64 v[23:24], v[23:24], v[32:33], v[36:37]
	v_mov_b32_e32 v37, s5
	v_mov_b32_e32 v36, s4
	s_mov_b32 s4, 0xb42fdfa7
	s_mov_b32 s5, 0xbe5ae600
	v_div_fixup_f64 v[21:22], v[23:24], v[25:26], v[21:22]
	v_mul_f64 v[23:24], v[15:16], v[15:16]
	v_mul_f64 v[25:26], v[23:24], 0.5
	v_fma_f64 v[38:39], v[23:24], s[16:17], v[36:37]
	v_add_f64 v[32:33], -v[25:26], 1.0
	v_fma_f64 v[38:39], v[23:24], v[38:39], s[18:19]
	v_add_f64 v[34:35], -v[32:33], 1.0
	v_fma_f64 v[38:39], v[23:24], v[38:39], s[20:21]
	v_add_f64 v[25:26], v[34:35], -v[25:26]
	v_fma_f64 v[38:39], v[23:24], v[38:39], s[22:23]
	v_mul_f64 v[34:35], v[23:24], v[23:24]
	v_fma_f64 v[25:26], v[15:16], -v[17:18], v[25:26]
	v_fma_f64 v[38:39], v[23:24], v[38:39], s[24:25]
	v_fma_f64 v[25:26], v[34:35], v[38:39], v[25:26]
	v_mul_f64 v[38:39], v[15:16], -v[23:24]
	v_add_f64 v[25:26], v[32:33], v[25:26]
	v_mov_b32_e32 v33, s5
	v_mov_b32_e32 v32, s4
	v_fma_f64 v[34:35], v[23:24], s[26:27], v[32:33]
	s_movk_i32 s4, 0x1f8
	v_cmp_class_f64_e64 s[4:5], v[7:8], s4
	v_and_b32_e32 v7, 1, v28
	v_fma_f64 v[34:35], v[23:24], v[34:35], s[28:29]
	v_fma_f64 v[34:35], v[23:24], v[34:35], s[30:31]
	;; [unrolled: 1-line block ×4, first 2 shown]
	v_mov_b32_e32 v40, 0x7ff80000
	v_fma_f64 v[17:18], v[23:24], v[34:35], -v[17:18]
	v_fma_f64 v[17:18], v[38:39], s[36:37], v[17:18]
	v_add_f64 v[15:16], v[15:16], -v[17:18]
	v_and_b32_e32 v17, 1, v29
	v_cmp_eq_u32_e32 vcc, 0, v17
	v_lshlrev_b32_e32 v17, 30, v29
	v_and_b32_e32 v17, 0x80000000, v17
	v_xor_b32_e32 v16, 0x80000000, v16
	v_cndmask_b32_e32 v16, v16, v26, vcc
	v_xor_b32_e32 v16, v16, v17
	v_div_scale_f64 v[17:18], s[40:41], v[9:10], v[9:10], s[38:39]
	v_cndmask_b32_e32 v15, v15, v25, vcc
	v_cndmask_b32_e64 v15, 0, v15, s[4:5]
	v_cndmask_b32_e64 v16, v40, v16, s[4:5]
	v_rcp_f64_e32 v[23:24], v[17:18]
	v_fma_f64 v[25:26], -v[17:18], v[23:24], 1.0
	v_fma_f64 v[23:24], v[23:24], v[25:26], v[23:24]
	v_fma_f64 v[25:26], -v[17:18], v[23:24], 1.0
	v_fma_f64 v[23:24], v[23:24], v[25:26], v[23:24]
	v_div_scale_f64 v[25:26], vcc, s[38:39], v[9:10], s[38:39]
	v_mul_f64 v[34:35], v[25:26], v[23:24]
	v_fma_f64 v[17:18], -v[17:18], v[34:35], v[25:26]
	s_nop 1
	v_div_fmas_f64 v[17:18], v[17:18], v[23:24], v[34:35]
	v_div_fixup_f64 v[17:18], v[17:18], v[9:10], s[38:39]
	v_div_scale_f64 v[23:24], s[38:39], v[30:31], v[30:31], v[19:20]
	v_rcp_f64_e32 v[25:26], v[23:24]
	v_fma_f64 v[34:35], -v[23:24], v[25:26], 1.0
	v_fma_f64 v[25:26], v[25:26], v[34:35], v[25:26]
	v_fma_f64 v[34:35], -v[23:24], v[25:26], 1.0
	v_fma_f64 v[25:26], v[25:26], v[34:35], v[25:26]
	v_div_scale_f64 v[34:35], vcc, v[19:20], v[30:31], v[19:20]
	v_mul_f64 v[38:39], v[34:35], v[25:26]
	v_fma_f64 v[23:24], -v[23:24], v[38:39], v[34:35]
	s_nop 1
	v_div_fmas_f64 v[23:24], v[23:24], v[25:26], v[38:39]
	v_cmp_eq_u32_e32 vcc, 0, v7
	v_div_fixup_f64 v[19:20], v[23:24], v[30:31], v[19:20]
	v_mul_f64 v[17:18], v[17:18], v[19:20]
	v_mul_f64 v[19:20], v[11:12], v[11:12]
	v_mul_f64 v[23:24], v[19:20], 0.5
	v_fma_f64 v[34:35], v[19:20], s[16:17], v[36:37]
	v_add_f64 v[25:26], -v[23:24], 1.0
	v_fma_f64 v[34:35], v[19:20], v[34:35], s[18:19]
	v_add_f64 v[29:30], -v[25:26], 1.0
	v_fma_f64 v[34:35], v[19:20], v[34:35], s[20:21]
	v_add_f64 v[23:24], v[29:30], -v[23:24]
	v_fma_f64 v[34:35], v[19:20], v[34:35], s[22:23]
	v_mul_f64 v[29:30], v[19:20], v[19:20]
	v_fma_f64 v[23:24], v[11:12], -v[13:14], v[23:24]
	v_fma_f64 v[34:35], v[19:20], v[34:35], s[24:25]
	v_fma_f64 v[23:24], v[29:30], v[34:35], v[23:24]
	v_mul_f64 v[29:30], v[11:12], -v[19:20]
	v_add_f64 v[23:24], v[25:26], v[23:24]
	v_fma_f64 v[25:26], v[19:20], s[26:27], v[32:33]
	v_mul_f64 v[31:32], v[13:14], 0.5
	v_fma_f64 v[25:26], v[19:20], v[25:26], s[28:29]
	v_fma_f64 v[25:26], v[19:20], v[25:26], s[30:31]
	;; [unrolled: 1-line block ×4, first 2 shown]
	v_fma_f64 v[13:14], v[19:20], v[25:26], -v[13:14]
	v_fma_f64 v[13:14], v[29:30], s[36:37], v[13:14]
	v_add_f64 v[11:12], v[11:12], -v[13:14]
	v_cndmask_b32_e32 v7, v23, v11, vcc
	v_cndmask_b32_e32 v11, v24, v12, vcc
	v_lshlrev_b32_e32 v12, 30, v28
	v_xor_b32_e32 v8, v12, v8
	v_and_b32_e32 v8, 0x80000000, v8
	v_xor_b32_e32 v8, v11, v8
	v_cndmask_b32_e64 v7, 0, v7, s[4:5]
	v_cndmask_b32_e64 v8, v40, v8, s[4:5]
	v_mul_f64 v[7:8], v[17:18], v[7:8]
	s_mov_b32 s4, 0x33d43651
	s_mov_b32 s5, 0x3fe98845
	v_mov_b32_e32 v11, 0x100
	v_fma_f64 v[7:8], v[21:22], v[15:16], v[7:8]
	v_mul_f64 v[7:8], v[7:8], s[4:5]
	s_mov_b32 s4, 0
	s_brev_b32 s5, 8
	v_cmp_gt_f64_e32 vcc, s[4:5], v[9:10]
	v_cndmask_b32_e32 v11, 0, v11, vcc
	v_ldexp_f64 v[9:10], v[9:10], v11
	v_rsq_f64_e32 v[11:12], v[9:10]
	v_mul_f64 v[13:14], v[9:10], v[11:12]
	v_mul_f64 v[11:12], v[11:12], 0.5
	v_fma_f64 v[15:16], -v[11:12], v[13:14], 0.5
	v_fma_f64 v[13:14], v[13:14], v[15:16], v[13:14]
	v_fma_f64 v[11:12], v[11:12], v[15:16], v[11:12]
	v_fma_f64 v[17:18], -v[13:14], v[13:14], v[9:10]
	v_fma_f64 v[13:14], v[17:18], v[11:12], v[13:14]
	v_fma_f64 v[15:16], -v[13:14], v[13:14], v[9:10]
	v_fma_f64 v[11:12], v[15:16], v[11:12], v[13:14]
	v_mov_b32_e32 v13, 0xffffff80
	v_cndmask_b32_e32 v13, 0, v13, vcc
	v_ldexp_f64 v[11:12], v[11:12], v13
	v_mov_b32_e32 v13, 0x260
	v_cmp_class_f64_e32 vcc, v[9:10], v13
	v_cndmask_b32_e32 v10, v12, v10, vcc
	v_cndmask_b32_e32 v9, v11, v9, vcc
	v_div_scale_f64 v[11:12], s[4:5], v[9:10], v[9:10], v[7:8]
	v_rcp_f64_e32 v[13:14], v[11:12]
	v_fma_f64 v[15:16], -v[11:12], v[13:14], 1.0
	v_fma_f64 v[13:14], v[13:14], v[15:16], v[13:14]
	v_fma_f64 v[15:16], -v[11:12], v[13:14], 1.0
	v_fma_f64 v[13:14], v[13:14], v[15:16], v[13:14]
	v_div_scale_f64 v[15:16], vcc, v[7:8], v[9:10], v[7:8]
	v_mul_f64 v[17:18], v[15:16], v[13:14]
	v_fma_f64 v[11:12], -v[11:12], v[17:18], v[15:16]
	s_nop 1
	v_div_fmas_f64 v[11:12], v[11:12], v[13:14], v[17:18]
	v_div_fixup_f64 v[7:8], v[11:12], v[9:10], v[7:8]
.LBB5_35:
	s_or_b64 exec, exec, s[14:15]
	s_waitcnt vmcnt(0)
	v_cmp_gt_f64_e32 vcc, 0, v[1:2]
	v_xor_b32_e32 v9, 0x80000000, v2
	s_mov_b32 s4, 0
	s_mov_b32 s5, 0x40140000
	v_cndmask_b32_e32 v2, v2, v9, vcc
	v_cmp_ge_f64_e32 vcc, s[4:5], v[1:2]
	v_mul_f64 v[19:20], v[1:2], v[1:2]
                                        ; implicit-def: $vgpr9_vgpr10
	s_and_saveexec_b64 s[4:5], vcc
	s_xor_b64 s[4:5], exec, s[4:5]
	s_cbranch_execz .LBB5_41
; %bb.36:
	s_mov_b32 s14, 0x88e368f1
	s_mov_b32 s15, 0x3ee4f8b5
	v_cmp_ngt_f64_e32 vcc, s[14:15], v[1:2]
                                        ; implicit-def: $vgpr9_vgpr10
	s_and_saveexec_b64 s[14:15], vcc
	s_xor_b64 s[14:15], exec, s[14:15]
	s_cbranch_execz .LBB5_38
; %bb.37:
	v_mov_b32_e32 v1, 0xa696b78c
	v_mov_b32_e32 v2, 0x407f3902
	v_fma_f64 v[1:2], v[19:20], 0, v[1:2]
	s_mov_b32 s16, 0x36a21a67
	s_mov_b32 s17, 0x410536cb
	;; [unrolled: 1-line block ×3, first 2 shown]
	v_mov_b32_e32 v9, 0xad1c8325
	v_mov_b32_e32 v10, 0xc1f1dc53
	s_mov_b32 s19, 0x4204d5b0
	v_fma_f64 v[9:10], v[19:20], 0, v[9:10]
	v_fma_f64 v[1:2], v[19:20], v[1:2], s[16:17]
	s_mov_b32 s16, 0x2eac0634
	s_mov_b32 s17, 0x41871934
	;; [unrolled: 1-line block ×6, first 2 shown]
	v_fma_f64 v[1:2], v[19:20], v[1:2], s[16:17]
	s_mov_b32 s16, 0xc772990d
	s_mov_b32 s17, 0x427c7751
	v_fma_f64 v[9:10], v[19:20], v[9:10], s[16:17]
	s_mov_b32 s16, 0x80462bbb
	s_mov_b32 s17, 0xc01721fb
	v_add_f64 v[11:12], v[19:20], s[16:17]
	s_mov_b32 s16, 0x7e7b2e9c
	v_fma_f64 v[1:2], v[19:20], v[1:2], s[18:19]
	s_mov_b32 s18, 0xe0d900f7
	s_mov_b32 s19, 0xc2ec5614
	v_fma_f64 v[9:10], v[19:20], v[9:10], s[18:19]
	s_mov_b32 s18, 0x69ff5fb4
	s_mov_b32 s17, 0x435c4141
	;; [unrolled: 1-line block ×3, first 2 shown]
	v_fma_f64 v[1:2], v[19:20], v[1:2], s[20:21]
	s_mov_b32 s20, 0xa621dd6f
	s_mov_b32 s21, 0xc03e78a4
	v_add_f64 v[13:14], v[19:20], s[20:21]
	v_fma_f64 v[9:10], v[19:20], v[9:10], s[18:19]
	v_fma_f64 v[1:2], v[19:20], v[1:2], s[22:23]
	v_mul_f64 v[11:12], v[11:12], v[13:14]
	v_fma_f64 v[1:2], v[19:20], v[1:2], s[16:17]
	s_mov_b32 s16, 0xc7b662cc
	s_mov_b32 s17, 0x43b7be34
	v_mul_f64 v[9:10], v[11:12], v[9:10]
	v_fma_f64 v[1:2], v[19:20], v[1:2], s[16:17]
                                        ; implicit-def: $vgpr19_vgpr20
	v_div_scale_f64 v[11:12], s[16:17], v[1:2], v[1:2], v[9:10]
	v_div_scale_f64 v[17:18], vcc, v[9:10], v[1:2], v[9:10]
	v_rcp_f64_e32 v[13:14], v[11:12]
	v_fma_f64 v[15:16], -v[11:12], v[13:14], 1.0
	v_fma_f64 v[13:14], v[13:14], v[15:16], v[13:14]
	v_fma_f64 v[15:16], -v[11:12], v[13:14], 1.0
	v_fma_f64 v[13:14], v[13:14], v[15:16], v[13:14]
	v_mul_f64 v[15:16], v[17:18], v[13:14]
	v_fma_f64 v[11:12], -v[11:12], v[15:16], v[17:18]
	v_div_fmas_f64 v[11:12], v[11:12], v[13:14], v[15:16]
	v_div_fixup_f64 v[9:10], v[11:12], v[1:2], v[9:10]
.LBB5_38:
	s_andn2_saveexec_b64 s[14:15], s[14:15]
	s_cbranch_execz .LBB5_40
; %bb.39:
	s_mov_b32 s16, 0
	s_mov_b32 s17, 0xbfd00000
	v_fma_f64 v[9:10], v[19:20], s[16:17], 1.0
.LBB5_40:
	s_or_b64 exec, exec, s[14:15]
                                        ; implicit-def: $vgpr19_vgpr20
.LBB5_41:
	s_andn2_saveexec_b64 s[14:15], s[4:5]
	s_cbranch_execz .LBB5_51
; %bb.42:
	s_mov_b32 s19, 0xbfe921fb
	s_mov_b32 s18, 0x54442d18
	v_add_f64 v[9:10], v[1:2], s[18:19]
	s_mov_b32 s4, 0
	s_mov_b32 s5, 0x41d00000
                                        ; implicit-def: $vgpr29
                                        ; implicit-def: $vgpr15_vgpr16
                                        ; implicit-def: $vgpr17_vgpr18
	v_trig_preop_f64 v[25:26], |v[9:10]|, 0
	v_trig_preop_f64 v[23:24], |v[9:10]|, 1
	;; [unrolled: 1-line block ×3, first 2 shown]
	v_cmp_nlt_f64_e64 s[16:17], |v[9:10]|, s[4:5]
	s_and_saveexec_b64 s[4:5], s[16:17]
	s_xor_b64 s[20:21], exec, s[4:5]
	s_cbranch_execz .LBB5_44
; %bb.43:
	s_mov_b32 s4, 0
	s_mov_b32 s5, 0x7b000000
	s_movk_i32 s19, 0xff80
	v_ldexp_f64 v[11:12], |v[9:10]|, s19
	v_cmp_ge_f64_e64 vcc, |v[9:10]|, s[4:5]
	v_and_b32_e32 v13, 0x7fffffff, v10
	s_mov_b32 s4, 0
	s_mov_b32 s5, 0x7ff00000
	v_mov_b32_e32 v41, 0x40100000
	v_mov_b32_e32 v40, 0
	s_mov_b32 s19, 0x3ff921fb
	v_cndmask_b32_e32 v12, v13, v12, vcc
	v_cndmask_b32_e32 v11, v9, v11, vcc
	v_mul_f64 v[13:14], v[25:26], v[11:12]
	v_mul_f64 v[15:16], v[23:24], v[11:12]
	v_mul_f64 v[34:35], v[21:22], v[11:12]
	v_fma_f64 v[17:18], v[25:26], v[11:12], -v[13:14]
	v_fma_f64 v[36:37], v[23:24], v[11:12], -v[15:16]
	;; [unrolled: 1-line block ×3, first 2 shown]
	v_add_f64 v[28:29], v[15:16], v[17:18]
	v_add_f64 v[30:31], v[28:29], -v[15:16]
	v_add_f64 v[38:39], v[13:14], v[28:29]
	v_add_f64 v[32:33], v[28:29], -v[30:31]
	v_add_f64 v[17:18], v[17:18], -v[30:31]
	v_add_f64 v[30:31], v[34:35], v[36:37]
	v_add_f64 v[13:14], v[38:39], -v[13:14]
	v_add_f64 v[15:16], v[15:16], -v[32:33]
	v_ldexp_f64 v[32:33], v[38:39], -2
	v_add_f64 v[42:43], v[30:31], -v[34:35]
	v_add_f64 v[13:14], v[28:29], -v[13:14]
	v_add_f64 v[15:16], v[17:18], v[15:16]
	v_fract_f64_e32 v[17:18], v[32:33]
	v_cmp_neq_f64_e64 vcc, |v[32:33]|, s[4:5]
	v_add_f64 v[36:37], v[36:37], -v[42:43]
	v_add_f64 v[28:29], v[30:31], v[15:16]
	v_ldexp_f64 v[17:18], v[17:18], 2
	v_add_f64 v[32:33], v[13:14], v[28:29]
	v_cndmask_b32_e32 v18, 0, v18, vcc
	v_cndmask_b32_e32 v17, 0, v17, vcc
	v_add_f64 v[44:45], v[28:29], -v[30:31]
	v_add_f64 v[38:39], v[32:33], v[17:18]
	v_add_f64 v[13:14], v[32:33], -v[13:14]
	v_add_f64 v[46:47], v[28:29], -v[44:45]
	;; [unrolled: 1-line block ×3, first 2 shown]
	v_cmp_gt_f64_e32 vcc, 0, v[38:39]
	v_add_f64 v[38:39], v[30:31], -v[42:43]
	v_add_f64 v[13:14], v[28:29], -v[13:14]
	;; [unrolled: 1-line block ×3, first 2 shown]
	v_cndmask_b32_e32 v41, 0, v41, vcc
	v_add_f64 v[17:18], v[17:18], v[40:41]
	v_add_f64 v[38:39], v[34:35], -v[38:39]
	v_add_f64 v[15:16], v[15:16], v[30:31]
	v_add_f64 v[48:49], v[32:33], v[17:18]
	;; [unrolled: 1-line block ×3, first 2 shown]
	v_cvt_i32_f64_e32 v43, v[48:49]
	v_add_f64 v[15:16], v[36:37], v[15:16]
	v_cvt_f64_i32_e32 v[41:42], v43
	v_add_f64 v[17:18], v[17:18], -v[41:42]
	v_add_f64 v[11:12], v[11:12], v[15:16]
	v_add_f64 v[30:31], v[32:33], v[17:18]
	;; [unrolled: 1-line block ×3, first 2 shown]
	v_add_f64 v[15:16], v[30:31], -v[17:18]
	v_cmp_le_f64_e32 vcc, 0.5, v[30:31]
	v_add_f64 v[13:14], v[32:33], -v[15:16]
	v_mov_b32_e32 v15, 0x3ff00000
	v_cndmask_b32_e32 v41, 0, v15, vcc
	v_addc_co_u32_e64 v29, s[4:5], 0, v43, vcc
	s_mov_b32 s4, 0x33145c07
	s_mov_b32 s5, 0x3c91a626
	v_add_f64 v[11:12], v[11:12], v[13:14]
	v_add_f64 v[13:14], v[30:31], -v[40:41]
	v_add_f64 v[15:16], v[13:14], v[11:12]
	v_mul_f64 v[17:18], v[15:16], s[18:19]
	v_add_f64 v[13:14], v[15:16], -v[13:14]
	v_fma_f64 v[30:31], v[15:16], s[18:19], -v[17:18]
	v_add_f64 v[11:12], v[11:12], -v[13:14]
	v_fma_f64 v[13:14], v[15:16], s[4:5], v[30:31]
	v_fma_f64 v[11:12], v[11:12], s[18:19], v[13:14]
	v_add_f64 v[15:16], v[17:18], v[11:12]
	v_add_f64 v[13:14], v[15:16], -v[17:18]
	v_add_f64 v[17:18], v[11:12], -v[13:14]
	s_andn2_saveexec_b64 s[4:5], s[20:21]
	s_cbranch_execz .LBB5_46
	s_branch .LBB5_45
.LBB5_44:
	s_andn2_saveexec_b64 s[4:5], s[20:21]
	s_cbranch_execz .LBB5_46
.LBB5_45:
	s_mov_b32 s18, 0x6dc9c883
	s_mov_b32 s19, 0x3fe45f30
	v_mul_f64 v[11:12], |v[9:10]|, s[18:19]
	s_mov_b32 s18, 0x54442d18
	s_mov_b32 s19, 0xbff921fb
	;; [unrolled: 1-line block ×4, first 2 shown]
	v_rndne_f64_e32 v[11:12], v[11:12]
	v_fma_f64 v[13:14], v[11:12], s[18:19], |v[9:10]|
	v_mul_f64 v[15:16], v[11:12], s[20:21]
	s_mov_b32 s18, 0x252049c0
	s_mov_b32 s19, 0xb97b839a
	v_add_f64 v[17:18], v[13:14], v[15:16]
	v_add_f64 v[28:29], v[13:14], -v[17:18]
	v_fma_f64 v[13:14], v[11:12], s[20:21], v[13:14]
	s_mov_b32 s21, 0x3c91a626
	v_add_f64 v[28:29], v[28:29], v[15:16]
	v_add_f64 v[17:18], v[17:18], -v[13:14]
	v_fma_f64 v[15:16], v[11:12], s[20:21], v[15:16]
	v_add_f64 v[17:18], v[17:18], v[28:29]
	v_cvt_i32_f64_e32 v29, v[11:12]
	v_add_f64 v[15:16], v[17:18], -v[15:16]
	v_fma_f64 v[17:18], v[11:12], s[18:19], v[15:16]
	v_add_f64 v[15:16], v[13:14], v[17:18]
	v_add_f64 v[13:14], v[15:16], -v[13:14]
	v_add_f64 v[17:18], v[17:18], -v[13:14]
.LBB5_46:
	s_or_b64 exec, exec, s[4:5]
                                        ; implicit-def: $vgpr28
                                        ; implicit-def: $vgpr11_vgpr12
                                        ; implicit-def: $vgpr13_vgpr14
	s_and_saveexec_b64 s[4:5], s[16:17]
	s_xor_b64 s[16:17], exec, s[4:5]
	s_cbranch_execz .LBB5_48
; %bb.47:
	s_mov_b32 s4, 0
	s_mov_b32 s5, 0x7b000000
	s_movk_i32 s18, 0xff80
	v_ldexp_f64 v[11:12], |v[9:10]|, s18
	v_cmp_ge_f64_e64 vcc, |v[9:10]|, s[4:5]
	v_and_b32_e32 v13, 0x7fffffff, v10
	s_mov_b32 s4, 0
	s_mov_b32 s5, 0x7ff00000
	v_mov_b32_e32 v28, 0x40100000
	v_mov_b32_e32 v42, 0
	s_mov_b32 s18, 0x33145c07
	s_mov_b32 s19, 0x3c91a626
	v_cndmask_b32_e32 v12, v13, v12, vcc
	v_cndmask_b32_e32 v11, v9, v11, vcc
	v_mul_f64 v[13:14], v[25:26], v[11:12]
	v_mul_f64 v[30:31], v[23:24], v[11:12]
	;; [unrolled: 1-line block ×3, first 2 shown]
	v_fma_f64 v[25:26], v[25:26], v[11:12], -v[13:14]
	v_fma_f64 v[23:24], v[23:24], v[11:12], -v[30:31]
	;; [unrolled: 1-line block ×3, first 2 shown]
	v_add_f64 v[32:33], v[30:31], v[25:26]
	v_add_f64 v[34:35], v[32:33], -v[30:31]
	v_add_f64 v[40:41], v[13:14], v[32:33]
	v_add_f64 v[36:37], v[32:33], -v[34:35]
	v_add_f64 v[25:26], v[25:26], -v[34:35]
	v_add_f64 v[34:35], v[38:39], v[23:24]
	v_add_f64 v[13:14], v[40:41], -v[13:14]
	v_add_f64 v[30:31], v[30:31], -v[36:37]
	v_ldexp_f64 v[36:37], v[40:41], -2
	v_add_f64 v[44:45], v[34:35], -v[38:39]
	v_add_f64 v[13:14], v[32:33], -v[13:14]
	v_add_f64 v[25:26], v[25:26], v[30:31]
	v_fract_f64_e32 v[30:31], v[36:37]
	v_cmp_neq_f64_e64 vcc, |v[36:37]|, s[4:5]
	v_add_f64 v[23:24], v[23:24], -v[44:45]
	v_add_f64 v[32:33], v[34:35], v[25:26]
	v_ldexp_f64 v[30:31], v[30:31], 2
	v_add_f64 v[36:37], v[13:14], v[32:33]
	v_cndmask_b32_e32 v31, 0, v31, vcc
	v_cndmask_b32_e32 v30, 0, v30, vcc
	v_add_f64 v[46:47], v[32:33], -v[34:35]
	v_add_f64 v[40:41], v[36:37], v[30:31]
	v_add_f64 v[13:14], v[36:37], -v[13:14]
	v_add_f64 v[48:49], v[32:33], -v[46:47]
	;; [unrolled: 1-line block ×3, first 2 shown]
	v_cmp_gt_f64_e32 vcc, 0, v[40:41]
	v_add_f64 v[40:41], v[34:35], -v[44:45]
	v_add_f64 v[13:14], v[32:33], -v[13:14]
	;; [unrolled: 1-line block ×3, first 2 shown]
	v_cndmask_b32_e32 v43, 0, v28, vcc
	v_add_f64 v[30:31], v[30:31], v[42:43]
	v_add_f64 v[40:41], v[38:39], -v[40:41]
	v_add_f64 v[25:26], v[25:26], v[34:35]
	v_add_f64 v[50:51], v[36:37], v[30:31]
	;; [unrolled: 1-line block ×3, first 2 shown]
	v_cvt_i32_f64_e32 v28, v[50:51]
	v_add_f64 v[21:22], v[23:24], v[25:26]
	v_cvt_f64_i32_e32 v[43:44], v28
	v_add_f64 v[30:31], v[30:31], -v[43:44]
	v_add_f64 v[11:12], v[11:12], v[21:22]
	v_add_f64 v[23:24], v[36:37], v[30:31]
	;; [unrolled: 1-line block ×3, first 2 shown]
	v_add_f64 v[21:22], v[23:24], -v[30:31]
	v_cmp_le_f64_e32 vcc, 0.5, v[23:24]
	v_add_f64 v[13:14], v[36:37], -v[21:22]
	v_mov_b32_e32 v21, 0x3ff00000
	v_cndmask_b32_e32 v43, 0, v21, vcc
	v_addc_co_u32_e64 v28, s[4:5], 0, v28, vcc
	s_mov_b32 s4, 0x54442d18
	s_mov_b32 s5, 0x3ff921fb
	v_add_f64 v[11:12], v[11:12], v[13:14]
	v_add_f64 v[13:14], v[23:24], -v[42:43]
	v_add_f64 v[21:22], v[13:14], v[11:12]
	v_mul_f64 v[23:24], v[21:22], s[4:5]
	v_add_f64 v[13:14], v[21:22], -v[13:14]
	v_fma_f64 v[25:26], v[21:22], s[4:5], -v[23:24]
	v_add_f64 v[11:12], v[11:12], -v[13:14]
	v_fma_f64 v[13:14], v[21:22], s[18:19], v[25:26]
	v_fma_f64 v[13:14], v[11:12], s[4:5], v[13:14]
	v_add_f64 v[11:12], v[23:24], v[13:14]
	v_add_f64 v[21:22], v[11:12], -v[23:24]
	v_add_f64 v[13:14], v[13:14], -v[21:22]
	s_andn2_saveexec_b64 s[4:5], s[16:17]
	s_cbranch_execnz .LBB5_49
	s_branch .LBB5_50
.LBB5_48:
	s_andn2_saveexec_b64 s[4:5], s[16:17]
	s_cbranch_execz .LBB5_50
.LBB5_49:
	s_mov_b32 s16, 0x6dc9c883
	s_mov_b32 s17, 0x3fe45f30
	v_mul_f64 v[11:12], |v[9:10]|, s[16:17]
	s_mov_b32 s16, 0x54442d18
	s_mov_b32 s17, 0xbff921fb
	;; [unrolled: 1-line block ×4, first 2 shown]
	v_rndne_f64_e32 v[21:22], v[11:12]
	v_fma_f64 v[11:12], v[21:22], s[16:17], |v[9:10]|
	v_mul_f64 v[13:14], v[21:22], s[18:19]
	s_mov_b32 s16, 0x252049c0
	s_mov_b32 s17, 0xb97b839a
	v_cvt_i32_f64_e32 v28, v[21:22]
	v_fma_f64 v[30:31], v[21:22], s[18:19], v[11:12]
	v_add_f64 v[23:24], v[11:12], v[13:14]
	s_mov_b32 s19, 0x3c91a626
	v_add_f64 v[25:26], v[11:12], -v[23:24]
	v_add_f64 v[23:24], v[23:24], -v[30:31]
	v_add_f64 v[11:12], v[25:26], v[13:14]
	v_fma_f64 v[13:14], v[21:22], s[18:19], v[13:14]
	v_add_f64 v[11:12], v[23:24], v[11:12]
	v_add_f64 v[11:12], v[11:12], -v[13:14]
	v_fma_f64 v[13:14], v[21:22], s[16:17], v[11:12]
	v_add_f64 v[11:12], v[30:31], v[13:14]
	v_add_f64 v[23:24], v[11:12], -v[30:31]
	v_add_f64 v[13:14], v[13:14], -v[23:24]
.LBB5_50:
	s_or_b64 exec, exec, s[4:5]
	s_mov_b32 s4, 0
	s_mov_b32 s5, 0x40390000
	v_div_scale_f64 v[21:22], s[16:17], v[19:20], v[19:20], s[4:5]
	s_mov_b32 s16, 0x46cc5e42
	s_mov_b32 s17, 0xbda907db
	;; [unrolled: 1-line block ×14, first 2 shown]
	v_rcp_f64_e32 v[23:24], v[21:22]
	s_mov_b32 s30, 0x19e83e5c
	s_mov_b32 s31, 0xbf2a01a0
	s_mov_b32 s34, 0x11110bb3
	s_mov_b32 s35, 0x3f811111
	v_mul_f64 v[40:41], v[17:18], 0.5
	s_mov_b32 s37, 0xbfc55555
	s_mov_b32 s36, s24
	;; [unrolled: 1-line block ×4, first 2 shown]
	v_fma_f64 v[25:26], -v[21:22], v[23:24], 1.0
	v_fma_f64 v[23:24], v[23:24], v[25:26], v[23:24]
	v_fma_f64 v[25:26], -v[21:22], v[23:24], 1.0
	v_fma_f64 v[23:24], v[23:24], v[25:26], v[23:24]
	v_div_scale_f64 v[25:26], vcc, s[4:5], v[19:20], s[4:5]
	v_mul_f64 v[30:31], v[25:26], v[23:24]
	v_fma_f64 v[21:22], -v[21:22], v[30:31], v[25:26]
	s_nop 1
	v_div_fmas_f64 v[21:22], v[21:22], v[23:24], v[30:31]
	v_mov_b32_e32 v30, 0x413c25ac
	v_mov_b32_e32 v31, 0x40501457
	v_div_fixup_f64 v[21:22], v[21:22], v[19:20], s[4:5]
	v_mov_b32_e32 v19, 0x983b6b27
	v_mov_b32_e32 v20, 0x3f4a1d30
	s_mov_b32 s4, 0xb35dd1cf
	s_mov_b32 s5, 0x3fb534b0
	v_fma_f64 v[19:20], v[21:22], 0, v[19:20]
	v_fma_f64 v[30:31], v[21:22], 0, v[30:31]
	;; [unrolled: 1-line block ×3, first 2 shown]
	s_mov_b32 s4, 0x4e680b98
	s_mov_b32 s5, 0x3ff3d521
	v_fma_f64 v[19:20], v[21:22], v[19:20], s[4:5]
	s_mov_b32 s4, 0xe97a0956
	s_mov_b32 s5, 0x4015c9fb
	v_fma_f64 v[19:20], v[21:22], v[19:20], s[4:5]
	;; [unrolled: 3-line block ×4, first 2 shown]
	v_mov_b32_e32 v19, 0xce039737
	v_mov_b32_e32 v20, 0x3f4e4a80
	v_fma_f64 v[19:20], v[21:22], 0, v[19:20]
	s_mov_b32 s4, 0xab5454e3
	s_mov_b32 s5, 0x3fb5ebc5
	v_fma_f64 v[19:20], v[21:22], v[19:20], s[4:5]
	s_mov_b32 s4, 0xc9b3069f
	s_mov_b32 s5, 0x3ff40e72
	;; [unrolled: 3-line block ×6, first 2 shown]
	v_fma_f64 v[25:26], v[21:22], v[19:20], 1.0
	v_mov_b32_e32 v19, 0x38a5384a
	v_mov_b32_e32 v20, 0xbf874742
	v_fma_f64 v[19:20], v[21:22], 0, v[19:20]
	v_fma_f64 v[19:20], v[21:22], v[19:20], s[4:5]
	s_mov_b32 s4, 0xf50e2c0c
	s_mov_b32 s5, 0xc0338dcf
	v_fma_f64 v[19:20], v[21:22], v[19:20], s[4:5]
	s_mov_b32 s4, 0x5a6de8c4
	s_mov_b32 s5, 0xc0574d2f
	;; [unrolled: 3-line block ×12, first 2 shown]
	v_fma_f64 v[30:31], v[21:22], v[30:31], s[4:5]
	v_fma_f64 v[21:22], v[21:22], v[23:24], 1.0
	v_div_scale_f64 v[23:24], s[4:5], v[25:26], v[25:26], v[21:22]
	s_mov_b32 s4, 0x9037ab78
	s_mov_b32 s5, 0x3e21eeb6
	v_rcp_f64_e32 v[32:33], v[23:24]
	v_fma_f64 v[34:35], -v[23:24], v[32:33], 1.0
	v_fma_f64 v[32:33], v[32:33], v[34:35], v[32:33]
	v_fma_f64 v[34:35], -v[23:24], v[32:33], 1.0
	v_fma_f64 v[32:33], v[32:33], v[34:35], v[32:33]
	v_div_scale_f64 v[34:35], vcc, v[21:22], v[25:26], v[21:22]
	v_mul_f64 v[36:37], v[34:35], v[32:33]
	v_fma_f64 v[23:24], -v[23:24], v[36:37], v[34:35]
	s_nop 1
	v_div_fmas_f64 v[23:24], v[23:24], v[32:33], v[36:37]
	v_mov_b32_e32 v37, s5
	v_mov_b32_e32 v36, s4
	s_mov_b32 s4, 0xb42fdfa7
	s_mov_b32 s5, 0xbe5ae600
	v_div_fixup_f64 v[21:22], v[23:24], v[25:26], v[21:22]
	v_mul_f64 v[23:24], v[15:16], v[15:16]
	v_mul_f64 v[25:26], v[23:24], 0.5
	v_fma_f64 v[38:39], v[23:24], s[16:17], v[36:37]
	v_add_f64 v[32:33], -v[25:26], 1.0
	v_fma_f64 v[38:39], v[23:24], v[38:39], s[18:19]
	v_add_f64 v[34:35], -v[32:33], 1.0
	v_fma_f64 v[38:39], v[23:24], v[38:39], s[20:21]
	v_add_f64 v[25:26], v[34:35], -v[25:26]
	v_fma_f64 v[38:39], v[23:24], v[38:39], s[22:23]
	v_mul_f64 v[34:35], v[23:24], v[23:24]
	v_fma_f64 v[25:26], v[15:16], -v[17:18], v[25:26]
	v_fma_f64 v[38:39], v[23:24], v[38:39], s[24:25]
	v_fma_f64 v[25:26], v[34:35], v[38:39], v[25:26]
	v_mul_f64 v[38:39], v[15:16], -v[23:24]
	v_add_f64 v[25:26], v[32:33], v[25:26]
	v_mov_b32_e32 v33, s5
	v_mov_b32_e32 v32, s4
	v_fma_f64 v[34:35], v[23:24], s[26:27], v[32:33]
	s_movk_i32 s4, 0x1f8
	v_cmp_class_f64_e64 s[4:5], v[9:10], s4
	v_and_b32_e32 v9, 1, v28
	v_fma_f64 v[34:35], v[23:24], v[34:35], s[28:29]
	v_fma_f64 v[34:35], v[23:24], v[34:35], s[30:31]
	;; [unrolled: 1-line block ×4, first 2 shown]
	v_mov_b32_e32 v40, 0x7ff80000
	v_fma_f64 v[17:18], v[23:24], v[34:35], -v[17:18]
	v_fma_f64 v[17:18], v[38:39], s[36:37], v[17:18]
	v_add_f64 v[15:16], v[15:16], -v[17:18]
	v_and_b32_e32 v17, 1, v29
	v_cmp_eq_u32_e32 vcc, 0, v17
	v_lshlrev_b32_e32 v17, 30, v29
	v_and_b32_e32 v17, 0x80000000, v17
	v_xor_b32_e32 v16, 0x80000000, v16
	v_cndmask_b32_e32 v16, v16, v26, vcc
	v_xor_b32_e32 v16, v16, v17
	v_div_scale_f64 v[17:18], s[40:41], v[1:2], v[1:2], s[38:39]
	v_cndmask_b32_e32 v15, v15, v25, vcc
	v_cndmask_b32_e64 v15, 0, v15, s[4:5]
	v_cndmask_b32_e64 v16, v40, v16, s[4:5]
	v_rcp_f64_e32 v[23:24], v[17:18]
	v_fma_f64 v[25:26], -v[17:18], v[23:24], 1.0
	v_fma_f64 v[23:24], v[23:24], v[25:26], v[23:24]
	v_fma_f64 v[25:26], -v[17:18], v[23:24], 1.0
	v_fma_f64 v[23:24], v[23:24], v[25:26], v[23:24]
	v_div_scale_f64 v[25:26], vcc, s[38:39], v[1:2], s[38:39]
	v_mul_f64 v[34:35], v[25:26], v[23:24]
	v_fma_f64 v[17:18], -v[17:18], v[34:35], v[25:26]
	s_nop 1
	v_div_fmas_f64 v[17:18], v[17:18], v[23:24], v[34:35]
	v_div_fixup_f64 v[17:18], v[17:18], v[1:2], s[38:39]
	v_div_scale_f64 v[23:24], s[38:39], v[30:31], v[30:31], v[19:20]
	v_rcp_f64_e32 v[25:26], v[23:24]
	v_fma_f64 v[34:35], -v[23:24], v[25:26], 1.0
	v_fma_f64 v[25:26], v[25:26], v[34:35], v[25:26]
	v_fma_f64 v[34:35], -v[23:24], v[25:26], 1.0
	v_fma_f64 v[25:26], v[25:26], v[34:35], v[25:26]
	v_div_scale_f64 v[34:35], vcc, v[19:20], v[30:31], v[19:20]
	v_mul_f64 v[38:39], v[34:35], v[25:26]
	v_fma_f64 v[23:24], -v[23:24], v[38:39], v[34:35]
	s_nop 1
	v_div_fmas_f64 v[23:24], v[23:24], v[25:26], v[38:39]
	v_cmp_eq_u32_e32 vcc, 0, v9
	v_div_fixup_f64 v[19:20], v[23:24], v[30:31], v[19:20]
	v_mul_f64 v[17:18], v[17:18], v[19:20]
	v_mul_f64 v[19:20], v[11:12], v[11:12]
	v_mul_f64 v[23:24], v[19:20], 0.5
	v_fma_f64 v[34:35], v[19:20], s[16:17], v[36:37]
	v_add_f64 v[25:26], -v[23:24], 1.0
	v_fma_f64 v[34:35], v[19:20], v[34:35], s[18:19]
	v_add_f64 v[29:30], -v[25:26], 1.0
	v_fma_f64 v[34:35], v[19:20], v[34:35], s[20:21]
	v_add_f64 v[23:24], v[29:30], -v[23:24]
	v_fma_f64 v[34:35], v[19:20], v[34:35], s[22:23]
	v_mul_f64 v[29:30], v[19:20], v[19:20]
	v_fma_f64 v[23:24], v[11:12], -v[13:14], v[23:24]
	v_fma_f64 v[34:35], v[19:20], v[34:35], s[24:25]
	v_fma_f64 v[23:24], v[29:30], v[34:35], v[23:24]
	v_mul_f64 v[29:30], v[11:12], -v[19:20]
	v_add_f64 v[23:24], v[25:26], v[23:24]
	v_fma_f64 v[25:26], v[19:20], s[26:27], v[32:33]
	v_mul_f64 v[31:32], v[13:14], 0.5
	v_fma_f64 v[25:26], v[19:20], v[25:26], s[28:29]
	v_fma_f64 v[25:26], v[19:20], v[25:26], s[30:31]
	v_fma_f64 v[25:26], v[19:20], v[25:26], s[34:35]
	v_fma_f64 v[25:26], v[29:30], v[25:26], v[31:32]
	v_fma_f64 v[13:14], v[19:20], v[25:26], -v[13:14]
	v_fma_f64 v[13:14], v[29:30], s[36:37], v[13:14]
	v_add_f64 v[11:12], v[11:12], -v[13:14]
	v_cndmask_b32_e32 v9, v23, v11, vcc
	v_cndmask_b32_e32 v11, v24, v12, vcc
	v_lshlrev_b32_e32 v12, 30, v28
	v_xor_b32_e32 v10, v12, v10
	v_and_b32_e32 v10, 0x80000000, v10
	v_xor_b32_e32 v10, v11, v10
	v_cndmask_b32_e64 v9, 0, v9, s[4:5]
	v_cndmask_b32_e64 v10, v40, v10, s[4:5]
	v_mul_f64 v[9:10], v[17:18], v[9:10]
	s_mov_b32 s4, 0x33d43651
	s_mov_b32 s5, 0x3fe98845
	v_mov_b32_e32 v11, 0x100
	v_fma_f64 v[9:10], v[21:22], v[15:16], v[9:10]
	v_mul_f64 v[9:10], v[9:10], s[4:5]
	s_mov_b32 s4, 0
	s_brev_b32 s5, 8
	v_cmp_gt_f64_e32 vcc, s[4:5], v[1:2]
	v_cndmask_b32_e32 v11, 0, v11, vcc
	v_ldexp_f64 v[1:2], v[1:2], v11
	v_rsq_f64_e32 v[11:12], v[1:2]
	v_mul_f64 v[13:14], v[1:2], v[11:12]
	v_mul_f64 v[11:12], v[11:12], 0.5
	v_fma_f64 v[15:16], -v[11:12], v[13:14], 0.5
	v_fma_f64 v[13:14], v[13:14], v[15:16], v[13:14]
	v_fma_f64 v[11:12], v[11:12], v[15:16], v[11:12]
	v_fma_f64 v[17:18], -v[13:14], v[13:14], v[1:2]
	v_fma_f64 v[13:14], v[17:18], v[11:12], v[13:14]
	v_fma_f64 v[15:16], -v[13:14], v[13:14], v[1:2]
	v_fma_f64 v[11:12], v[15:16], v[11:12], v[13:14]
	v_mov_b32_e32 v13, 0xffffff80
	v_cndmask_b32_e32 v13, 0, v13, vcc
	v_ldexp_f64 v[11:12], v[11:12], v13
	v_mov_b32_e32 v13, 0x260
	v_cmp_class_f64_e32 vcc, v[1:2], v13
	v_cndmask_b32_e32 v2, v12, v2, vcc
	v_cndmask_b32_e32 v1, v11, v1, vcc
	v_div_scale_f64 v[11:12], s[4:5], v[1:2], v[1:2], v[9:10]
	v_rcp_f64_e32 v[13:14], v[11:12]
	v_fma_f64 v[15:16], -v[11:12], v[13:14], 1.0
	v_fma_f64 v[13:14], v[13:14], v[15:16], v[13:14]
	v_fma_f64 v[15:16], -v[11:12], v[13:14], 1.0
	v_fma_f64 v[13:14], v[13:14], v[15:16], v[13:14]
	v_div_scale_f64 v[15:16], vcc, v[9:10], v[1:2], v[9:10]
	v_mul_f64 v[17:18], v[15:16], v[13:14]
	v_fma_f64 v[11:12], -v[11:12], v[17:18], v[15:16]
	s_nop 1
	v_div_fmas_f64 v[11:12], v[11:12], v[13:14], v[17:18]
	v_div_fixup_f64 v[9:10], v[11:12], v[1:2], v[9:10]
.LBB5_51:
	s_or_b64 exec, exec, s[14:15]
	v_cmp_gt_f64_e32 vcc, 0, v[3:4]
	v_xor_b32_e32 v1, 0x80000000, v4
	s_mov_b32 s4, 0
	s_mov_b32 s5, 0x40140000
	v_cndmask_b32_e32 v4, v4, v1, vcc
	v_cmp_ge_f64_e32 vcc, s[4:5], v[3:4]
	v_mul_f64 v[19:20], v[3:4], v[3:4]
	s_and_saveexec_b64 s[4:5], vcc
	s_xor_b64 s[4:5], exec, s[4:5]
	s_cbranch_execz .LBB5_57
; %bb.52:
	s_mov_b32 s14, 0x88e368f1
	s_mov_b32 s15, 0x3ee4f8b5
	v_cmp_ngt_f64_e32 vcc, s[14:15], v[3:4]
	s_and_saveexec_b64 s[14:15], vcc
	s_xor_b64 s[14:15], exec, s[14:15]
	s_cbranch_execz .LBB5_54
; %bb.53:
	v_mov_b32_e32 v1, 0xa696b78c
	v_mov_b32_e32 v2, 0x407f3902
	v_fma_f64 v[1:2], v[19:20], 0, v[1:2]
	s_mov_b32 s16, 0x36a21a67
	s_mov_b32 s17, 0x410536cb
	s_mov_b32 s18, 0x9444914
	v_mov_b32_e32 v3, 0xad1c8325
	v_mov_b32_e32 v4, 0xc1f1dc53
	s_mov_b32 s19, 0x4204d5b0
	v_fma_f64 v[3:4], v[19:20], 0, v[3:4]
	v_fma_f64 v[1:2], v[19:20], v[1:2], s[16:17]
	s_mov_b32 s16, 0x2eac0634
	s_mov_b32 s17, 0x41871934
	;; [unrolled: 1-line block ×6, first 2 shown]
	v_fma_f64 v[1:2], v[19:20], v[1:2], s[16:17]
	s_mov_b32 s16, 0xc772990d
	s_mov_b32 s17, 0x427c7751
	v_fma_f64 v[3:4], v[19:20], v[3:4], s[16:17]
	s_mov_b32 s16, 0x80462bbb
	s_mov_b32 s17, 0xc01721fb
	v_add_f64 v[11:12], v[19:20], s[16:17]
	s_mov_b32 s16, 0x7e7b2e9c
	v_fma_f64 v[1:2], v[19:20], v[1:2], s[18:19]
	s_mov_b32 s18, 0xe0d900f7
	s_mov_b32 s19, 0xc2ec5614
	v_fma_f64 v[3:4], v[19:20], v[3:4], s[18:19]
	s_mov_b32 s18, 0x69ff5fb4
	s_mov_b32 s17, 0x435c4141
	;; [unrolled: 1-line block ×3, first 2 shown]
	v_fma_f64 v[1:2], v[19:20], v[1:2], s[20:21]
	s_mov_b32 s20, 0xa621dd6f
	s_mov_b32 s21, 0xc03e78a4
	v_add_f64 v[13:14], v[19:20], s[20:21]
	v_fma_f64 v[3:4], v[19:20], v[3:4], s[18:19]
	v_fma_f64 v[1:2], v[19:20], v[1:2], s[22:23]
	v_mul_f64 v[11:12], v[11:12], v[13:14]
	v_fma_f64 v[1:2], v[19:20], v[1:2], s[16:17]
	s_mov_b32 s16, 0xc7b662cc
	s_mov_b32 s17, 0x43b7be34
	v_mul_f64 v[3:4], v[11:12], v[3:4]
	v_fma_f64 v[1:2], v[19:20], v[1:2], s[16:17]
                                        ; implicit-def: $vgpr19_vgpr20
	v_div_scale_f64 v[11:12], s[16:17], v[1:2], v[1:2], v[3:4]
	v_div_scale_f64 v[17:18], vcc, v[3:4], v[1:2], v[3:4]
	v_rcp_f64_e32 v[13:14], v[11:12]
	v_fma_f64 v[15:16], -v[11:12], v[13:14], 1.0
	v_fma_f64 v[13:14], v[13:14], v[15:16], v[13:14]
	v_fma_f64 v[15:16], -v[11:12], v[13:14], 1.0
	v_fma_f64 v[13:14], v[13:14], v[15:16], v[13:14]
	v_mul_f64 v[15:16], v[17:18], v[13:14]
	v_fma_f64 v[11:12], -v[11:12], v[15:16], v[17:18]
	v_div_fmas_f64 v[11:12], v[11:12], v[13:14], v[15:16]
	v_div_fixup_f64 v[11:12], v[11:12], v[1:2], v[3:4]
.LBB5_54:
	s_andn2_saveexec_b64 s[14:15], s[14:15]
	s_cbranch_execz .LBB5_56
; %bb.55:
	s_mov_b32 s16, 0
	s_mov_b32 s17, 0xbfd00000
	v_fma_f64 v[11:12], v[19:20], s[16:17], 1.0
.LBB5_56:
	s_or_b64 exec, exec, s[14:15]
                                        ; implicit-def: $vgpr19_vgpr20
                                        ; implicit-def: $vgpr3_vgpr4
.LBB5_57:
	s_andn2_saveexec_b64 s[14:15], s[4:5]
	s_cbranch_execz .LBB5_67
; %bb.58:
	s_mov_b32 s19, 0xbfe921fb
	s_mov_b32 s18, 0x54442d18
	v_add_f64 v[1:2], v[3:4], s[18:19]
	s_mov_b32 s4, 0
	s_mov_b32 s5, 0x41d00000
                                        ; implicit-def: $vgpr29
                                        ; implicit-def: $vgpr15_vgpr16
                                        ; implicit-def: $vgpr17_vgpr18
	v_trig_preop_f64 v[25:26], |v[1:2]|, 0
	v_trig_preop_f64 v[23:24], |v[1:2]|, 1
	;; [unrolled: 1-line block ×3, first 2 shown]
	v_cmp_nlt_f64_e64 s[16:17], |v[1:2]|, s[4:5]
	s_and_saveexec_b64 s[4:5], s[16:17]
	s_xor_b64 s[20:21], exec, s[4:5]
	s_cbranch_execz .LBB5_60
; %bb.59:
	s_mov_b32 s4, 0
	s_mov_b32 s5, 0x7b000000
	s_movk_i32 s19, 0xff80
	v_ldexp_f64 v[11:12], |v[1:2]|, s19
	v_cmp_ge_f64_e64 vcc, |v[1:2]|, s[4:5]
	v_and_b32_e32 v13, 0x7fffffff, v2
	s_mov_b32 s4, 0
	s_mov_b32 s5, 0x7ff00000
	v_mov_b32_e32 v41, 0x40100000
	v_mov_b32_e32 v40, 0
	s_mov_b32 s19, 0x3ff921fb
	v_cndmask_b32_e32 v12, v13, v12, vcc
	v_cndmask_b32_e32 v11, v1, v11, vcc
	v_mul_f64 v[13:14], v[25:26], v[11:12]
	v_mul_f64 v[15:16], v[23:24], v[11:12]
	;; [unrolled: 1-line block ×3, first 2 shown]
	v_fma_f64 v[17:18], v[25:26], v[11:12], -v[13:14]
	v_fma_f64 v[36:37], v[23:24], v[11:12], -v[15:16]
	;; [unrolled: 1-line block ×3, first 2 shown]
	v_add_f64 v[28:29], v[15:16], v[17:18]
	v_add_f64 v[30:31], v[28:29], -v[15:16]
	v_add_f64 v[38:39], v[13:14], v[28:29]
	v_add_f64 v[32:33], v[28:29], -v[30:31]
	v_add_f64 v[17:18], v[17:18], -v[30:31]
	v_add_f64 v[30:31], v[34:35], v[36:37]
	v_add_f64 v[13:14], v[38:39], -v[13:14]
	v_add_f64 v[15:16], v[15:16], -v[32:33]
	v_ldexp_f64 v[32:33], v[38:39], -2
	v_add_f64 v[42:43], v[30:31], -v[34:35]
	v_add_f64 v[13:14], v[28:29], -v[13:14]
	v_add_f64 v[15:16], v[17:18], v[15:16]
	v_fract_f64_e32 v[17:18], v[32:33]
	v_cmp_neq_f64_e64 vcc, |v[32:33]|, s[4:5]
	v_add_f64 v[36:37], v[36:37], -v[42:43]
	v_add_f64 v[28:29], v[30:31], v[15:16]
	v_ldexp_f64 v[17:18], v[17:18], 2
	v_add_f64 v[32:33], v[13:14], v[28:29]
	v_cndmask_b32_e32 v18, 0, v18, vcc
	v_cndmask_b32_e32 v17, 0, v17, vcc
	v_add_f64 v[44:45], v[28:29], -v[30:31]
	v_add_f64 v[38:39], v[32:33], v[17:18]
	v_add_f64 v[13:14], v[32:33], -v[13:14]
	v_add_f64 v[46:47], v[28:29], -v[44:45]
	;; [unrolled: 1-line block ×3, first 2 shown]
	v_cmp_gt_f64_e32 vcc, 0, v[38:39]
	v_add_f64 v[38:39], v[30:31], -v[42:43]
	v_add_f64 v[13:14], v[28:29], -v[13:14]
	;; [unrolled: 1-line block ×3, first 2 shown]
	v_cndmask_b32_e32 v41, 0, v41, vcc
	v_add_f64 v[17:18], v[17:18], v[40:41]
	v_add_f64 v[38:39], v[34:35], -v[38:39]
	v_add_f64 v[15:16], v[15:16], v[30:31]
	v_add_f64 v[48:49], v[32:33], v[17:18]
	;; [unrolled: 1-line block ×3, first 2 shown]
	v_cvt_i32_f64_e32 v43, v[48:49]
	v_add_f64 v[15:16], v[36:37], v[15:16]
	v_cvt_f64_i32_e32 v[41:42], v43
	v_add_f64 v[17:18], v[17:18], -v[41:42]
	v_add_f64 v[11:12], v[11:12], v[15:16]
	v_add_f64 v[30:31], v[32:33], v[17:18]
	;; [unrolled: 1-line block ×3, first 2 shown]
	v_add_f64 v[15:16], v[30:31], -v[17:18]
	v_cmp_le_f64_e32 vcc, 0.5, v[30:31]
	v_add_f64 v[13:14], v[32:33], -v[15:16]
	v_mov_b32_e32 v15, 0x3ff00000
	v_cndmask_b32_e32 v41, 0, v15, vcc
	v_addc_co_u32_e64 v29, s[4:5], 0, v43, vcc
	s_mov_b32 s4, 0x33145c07
	s_mov_b32 s5, 0x3c91a626
	v_add_f64 v[11:12], v[11:12], v[13:14]
	v_add_f64 v[13:14], v[30:31], -v[40:41]
	v_add_f64 v[15:16], v[13:14], v[11:12]
	v_mul_f64 v[17:18], v[15:16], s[18:19]
	v_add_f64 v[13:14], v[15:16], -v[13:14]
	v_fma_f64 v[30:31], v[15:16], s[18:19], -v[17:18]
	v_add_f64 v[11:12], v[11:12], -v[13:14]
	v_fma_f64 v[13:14], v[15:16], s[4:5], v[30:31]
	v_fma_f64 v[11:12], v[11:12], s[18:19], v[13:14]
	v_add_f64 v[15:16], v[17:18], v[11:12]
	v_add_f64 v[13:14], v[15:16], -v[17:18]
	v_add_f64 v[17:18], v[11:12], -v[13:14]
	s_andn2_saveexec_b64 s[4:5], s[20:21]
	s_cbranch_execz .LBB5_62
	s_branch .LBB5_61
.LBB5_60:
	s_andn2_saveexec_b64 s[4:5], s[20:21]
	s_cbranch_execz .LBB5_62
.LBB5_61:
	s_mov_b32 s18, 0x6dc9c883
	s_mov_b32 s19, 0x3fe45f30
	v_mul_f64 v[11:12], |v[1:2]|, s[18:19]
	s_mov_b32 s18, 0x54442d18
	s_mov_b32 s19, 0xbff921fb
	;; [unrolled: 1-line block ×4, first 2 shown]
	v_rndne_f64_e32 v[11:12], v[11:12]
	v_fma_f64 v[13:14], v[11:12], s[18:19], |v[1:2]|
	v_mul_f64 v[15:16], v[11:12], s[20:21]
	s_mov_b32 s18, 0x252049c0
	s_mov_b32 s19, 0xb97b839a
	v_add_f64 v[17:18], v[13:14], v[15:16]
	v_add_f64 v[28:29], v[13:14], -v[17:18]
	v_fma_f64 v[13:14], v[11:12], s[20:21], v[13:14]
	s_mov_b32 s21, 0x3c91a626
	v_add_f64 v[28:29], v[28:29], v[15:16]
	v_add_f64 v[17:18], v[17:18], -v[13:14]
	v_fma_f64 v[15:16], v[11:12], s[20:21], v[15:16]
	v_add_f64 v[17:18], v[17:18], v[28:29]
	v_cvt_i32_f64_e32 v29, v[11:12]
	v_add_f64 v[15:16], v[17:18], -v[15:16]
	v_fma_f64 v[17:18], v[11:12], s[18:19], v[15:16]
	v_add_f64 v[15:16], v[13:14], v[17:18]
	v_add_f64 v[13:14], v[15:16], -v[13:14]
	v_add_f64 v[17:18], v[17:18], -v[13:14]
.LBB5_62:
	s_or_b64 exec, exec, s[4:5]
                                        ; implicit-def: $vgpr28
                                        ; implicit-def: $vgpr11_vgpr12
                                        ; implicit-def: $vgpr13_vgpr14
	s_and_saveexec_b64 s[4:5], s[16:17]
	s_xor_b64 s[16:17], exec, s[4:5]
	s_cbranch_execz .LBB5_64
; %bb.63:
	s_mov_b32 s4, 0
	s_mov_b32 s5, 0x7b000000
	s_movk_i32 s18, 0xff80
	v_ldexp_f64 v[11:12], |v[1:2]|, s18
	v_cmp_ge_f64_e64 vcc, |v[1:2]|, s[4:5]
	v_and_b32_e32 v13, 0x7fffffff, v2
	s_mov_b32 s4, 0
	s_mov_b32 s5, 0x7ff00000
	v_mov_b32_e32 v28, 0x40100000
	v_mov_b32_e32 v42, 0
	s_mov_b32 s18, 0x33145c07
	s_mov_b32 s19, 0x3c91a626
	v_cndmask_b32_e32 v12, v13, v12, vcc
	v_cndmask_b32_e32 v11, v1, v11, vcc
	v_mul_f64 v[13:14], v[25:26], v[11:12]
	v_mul_f64 v[30:31], v[23:24], v[11:12]
	v_mul_f64 v[38:39], v[21:22], v[11:12]
	v_fma_f64 v[25:26], v[25:26], v[11:12], -v[13:14]
	v_fma_f64 v[23:24], v[23:24], v[11:12], -v[30:31]
	v_fma_f64 v[11:12], v[21:22], v[11:12], -v[38:39]
	v_add_f64 v[32:33], v[30:31], v[25:26]
	v_add_f64 v[34:35], v[32:33], -v[30:31]
	v_add_f64 v[40:41], v[13:14], v[32:33]
	v_add_f64 v[36:37], v[32:33], -v[34:35]
	v_add_f64 v[25:26], v[25:26], -v[34:35]
	v_add_f64 v[34:35], v[38:39], v[23:24]
	v_add_f64 v[13:14], v[40:41], -v[13:14]
	v_add_f64 v[30:31], v[30:31], -v[36:37]
	v_ldexp_f64 v[36:37], v[40:41], -2
	v_add_f64 v[44:45], v[34:35], -v[38:39]
	v_add_f64 v[13:14], v[32:33], -v[13:14]
	v_add_f64 v[25:26], v[25:26], v[30:31]
	v_fract_f64_e32 v[30:31], v[36:37]
	v_cmp_neq_f64_e64 vcc, |v[36:37]|, s[4:5]
	v_add_f64 v[23:24], v[23:24], -v[44:45]
	v_add_f64 v[32:33], v[34:35], v[25:26]
	v_ldexp_f64 v[30:31], v[30:31], 2
	v_add_f64 v[36:37], v[13:14], v[32:33]
	v_cndmask_b32_e32 v31, 0, v31, vcc
	v_cndmask_b32_e32 v30, 0, v30, vcc
	v_add_f64 v[46:47], v[32:33], -v[34:35]
	v_add_f64 v[40:41], v[36:37], v[30:31]
	v_add_f64 v[13:14], v[36:37], -v[13:14]
	v_add_f64 v[48:49], v[32:33], -v[46:47]
	;; [unrolled: 1-line block ×3, first 2 shown]
	v_cmp_gt_f64_e32 vcc, 0, v[40:41]
	v_add_f64 v[40:41], v[34:35], -v[44:45]
	v_add_f64 v[13:14], v[32:33], -v[13:14]
	;; [unrolled: 1-line block ×3, first 2 shown]
	v_cndmask_b32_e32 v43, 0, v28, vcc
	v_add_f64 v[30:31], v[30:31], v[42:43]
	v_add_f64 v[40:41], v[38:39], -v[40:41]
	v_add_f64 v[25:26], v[25:26], v[34:35]
	v_add_f64 v[50:51], v[36:37], v[30:31]
	;; [unrolled: 1-line block ×3, first 2 shown]
	v_cvt_i32_f64_e32 v28, v[50:51]
	v_add_f64 v[21:22], v[23:24], v[25:26]
	v_cvt_f64_i32_e32 v[43:44], v28
	v_add_f64 v[30:31], v[30:31], -v[43:44]
	v_add_f64 v[11:12], v[11:12], v[21:22]
	v_add_f64 v[23:24], v[36:37], v[30:31]
	;; [unrolled: 1-line block ×3, first 2 shown]
	v_add_f64 v[21:22], v[23:24], -v[30:31]
	v_cmp_le_f64_e32 vcc, 0.5, v[23:24]
	v_add_f64 v[13:14], v[36:37], -v[21:22]
	v_mov_b32_e32 v21, 0x3ff00000
	v_cndmask_b32_e32 v43, 0, v21, vcc
	v_addc_co_u32_e64 v28, s[4:5], 0, v28, vcc
	s_mov_b32 s4, 0x54442d18
	s_mov_b32 s5, 0x3ff921fb
	v_add_f64 v[11:12], v[11:12], v[13:14]
	v_add_f64 v[13:14], v[23:24], -v[42:43]
	v_add_f64 v[21:22], v[13:14], v[11:12]
	v_mul_f64 v[23:24], v[21:22], s[4:5]
	v_add_f64 v[13:14], v[21:22], -v[13:14]
	v_fma_f64 v[25:26], v[21:22], s[4:5], -v[23:24]
	v_add_f64 v[11:12], v[11:12], -v[13:14]
	v_fma_f64 v[13:14], v[21:22], s[18:19], v[25:26]
	v_fma_f64 v[13:14], v[11:12], s[4:5], v[13:14]
	v_add_f64 v[11:12], v[23:24], v[13:14]
	v_add_f64 v[21:22], v[11:12], -v[23:24]
	v_add_f64 v[13:14], v[13:14], -v[21:22]
	s_andn2_saveexec_b64 s[4:5], s[16:17]
	s_cbranch_execnz .LBB5_65
	s_branch .LBB5_66
.LBB5_64:
	s_andn2_saveexec_b64 s[4:5], s[16:17]
	s_cbranch_execz .LBB5_66
.LBB5_65:
	s_mov_b32 s16, 0x6dc9c883
	s_mov_b32 s17, 0x3fe45f30
	v_mul_f64 v[11:12], |v[1:2]|, s[16:17]
	s_mov_b32 s16, 0x54442d18
	s_mov_b32 s17, 0xbff921fb
	;; [unrolled: 1-line block ×4, first 2 shown]
	v_rndne_f64_e32 v[21:22], v[11:12]
	v_fma_f64 v[11:12], v[21:22], s[16:17], |v[1:2]|
	v_mul_f64 v[13:14], v[21:22], s[18:19]
	s_mov_b32 s16, 0x252049c0
	s_mov_b32 s17, 0xb97b839a
	v_cvt_i32_f64_e32 v28, v[21:22]
	v_fma_f64 v[30:31], v[21:22], s[18:19], v[11:12]
	v_add_f64 v[23:24], v[11:12], v[13:14]
	s_mov_b32 s19, 0x3c91a626
	v_add_f64 v[25:26], v[11:12], -v[23:24]
	v_add_f64 v[23:24], v[23:24], -v[30:31]
	v_add_f64 v[11:12], v[25:26], v[13:14]
	v_fma_f64 v[13:14], v[21:22], s[18:19], v[13:14]
	v_add_f64 v[11:12], v[23:24], v[11:12]
	v_add_f64 v[11:12], v[11:12], -v[13:14]
	v_fma_f64 v[13:14], v[21:22], s[16:17], v[11:12]
	v_add_f64 v[11:12], v[30:31], v[13:14]
	v_add_f64 v[23:24], v[11:12], -v[30:31]
	v_add_f64 v[13:14], v[13:14], -v[23:24]
.LBB5_66:
	s_or_b64 exec, exec, s[4:5]
	s_mov_b32 s4, 0
	s_mov_b32 s5, 0x40390000
	v_div_scale_f64 v[21:22], s[16:17], v[19:20], v[19:20], s[4:5]
	s_mov_b32 s16, 0x46cc5e42
	s_mov_b32 s17, 0xbda907db
	;; [unrolled: 1-line block ×14, first 2 shown]
	v_rcp_f64_e32 v[23:24], v[21:22]
	s_mov_b32 s30, 0x19e83e5c
	s_mov_b32 s31, 0xbf2a01a0
	s_mov_b32 s34, 0x11110bb3
	s_mov_b32 s35, 0x3f811111
	v_mul_f64 v[40:41], v[17:18], 0.5
	s_mov_b32 s37, 0xbfc55555
	s_mov_b32 s36, s24
	;; [unrolled: 1-line block ×4, first 2 shown]
	v_fma_f64 v[25:26], -v[21:22], v[23:24], 1.0
	v_fma_f64 v[23:24], v[23:24], v[25:26], v[23:24]
	v_fma_f64 v[25:26], -v[21:22], v[23:24], 1.0
	v_fma_f64 v[23:24], v[23:24], v[25:26], v[23:24]
	v_div_scale_f64 v[25:26], vcc, s[4:5], v[19:20], s[4:5]
	v_mul_f64 v[30:31], v[25:26], v[23:24]
	v_fma_f64 v[21:22], -v[21:22], v[30:31], v[25:26]
	s_nop 1
	v_div_fmas_f64 v[21:22], v[21:22], v[23:24], v[30:31]
	v_mov_b32_e32 v30, 0x413c25ac
	v_mov_b32_e32 v31, 0x40501457
	v_div_fixup_f64 v[21:22], v[21:22], v[19:20], s[4:5]
	v_mov_b32_e32 v19, 0x983b6b27
	v_mov_b32_e32 v20, 0x3f4a1d30
	s_mov_b32 s4, 0xb35dd1cf
	s_mov_b32 s5, 0x3fb534b0
	v_fma_f64 v[19:20], v[21:22], 0, v[19:20]
	v_fma_f64 v[30:31], v[21:22], 0, v[30:31]
	;; [unrolled: 1-line block ×3, first 2 shown]
	s_mov_b32 s4, 0x4e680b98
	s_mov_b32 s5, 0x3ff3d521
	v_fma_f64 v[19:20], v[21:22], v[19:20], s[4:5]
	s_mov_b32 s4, 0xe97a0956
	s_mov_b32 s5, 0x4015c9fb
	v_fma_f64 v[19:20], v[21:22], v[19:20], s[4:5]
	;; [unrolled: 3-line block ×4, first 2 shown]
	v_mov_b32_e32 v19, 0xce039737
	v_mov_b32_e32 v20, 0x3f4e4a80
	v_fma_f64 v[19:20], v[21:22], 0, v[19:20]
	s_mov_b32 s4, 0xab5454e3
	s_mov_b32 s5, 0x3fb5ebc5
	v_fma_f64 v[19:20], v[21:22], v[19:20], s[4:5]
	s_mov_b32 s4, 0xc9b3069f
	s_mov_b32 s5, 0x3ff40e72
	;; [unrolled: 3-line block ×6, first 2 shown]
	v_fma_f64 v[25:26], v[21:22], v[19:20], 1.0
	v_mov_b32_e32 v19, 0x38a5384a
	v_mov_b32_e32 v20, 0xbf874742
	v_fma_f64 v[19:20], v[21:22], 0, v[19:20]
	v_fma_f64 v[19:20], v[21:22], v[19:20], s[4:5]
	s_mov_b32 s4, 0xf50e2c0c
	s_mov_b32 s5, 0xc0338dcf
	v_fma_f64 v[19:20], v[21:22], v[19:20], s[4:5]
	s_mov_b32 s4, 0x5a6de8c4
	s_mov_b32 s5, 0xc0574d2f
	v_fma_f64 v[19:20], v[21:22], v[19:20], s[4:5]
	s_mov_b32 s4, 0x20cae8ea
	s_mov_b32 s5, 0xc06635cc
	v_fma_f64 v[19:20], v[21:22], v[19:20], s[4:5]
	s_mov_b32 s4, 0xec17392d
	s_mov_b32 s5, 0xc062627a
	v_fma_f64 v[19:20], v[21:22], v[19:20], s[4:5]
	s_mov_b32 s4, 0x55b218cd
	s_mov_b32 s5, 0xc049b48c
	v_fma_f64 v[19:20], v[21:22], v[19:20], s[4:5]
	s_mov_b32 s4, 0xd1b9a1dd
	s_mov_b32 s5, 0xc0183358
	v_fma_f64 v[19:20], v[21:22], v[19:20], s[4:5]
	s_mov_b32 s4, 0xb1759c7f
	s_mov_b32 s5, 0x408ac370
	v_fma_f64 v[30:31], v[21:22], v[30:31], s[4:5]
	s_mov_b32 s4, 0xbd748cb5
	s_mov_b32 s5, 0x40ae54cd
	v_fma_f64 v[30:31], v[21:22], v[30:31], s[4:5]
	s_mov_b32 s4, 0xbdefd63e
	s_mov_b32 s5, 0x40bc4877
	v_fma_f64 v[30:31], v[21:22], v[30:31], s[4:5]
	s_mov_b32 s4, 0x1d733b11
	s_mov_b32 s5, 0x40b72aba
	v_fma_f64 v[30:31], v[21:22], v[30:31], s[4:5]
	s_mov_b32 s4, 0xc7319e82
	s_mov_b32 s5, 0x40a01c2f
	v_fma_f64 v[30:31], v[21:22], v[30:31], s[4:5]
	s_mov_b32 s4, 0x6280a54
	s_mov_b32 s5, 0x406e402f
	v_fma_f64 v[30:31], v[21:22], v[30:31], s[4:5]
	v_fma_f64 v[21:22], v[21:22], v[23:24], 1.0
	v_div_scale_f64 v[23:24], s[4:5], v[25:26], v[25:26], v[21:22]
	s_mov_b32 s4, 0x9037ab78
	s_mov_b32 s5, 0x3e21eeb6
	v_rcp_f64_e32 v[32:33], v[23:24]
	v_fma_f64 v[34:35], -v[23:24], v[32:33], 1.0
	v_fma_f64 v[32:33], v[32:33], v[34:35], v[32:33]
	v_fma_f64 v[34:35], -v[23:24], v[32:33], 1.0
	v_fma_f64 v[32:33], v[32:33], v[34:35], v[32:33]
	v_div_scale_f64 v[34:35], vcc, v[21:22], v[25:26], v[21:22]
	v_mul_f64 v[36:37], v[34:35], v[32:33]
	v_fma_f64 v[23:24], -v[23:24], v[36:37], v[34:35]
	s_nop 1
	v_div_fmas_f64 v[23:24], v[23:24], v[32:33], v[36:37]
	v_mov_b32_e32 v37, s5
	v_mov_b32_e32 v36, s4
	s_mov_b32 s4, 0xb42fdfa7
	s_mov_b32 s5, 0xbe5ae600
	v_div_fixup_f64 v[21:22], v[23:24], v[25:26], v[21:22]
	v_mul_f64 v[23:24], v[15:16], v[15:16]
	v_mul_f64 v[25:26], v[23:24], 0.5
	v_fma_f64 v[38:39], v[23:24], s[16:17], v[36:37]
	v_add_f64 v[32:33], -v[25:26], 1.0
	v_fma_f64 v[38:39], v[23:24], v[38:39], s[18:19]
	v_add_f64 v[34:35], -v[32:33], 1.0
	v_fma_f64 v[38:39], v[23:24], v[38:39], s[20:21]
	v_add_f64 v[25:26], v[34:35], -v[25:26]
	v_fma_f64 v[38:39], v[23:24], v[38:39], s[22:23]
	v_mul_f64 v[34:35], v[23:24], v[23:24]
	v_fma_f64 v[25:26], v[15:16], -v[17:18], v[25:26]
	v_fma_f64 v[38:39], v[23:24], v[38:39], s[24:25]
	v_fma_f64 v[25:26], v[34:35], v[38:39], v[25:26]
	v_mul_f64 v[38:39], v[15:16], -v[23:24]
	v_add_f64 v[25:26], v[32:33], v[25:26]
	v_mov_b32_e32 v33, s5
	v_mov_b32_e32 v32, s4
	v_fma_f64 v[34:35], v[23:24], s[26:27], v[32:33]
	s_movk_i32 s4, 0x1f8
	v_cmp_class_f64_e64 s[4:5], v[1:2], s4
	v_and_b32_e32 v1, 1, v28
	v_fma_f64 v[34:35], v[23:24], v[34:35], s[28:29]
	v_fma_f64 v[34:35], v[23:24], v[34:35], s[30:31]
	v_fma_f64 v[34:35], v[23:24], v[34:35], s[34:35]
	v_fma_f64 v[34:35], v[38:39], v[34:35], v[40:41]
	v_mov_b32_e32 v40, 0x7ff80000
	v_fma_f64 v[17:18], v[23:24], v[34:35], -v[17:18]
	v_fma_f64 v[17:18], v[38:39], s[36:37], v[17:18]
	v_add_f64 v[15:16], v[15:16], -v[17:18]
	v_and_b32_e32 v17, 1, v29
	v_cmp_eq_u32_e32 vcc, 0, v17
	v_lshlrev_b32_e32 v17, 30, v29
	v_and_b32_e32 v17, 0x80000000, v17
	v_xor_b32_e32 v16, 0x80000000, v16
	v_cndmask_b32_e32 v16, v16, v26, vcc
	v_xor_b32_e32 v16, v16, v17
	v_div_scale_f64 v[17:18], s[40:41], v[3:4], v[3:4], s[38:39]
	v_cndmask_b32_e32 v15, v15, v25, vcc
	v_cndmask_b32_e64 v15, 0, v15, s[4:5]
	v_cndmask_b32_e64 v16, v40, v16, s[4:5]
	v_rcp_f64_e32 v[23:24], v[17:18]
	v_fma_f64 v[25:26], -v[17:18], v[23:24], 1.0
	v_fma_f64 v[23:24], v[23:24], v[25:26], v[23:24]
	v_fma_f64 v[25:26], -v[17:18], v[23:24], 1.0
	v_fma_f64 v[23:24], v[23:24], v[25:26], v[23:24]
	v_div_scale_f64 v[25:26], vcc, s[38:39], v[3:4], s[38:39]
	v_mul_f64 v[34:35], v[25:26], v[23:24]
	v_fma_f64 v[17:18], -v[17:18], v[34:35], v[25:26]
	s_nop 1
	v_div_fmas_f64 v[17:18], v[17:18], v[23:24], v[34:35]
	v_div_fixup_f64 v[17:18], v[17:18], v[3:4], s[38:39]
	v_div_scale_f64 v[23:24], s[38:39], v[30:31], v[30:31], v[19:20]
	v_rcp_f64_e32 v[25:26], v[23:24]
	v_fma_f64 v[34:35], -v[23:24], v[25:26], 1.0
	v_fma_f64 v[25:26], v[25:26], v[34:35], v[25:26]
	v_fma_f64 v[34:35], -v[23:24], v[25:26], 1.0
	v_fma_f64 v[25:26], v[25:26], v[34:35], v[25:26]
	v_div_scale_f64 v[34:35], vcc, v[19:20], v[30:31], v[19:20]
	v_mul_f64 v[38:39], v[34:35], v[25:26]
	v_fma_f64 v[23:24], -v[23:24], v[38:39], v[34:35]
	s_nop 1
	v_div_fmas_f64 v[23:24], v[23:24], v[25:26], v[38:39]
	v_cmp_eq_u32_e32 vcc, 0, v1
	v_div_fixup_f64 v[19:20], v[23:24], v[30:31], v[19:20]
	v_mul_f64 v[17:18], v[17:18], v[19:20]
	v_mul_f64 v[19:20], v[11:12], v[11:12]
	v_mul_f64 v[23:24], v[19:20], 0.5
	v_fma_f64 v[34:35], v[19:20], s[16:17], v[36:37]
	v_add_f64 v[25:26], -v[23:24], 1.0
	v_fma_f64 v[34:35], v[19:20], v[34:35], s[18:19]
	v_add_f64 v[29:30], -v[25:26], 1.0
	v_fma_f64 v[34:35], v[19:20], v[34:35], s[20:21]
	v_add_f64 v[23:24], v[29:30], -v[23:24]
	v_fma_f64 v[34:35], v[19:20], v[34:35], s[22:23]
	v_mul_f64 v[29:30], v[19:20], v[19:20]
	v_fma_f64 v[23:24], v[11:12], -v[13:14], v[23:24]
	v_fma_f64 v[34:35], v[19:20], v[34:35], s[24:25]
	v_fma_f64 v[23:24], v[29:30], v[34:35], v[23:24]
	v_mul_f64 v[29:30], v[11:12], -v[19:20]
	v_add_f64 v[23:24], v[25:26], v[23:24]
	v_fma_f64 v[25:26], v[19:20], s[26:27], v[32:33]
	v_mul_f64 v[31:32], v[13:14], 0.5
	v_fma_f64 v[25:26], v[19:20], v[25:26], s[28:29]
	v_fma_f64 v[25:26], v[19:20], v[25:26], s[30:31]
	v_fma_f64 v[25:26], v[19:20], v[25:26], s[34:35]
	v_fma_f64 v[25:26], v[29:30], v[25:26], v[31:32]
	v_fma_f64 v[13:14], v[19:20], v[25:26], -v[13:14]
	v_fma_f64 v[13:14], v[29:30], s[36:37], v[13:14]
	v_add_f64 v[11:12], v[11:12], -v[13:14]
	v_cndmask_b32_e32 v1, v23, v11, vcc
	v_cndmask_b32_e32 v11, v24, v12, vcc
	v_lshlrev_b32_e32 v12, 30, v28
	v_xor_b32_e32 v2, v12, v2
	v_and_b32_e32 v2, 0x80000000, v2
	v_xor_b32_e32 v2, v11, v2
	v_cndmask_b32_e64 v1, 0, v1, s[4:5]
	v_cndmask_b32_e64 v2, v40, v2, s[4:5]
	v_mul_f64 v[1:2], v[17:18], v[1:2]
	s_mov_b32 s4, 0x33d43651
	s_mov_b32 s5, 0x3fe98845
	v_mov_b32_e32 v11, 0x100
	v_fma_f64 v[1:2], v[21:22], v[15:16], v[1:2]
	v_mul_f64 v[1:2], v[1:2], s[4:5]
	s_mov_b32 s4, 0
	s_brev_b32 s5, 8
	v_cmp_gt_f64_e32 vcc, s[4:5], v[3:4]
	v_cndmask_b32_e32 v11, 0, v11, vcc
	v_ldexp_f64 v[3:4], v[3:4], v11
	v_rsq_f64_e32 v[11:12], v[3:4]
	v_mul_f64 v[13:14], v[3:4], v[11:12]
	v_mul_f64 v[11:12], v[11:12], 0.5
	v_fma_f64 v[15:16], -v[11:12], v[13:14], 0.5
	v_fma_f64 v[13:14], v[13:14], v[15:16], v[13:14]
	v_fma_f64 v[11:12], v[11:12], v[15:16], v[11:12]
	v_fma_f64 v[17:18], -v[13:14], v[13:14], v[3:4]
	v_fma_f64 v[13:14], v[17:18], v[11:12], v[13:14]
	v_fma_f64 v[15:16], -v[13:14], v[13:14], v[3:4]
	v_fma_f64 v[11:12], v[15:16], v[11:12], v[13:14]
	v_mov_b32_e32 v13, 0xffffff80
	v_cndmask_b32_e32 v13, 0, v13, vcc
	v_ldexp_f64 v[11:12], v[11:12], v13
	v_mov_b32_e32 v13, 0x260
	v_cmp_class_f64_e32 vcc, v[3:4], v13
	v_cndmask_b32_e32 v4, v12, v4, vcc
	v_cndmask_b32_e32 v3, v11, v3, vcc
	v_div_scale_f64 v[11:12], s[4:5], v[3:4], v[3:4], v[1:2]
	v_rcp_f64_e32 v[13:14], v[11:12]
	v_fma_f64 v[15:16], -v[11:12], v[13:14], 1.0
	v_fma_f64 v[13:14], v[13:14], v[15:16], v[13:14]
	v_fma_f64 v[15:16], -v[11:12], v[13:14], 1.0
	v_fma_f64 v[13:14], v[13:14], v[15:16], v[13:14]
	v_div_scale_f64 v[15:16], vcc, v[1:2], v[3:4], v[1:2]
	v_mul_f64 v[17:18], v[15:16], v[13:14]
	v_fma_f64 v[11:12], -v[11:12], v[17:18], v[15:16]
	s_nop 1
	v_div_fmas_f64 v[11:12], v[11:12], v[13:14], v[17:18]
	v_div_fixup_f64 v[11:12], v[11:12], v[3:4], v[1:2]
.LBB5_67:
	s_or_b64 exec, exec, s[14:15]
	s_add_u32 s4, s8, s12
	s_addc_u32 s5, s9, s13
	v_mov_b32_e32 v1, s5
	v_add_co_u32_e32 v2, vcc, s4, v27
	v_addc_co_u32_e32 v3, vcc, 0, v1, vcc
	v_add_co_u32_e32 v1, vcc, 0x1000, v2
	v_addc_co_u32_e32 v2, vcc, 0, v3, vcc
	global_store_dwordx4 v27, v[5:8], s[4:5]
	global_store_dwordx4 v[1:2], v[9:12], off
.LBB5_68:
	s_endpgm
	.section	.rodata,"a",@progbits
	.p2align	6, 0x0
	.amdhsa_kernel _ZN2at6native29vectorized_elementwise_kernelILi2EZZZNS0_12_GLOBAL__N_121bessel_j0_kernel_cudaERNS_18TensorIteratorBaseEENKUlvE_clEvENKUlvE_clEvEUldE_St5arrayIPcLm2EEEEviT0_T1_
		.amdhsa_group_segment_fixed_size 0
		.amdhsa_private_segment_fixed_size 0
		.amdhsa_kernarg_size 24
		.amdhsa_user_sgpr_count 6
		.amdhsa_user_sgpr_private_segment_buffer 1
		.amdhsa_user_sgpr_dispatch_ptr 0
		.amdhsa_user_sgpr_queue_ptr 0
		.amdhsa_user_sgpr_kernarg_segment_ptr 1
		.amdhsa_user_sgpr_dispatch_id 0
		.amdhsa_user_sgpr_flat_scratch_init 0
		.amdhsa_user_sgpr_private_segment_size 0
		.amdhsa_uses_dynamic_stack 0
		.amdhsa_system_sgpr_private_segment_wavefront_offset 0
		.amdhsa_system_sgpr_workgroup_id_x 1
		.amdhsa_system_sgpr_workgroup_id_y 0
		.amdhsa_system_sgpr_workgroup_id_z 0
		.amdhsa_system_sgpr_workgroup_info 0
		.amdhsa_system_vgpr_workitem_id 0
		.amdhsa_next_free_vgpr 84
		.amdhsa_next_free_sgpr 48
		.amdhsa_reserve_vcc 1
		.amdhsa_reserve_flat_scratch 0
		.amdhsa_float_round_mode_32 0
		.amdhsa_float_round_mode_16_64 0
		.amdhsa_float_denorm_mode_32 3
		.amdhsa_float_denorm_mode_16_64 3
		.amdhsa_dx10_clamp 1
		.amdhsa_ieee_mode 1
		.amdhsa_fp16_overflow 0
		.amdhsa_exception_fp_ieee_invalid_op 0
		.amdhsa_exception_fp_denorm_src 0
		.amdhsa_exception_fp_ieee_div_zero 0
		.amdhsa_exception_fp_ieee_overflow 0
		.amdhsa_exception_fp_ieee_underflow 0
		.amdhsa_exception_fp_ieee_inexact 0
		.amdhsa_exception_int_div_zero 0
	.end_amdhsa_kernel
	.section	.text._ZN2at6native29vectorized_elementwise_kernelILi2EZZZNS0_12_GLOBAL__N_121bessel_j0_kernel_cudaERNS_18TensorIteratorBaseEENKUlvE_clEvENKUlvE_clEvEUldE_St5arrayIPcLm2EEEEviT0_T1_,"axG",@progbits,_ZN2at6native29vectorized_elementwise_kernelILi2EZZZNS0_12_GLOBAL__N_121bessel_j0_kernel_cudaERNS_18TensorIteratorBaseEENKUlvE_clEvENKUlvE_clEvEUldE_St5arrayIPcLm2EEEEviT0_T1_,comdat
.Lfunc_end5:
	.size	_ZN2at6native29vectorized_elementwise_kernelILi2EZZZNS0_12_GLOBAL__N_121bessel_j0_kernel_cudaERNS_18TensorIteratorBaseEENKUlvE_clEvENKUlvE_clEvEUldE_St5arrayIPcLm2EEEEviT0_T1_, .Lfunc_end5-_ZN2at6native29vectorized_elementwise_kernelILi2EZZZNS0_12_GLOBAL__N_121bessel_j0_kernel_cudaERNS_18TensorIteratorBaseEENKUlvE_clEvENKUlvE_clEvEUldE_St5arrayIPcLm2EEEEviT0_T1_
                                        ; -- End function
	.set _ZN2at6native29vectorized_elementwise_kernelILi2EZZZNS0_12_GLOBAL__N_121bessel_j0_kernel_cudaERNS_18TensorIteratorBaseEENKUlvE_clEvENKUlvE_clEvEUldE_St5arrayIPcLm2EEEEviT0_T1_.num_vgpr, max(52, .L_ZN2at6native25elementwise_kernel_helperILb0EZZZNS0_12_GLOBAL__N_121bessel_j0_kernel_cudaERNS_18TensorIteratorBaseEENKUlvE_clEvENKUlvE_clEvEUldE_NS0_6memory8policies11unroll_baseILi256ESt5arrayIPcLm2EE23TrivialOffsetCalculatorILi1EjESF_NS8_15LoadWithoutCastENS8_16StoreWithoutCastELi4ELi1EEEEEvT0_T1_.num_vgpr)
	.set _ZN2at6native29vectorized_elementwise_kernelILi2EZZZNS0_12_GLOBAL__N_121bessel_j0_kernel_cudaERNS_18TensorIteratorBaseEENKUlvE_clEvENKUlvE_clEvEUldE_St5arrayIPcLm2EEEEviT0_T1_.num_agpr, max(0, .L_ZN2at6native25elementwise_kernel_helperILb0EZZZNS0_12_GLOBAL__N_121bessel_j0_kernel_cudaERNS_18TensorIteratorBaseEENKUlvE_clEvENKUlvE_clEvEUldE_NS0_6memory8policies11unroll_baseILi256ESt5arrayIPcLm2EE23TrivialOffsetCalculatorILi1EjESF_NS8_15LoadWithoutCastENS8_16StoreWithoutCastELi4ELi1EEEEEvT0_T1_.num_agpr)
	.set _ZN2at6native29vectorized_elementwise_kernelILi2EZZZNS0_12_GLOBAL__N_121bessel_j0_kernel_cudaERNS_18TensorIteratorBaseEENKUlvE_clEvENKUlvE_clEvEUldE_St5arrayIPcLm2EEEEviT0_T1_.numbered_sgpr, max(42, .L_ZN2at6native25elementwise_kernel_helperILb0EZZZNS0_12_GLOBAL__N_121bessel_j0_kernel_cudaERNS_18TensorIteratorBaseEENKUlvE_clEvENKUlvE_clEvEUldE_NS0_6memory8policies11unroll_baseILi256ESt5arrayIPcLm2EE23TrivialOffsetCalculatorILi1EjESF_NS8_15LoadWithoutCastENS8_16StoreWithoutCastELi4ELi1EEEEEvT0_T1_.numbered_sgpr)
	.set _ZN2at6native29vectorized_elementwise_kernelILi2EZZZNS0_12_GLOBAL__N_121bessel_j0_kernel_cudaERNS_18TensorIteratorBaseEENKUlvE_clEvENKUlvE_clEvEUldE_St5arrayIPcLm2EEEEviT0_T1_.num_named_barrier, max(0, .L_ZN2at6native25elementwise_kernel_helperILb0EZZZNS0_12_GLOBAL__N_121bessel_j0_kernel_cudaERNS_18TensorIteratorBaseEENKUlvE_clEvENKUlvE_clEvEUldE_NS0_6memory8policies11unroll_baseILi256ESt5arrayIPcLm2EE23TrivialOffsetCalculatorILi1EjESF_NS8_15LoadWithoutCastENS8_16StoreWithoutCastELi4ELi1EEEEEvT0_T1_.num_named_barrier)
	.set _ZN2at6native29vectorized_elementwise_kernelILi2EZZZNS0_12_GLOBAL__N_121bessel_j0_kernel_cudaERNS_18TensorIteratorBaseEENKUlvE_clEvENKUlvE_clEvEUldE_St5arrayIPcLm2EEEEviT0_T1_.private_seg_size, 0+max(.L_ZN2at6native25elementwise_kernel_helperILb0EZZZNS0_12_GLOBAL__N_121bessel_j0_kernel_cudaERNS_18TensorIteratorBaseEENKUlvE_clEvENKUlvE_clEvEUldE_NS0_6memory8policies11unroll_baseILi256ESt5arrayIPcLm2EE23TrivialOffsetCalculatorILi1EjESF_NS8_15LoadWithoutCastENS8_16StoreWithoutCastELi4ELi1EEEEEvT0_T1_.private_seg_size)
	.set _ZN2at6native29vectorized_elementwise_kernelILi2EZZZNS0_12_GLOBAL__N_121bessel_j0_kernel_cudaERNS_18TensorIteratorBaseEENKUlvE_clEvENKUlvE_clEvEUldE_St5arrayIPcLm2EEEEviT0_T1_.uses_vcc, or(1, .L_ZN2at6native25elementwise_kernel_helperILb0EZZZNS0_12_GLOBAL__N_121bessel_j0_kernel_cudaERNS_18TensorIteratorBaseEENKUlvE_clEvENKUlvE_clEvEUldE_NS0_6memory8policies11unroll_baseILi256ESt5arrayIPcLm2EE23TrivialOffsetCalculatorILi1EjESF_NS8_15LoadWithoutCastENS8_16StoreWithoutCastELi4ELi1EEEEEvT0_T1_.uses_vcc)
	.set _ZN2at6native29vectorized_elementwise_kernelILi2EZZZNS0_12_GLOBAL__N_121bessel_j0_kernel_cudaERNS_18TensorIteratorBaseEENKUlvE_clEvENKUlvE_clEvEUldE_St5arrayIPcLm2EEEEviT0_T1_.uses_flat_scratch, or(0, .L_ZN2at6native25elementwise_kernel_helperILb0EZZZNS0_12_GLOBAL__N_121bessel_j0_kernel_cudaERNS_18TensorIteratorBaseEENKUlvE_clEvENKUlvE_clEvEUldE_NS0_6memory8policies11unroll_baseILi256ESt5arrayIPcLm2EE23TrivialOffsetCalculatorILi1EjESF_NS8_15LoadWithoutCastENS8_16StoreWithoutCastELi4ELi1EEEEEvT0_T1_.uses_flat_scratch)
	.set _ZN2at6native29vectorized_elementwise_kernelILi2EZZZNS0_12_GLOBAL__N_121bessel_j0_kernel_cudaERNS_18TensorIteratorBaseEENKUlvE_clEvENKUlvE_clEvEUldE_St5arrayIPcLm2EEEEviT0_T1_.has_dyn_sized_stack, or(0, .L_ZN2at6native25elementwise_kernel_helperILb0EZZZNS0_12_GLOBAL__N_121bessel_j0_kernel_cudaERNS_18TensorIteratorBaseEENKUlvE_clEvENKUlvE_clEvEUldE_NS0_6memory8policies11unroll_baseILi256ESt5arrayIPcLm2EE23TrivialOffsetCalculatorILi1EjESF_NS8_15LoadWithoutCastENS8_16StoreWithoutCastELi4ELi1EEEEEvT0_T1_.has_dyn_sized_stack)
	.set _ZN2at6native29vectorized_elementwise_kernelILi2EZZZNS0_12_GLOBAL__N_121bessel_j0_kernel_cudaERNS_18TensorIteratorBaseEENKUlvE_clEvENKUlvE_clEvEUldE_St5arrayIPcLm2EEEEviT0_T1_.has_recursion, or(0, .L_ZN2at6native25elementwise_kernel_helperILb0EZZZNS0_12_GLOBAL__N_121bessel_j0_kernel_cudaERNS_18TensorIteratorBaseEENKUlvE_clEvENKUlvE_clEvEUldE_NS0_6memory8policies11unroll_baseILi256ESt5arrayIPcLm2EE23TrivialOffsetCalculatorILi1EjESF_NS8_15LoadWithoutCastENS8_16StoreWithoutCastELi4ELi1EEEEEvT0_T1_.has_recursion)
	.set _ZN2at6native29vectorized_elementwise_kernelILi2EZZZNS0_12_GLOBAL__N_121bessel_j0_kernel_cudaERNS_18TensorIteratorBaseEENKUlvE_clEvENKUlvE_clEvEUldE_St5arrayIPcLm2EEEEviT0_T1_.has_indirect_call, or(0, .L_ZN2at6native25elementwise_kernel_helperILb0EZZZNS0_12_GLOBAL__N_121bessel_j0_kernel_cudaERNS_18TensorIteratorBaseEENKUlvE_clEvENKUlvE_clEvEUldE_NS0_6memory8policies11unroll_baseILi256ESt5arrayIPcLm2EE23TrivialOffsetCalculatorILi1EjESF_NS8_15LoadWithoutCastENS8_16StoreWithoutCastELi4ELi1EEEEEvT0_T1_.has_indirect_call)
	.section	.AMDGPU.csdata,"",@progbits
; Kernel info:
; codeLenInByte = 17544
; TotalNumSgprs: 52
; NumVgprs: 84
; ScratchSize: 0
; MemoryBound: 0
; FloatMode: 240
; IeeeMode: 1
; LDSByteSize: 0 bytes/workgroup (compile time only)
; SGPRBlocks: 6
; VGPRBlocks: 20
; NumSGPRsForWavesPerEU: 52
; NumVGPRsForWavesPerEU: 84
; Occupancy: 3
; WaveLimiterHint : 1
; COMPUTE_PGM_RSRC2:SCRATCH_EN: 0
; COMPUTE_PGM_RSRC2:USER_SGPR: 6
; COMPUTE_PGM_RSRC2:TRAP_HANDLER: 0
; COMPUTE_PGM_RSRC2:TGID_X_EN: 1
; COMPUTE_PGM_RSRC2:TGID_Y_EN: 0
; COMPUTE_PGM_RSRC2:TGID_Z_EN: 0
; COMPUTE_PGM_RSRC2:TIDIG_COMP_CNT: 0
	.section	.text._ZN2at6native27unrolled_elementwise_kernelIZZZNS0_12_GLOBAL__N_121bessel_j0_kernel_cudaERNS_18TensorIteratorBaseEENKUlvE_clEvENKUlvE_clEvEUldE_St5arrayIPcLm2EELi4E23TrivialOffsetCalculatorILi1EjESC_NS0_6memory15LoadWithoutCastENSD_16StoreWithoutCastEEEviT_T0_T2_T3_T4_T5_,"axG",@progbits,_ZN2at6native27unrolled_elementwise_kernelIZZZNS0_12_GLOBAL__N_121bessel_j0_kernel_cudaERNS_18TensorIteratorBaseEENKUlvE_clEvENKUlvE_clEvEUldE_St5arrayIPcLm2EELi4E23TrivialOffsetCalculatorILi1EjESC_NS0_6memory15LoadWithoutCastENSD_16StoreWithoutCastEEEviT_T0_T2_T3_T4_T5_,comdat
	.globl	_ZN2at6native27unrolled_elementwise_kernelIZZZNS0_12_GLOBAL__N_121bessel_j0_kernel_cudaERNS_18TensorIteratorBaseEENKUlvE_clEvENKUlvE_clEvEUldE_St5arrayIPcLm2EELi4E23TrivialOffsetCalculatorILi1EjESC_NS0_6memory15LoadWithoutCastENSD_16StoreWithoutCastEEEviT_T0_T2_T3_T4_T5_ ; -- Begin function _ZN2at6native27unrolled_elementwise_kernelIZZZNS0_12_GLOBAL__N_121bessel_j0_kernel_cudaERNS_18TensorIteratorBaseEENKUlvE_clEvENKUlvE_clEvEUldE_St5arrayIPcLm2EELi4E23TrivialOffsetCalculatorILi1EjESC_NS0_6memory15LoadWithoutCastENSD_16StoreWithoutCastEEEviT_T0_T2_T3_T4_T5_
	.p2align	8
	.type	_ZN2at6native27unrolled_elementwise_kernelIZZZNS0_12_GLOBAL__N_121bessel_j0_kernel_cudaERNS_18TensorIteratorBaseEENKUlvE_clEvENKUlvE_clEvEUldE_St5arrayIPcLm2EELi4E23TrivialOffsetCalculatorILi1EjESC_NS0_6memory15LoadWithoutCastENSD_16StoreWithoutCastEEEviT_T0_T2_T3_T4_T5_,@function
_ZN2at6native27unrolled_elementwise_kernelIZZZNS0_12_GLOBAL__N_121bessel_j0_kernel_cudaERNS_18TensorIteratorBaseEENKUlvE_clEvENKUlvE_clEvEUldE_St5arrayIPcLm2EELi4E23TrivialOffsetCalculatorILi1EjESC_NS0_6memory15LoadWithoutCastENSD_16StoreWithoutCastEEEviT_T0_T2_T3_T4_T5_: ; @_ZN2at6native27unrolled_elementwise_kernelIZZZNS0_12_GLOBAL__N_121bessel_j0_kernel_cudaERNS_18TensorIteratorBaseEENKUlvE_clEvENKUlvE_clEvEUldE_St5arrayIPcLm2EELi4E23TrivialOffsetCalculatorILi1EjESC_NS0_6memory15LoadWithoutCastENSD_16StoreWithoutCastEEEviT_T0_T2_T3_T4_T5_
; %bb.0:
	s_add_u32 s0, s0, s7
	s_load_dword s7, s[4:5], 0x0
	s_load_dwordx4 s[8:11], s[4:5], 0x8
	s_addc_u32 s1, s1, 0
	s_lshl_b32 s4, s6, 10
	s_mov_b32 s12, s6
	s_waitcnt lgkmcnt(0)
	s_sub_i32 s7, s7, s4
	s_getpc_b64 s[4:5]
	s_add_u32 s4, s4, _ZN2at6native25elementwise_kernel_helperILb0EZZZNS0_12_GLOBAL__N_121bessel_j0_kernel_cudaERNS_18TensorIteratorBaseEENKUlvE_clEvENKUlvE_clEvEUldE_NS0_6memory8policies11unroll_baseILi256ESt5arrayIPcLm2EE23TrivialOffsetCalculatorILi1EjESF_NS8_15LoadWithoutCastENS8_16StoreWithoutCastELi4ELi1EEEEEvT0_T1_@rel32@lo+4
	s_addc_u32 s5, s5, _ZN2at6native25elementwise_kernel_helperILb0EZZZNS0_12_GLOBAL__N_121bessel_j0_kernel_cudaERNS_18TensorIteratorBaseEENKUlvE_clEvENKUlvE_clEvEUldE_NS0_6memory8policies11unroll_baseILi256ESt5arrayIPcLm2EE23TrivialOffsetCalculatorILi1EjESF_NS8_15LoadWithoutCastENS8_16StoreWithoutCastELi4ELi1EEEEEvT0_T1_@rel32@hi+12
	v_mov_b32_e32 v31, v0
	v_mov_b32_e32 v0, s8
	;; [unrolled: 1-line block ×6, first 2 shown]
	s_mov_b32 s32, 0
	s_swappc_b64 s[30:31], s[4:5]
	s_endpgm
	.section	.rodata,"a",@progbits
	.p2align	6, 0x0
	.amdhsa_kernel _ZN2at6native27unrolled_elementwise_kernelIZZZNS0_12_GLOBAL__N_121bessel_j0_kernel_cudaERNS_18TensorIteratorBaseEENKUlvE_clEvENKUlvE_clEvEUldE_St5arrayIPcLm2EELi4E23TrivialOffsetCalculatorILi1EjESC_NS0_6memory15LoadWithoutCastENSD_16StoreWithoutCastEEEviT_T0_T2_T3_T4_T5_
		.amdhsa_group_segment_fixed_size 0
		.amdhsa_private_segment_fixed_size 0
		.amdhsa_kernarg_size 28
		.amdhsa_user_sgpr_count 6
		.amdhsa_user_sgpr_private_segment_buffer 1
		.amdhsa_user_sgpr_dispatch_ptr 0
		.amdhsa_user_sgpr_queue_ptr 0
		.amdhsa_user_sgpr_kernarg_segment_ptr 1
		.amdhsa_user_sgpr_dispatch_id 0
		.amdhsa_user_sgpr_flat_scratch_init 0
		.amdhsa_user_sgpr_private_segment_size 0
		.amdhsa_uses_dynamic_stack 0
		.amdhsa_system_sgpr_private_segment_wavefront_offset 0
		.amdhsa_system_sgpr_workgroup_id_x 1
		.amdhsa_system_sgpr_workgroup_id_y 0
		.amdhsa_system_sgpr_workgroup_id_z 0
		.amdhsa_system_sgpr_workgroup_info 0
		.amdhsa_system_vgpr_workitem_id 0
		.amdhsa_next_free_vgpr 84
		.amdhsa_next_free_sgpr 48
		.amdhsa_reserve_vcc 1
		.amdhsa_reserve_flat_scratch 0
		.amdhsa_float_round_mode_32 0
		.amdhsa_float_round_mode_16_64 0
		.amdhsa_float_denorm_mode_32 3
		.amdhsa_float_denorm_mode_16_64 3
		.amdhsa_dx10_clamp 1
		.amdhsa_ieee_mode 1
		.amdhsa_fp16_overflow 0
		.amdhsa_exception_fp_ieee_invalid_op 0
		.amdhsa_exception_fp_denorm_src 0
		.amdhsa_exception_fp_ieee_div_zero 0
		.amdhsa_exception_fp_ieee_overflow 0
		.amdhsa_exception_fp_ieee_underflow 0
		.amdhsa_exception_fp_ieee_inexact 0
		.amdhsa_exception_int_div_zero 0
	.end_amdhsa_kernel
	.section	.text._ZN2at6native27unrolled_elementwise_kernelIZZZNS0_12_GLOBAL__N_121bessel_j0_kernel_cudaERNS_18TensorIteratorBaseEENKUlvE_clEvENKUlvE_clEvEUldE_St5arrayIPcLm2EELi4E23TrivialOffsetCalculatorILi1EjESC_NS0_6memory15LoadWithoutCastENSD_16StoreWithoutCastEEEviT_T0_T2_T3_T4_T5_,"axG",@progbits,_ZN2at6native27unrolled_elementwise_kernelIZZZNS0_12_GLOBAL__N_121bessel_j0_kernel_cudaERNS_18TensorIteratorBaseEENKUlvE_clEvENKUlvE_clEvEUldE_St5arrayIPcLm2EELi4E23TrivialOffsetCalculatorILi1EjESC_NS0_6memory15LoadWithoutCastENSD_16StoreWithoutCastEEEviT_T0_T2_T3_T4_T5_,comdat
.Lfunc_end6:
	.size	_ZN2at6native27unrolled_elementwise_kernelIZZZNS0_12_GLOBAL__N_121bessel_j0_kernel_cudaERNS_18TensorIteratorBaseEENKUlvE_clEvENKUlvE_clEvEUldE_St5arrayIPcLm2EELi4E23TrivialOffsetCalculatorILi1EjESC_NS0_6memory15LoadWithoutCastENSD_16StoreWithoutCastEEEviT_T0_T2_T3_T4_T5_, .Lfunc_end6-_ZN2at6native27unrolled_elementwise_kernelIZZZNS0_12_GLOBAL__N_121bessel_j0_kernel_cudaERNS_18TensorIteratorBaseEENKUlvE_clEvENKUlvE_clEvEUldE_St5arrayIPcLm2EELi4E23TrivialOffsetCalculatorILi1EjESC_NS0_6memory15LoadWithoutCastENSD_16StoreWithoutCastEEEviT_T0_T2_T3_T4_T5_
                                        ; -- End function
	.set _ZN2at6native27unrolled_elementwise_kernelIZZZNS0_12_GLOBAL__N_121bessel_j0_kernel_cudaERNS_18TensorIteratorBaseEENKUlvE_clEvENKUlvE_clEvEUldE_St5arrayIPcLm2EELi4E23TrivialOffsetCalculatorILi1EjESC_NS0_6memory15LoadWithoutCastENSD_16StoreWithoutCastEEEviT_T0_T2_T3_T4_T5_.num_vgpr, max(32, .L_ZN2at6native25elementwise_kernel_helperILb0EZZZNS0_12_GLOBAL__N_121bessel_j0_kernel_cudaERNS_18TensorIteratorBaseEENKUlvE_clEvENKUlvE_clEvEUldE_NS0_6memory8policies11unroll_baseILi256ESt5arrayIPcLm2EE23TrivialOffsetCalculatorILi1EjESF_NS8_15LoadWithoutCastENS8_16StoreWithoutCastELi4ELi1EEEEEvT0_T1_.num_vgpr)
	.set _ZN2at6native27unrolled_elementwise_kernelIZZZNS0_12_GLOBAL__N_121bessel_j0_kernel_cudaERNS_18TensorIteratorBaseEENKUlvE_clEvENKUlvE_clEvEUldE_St5arrayIPcLm2EELi4E23TrivialOffsetCalculatorILi1EjESC_NS0_6memory15LoadWithoutCastENSD_16StoreWithoutCastEEEviT_T0_T2_T3_T4_T5_.num_agpr, max(0, .L_ZN2at6native25elementwise_kernel_helperILb0EZZZNS0_12_GLOBAL__N_121bessel_j0_kernel_cudaERNS_18TensorIteratorBaseEENKUlvE_clEvENKUlvE_clEvEUldE_NS0_6memory8policies11unroll_baseILi256ESt5arrayIPcLm2EE23TrivialOffsetCalculatorILi1EjESF_NS8_15LoadWithoutCastENS8_16StoreWithoutCastELi4ELi1EEEEEvT0_T1_.num_agpr)
	.set _ZN2at6native27unrolled_elementwise_kernelIZZZNS0_12_GLOBAL__N_121bessel_j0_kernel_cudaERNS_18TensorIteratorBaseEENKUlvE_clEvENKUlvE_clEvEUldE_St5arrayIPcLm2EELi4E23TrivialOffsetCalculatorILi1EjESC_NS0_6memory15LoadWithoutCastENSD_16StoreWithoutCastEEEviT_T0_T2_T3_T4_T5_.numbered_sgpr, max(33, .L_ZN2at6native25elementwise_kernel_helperILb0EZZZNS0_12_GLOBAL__N_121bessel_j0_kernel_cudaERNS_18TensorIteratorBaseEENKUlvE_clEvENKUlvE_clEvEUldE_NS0_6memory8policies11unroll_baseILi256ESt5arrayIPcLm2EE23TrivialOffsetCalculatorILi1EjESF_NS8_15LoadWithoutCastENS8_16StoreWithoutCastELi4ELi1EEEEEvT0_T1_.numbered_sgpr)
	.set _ZN2at6native27unrolled_elementwise_kernelIZZZNS0_12_GLOBAL__N_121bessel_j0_kernel_cudaERNS_18TensorIteratorBaseEENKUlvE_clEvENKUlvE_clEvEUldE_St5arrayIPcLm2EELi4E23TrivialOffsetCalculatorILi1EjESC_NS0_6memory15LoadWithoutCastENSD_16StoreWithoutCastEEEviT_T0_T2_T3_T4_T5_.num_named_barrier, max(0, .L_ZN2at6native25elementwise_kernel_helperILb0EZZZNS0_12_GLOBAL__N_121bessel_j0_kernel_cudaERNS_18TensorIteratorBaseEENKUlvE_clEvENKUlvE_clEvEUldE_NS0_6memory8policies11unroll_baseILi256ESt5arrayIPcLm2EE23TrivialOffsetCalculatorILi1EjESF_NS8_15LoadWithoutCastENS8_16StoreWithoutCastELi4ELi1EEEEEvT0_T1_.num_named_barrier)
	.set _ZN2at6native27unrolled_elementwise_kernelIZZZNS0_12_GLOBAL__N_121bessel_j0_kernel_cudaERNS_18TensorIteratorBaseEENKUlvE_clEvENKUlvE_clEvEUldE_St5arrayIPcLm2EELi4E23TrivialOffsetCalculatorILi1EjESC_NS0_6memory15LoadWithoutCastENSD_16StoreWithoutCastEEEviT_T0_T2_T3_T4_T5_.private_seg_size, 0+max(.L_ZN2at6native25elementwise_kernel_helperILb0EZZZNS0_12_GLOBAL__N_121bessel_j0_kernel_cudaERNS_18TensorIteratorBaseEENKUlvE_clEvENKUlvE_clEvEUldE_NS0_6memory8policies11unroll_baseILi256ESt5arrayIPcLm2EE23TrivialOffsetCalculatorILi1EjESF_NS8_15LoadWithoutCastENS8_16StoreWithoutCastELi4ELi1EEEEEvT0_T1_.private_seg_size)
	.set _ZN2at6native27unrolled_elementwise_kernelIZZZNS0_12_GLOBAL__N_121bessel_j0_kernel_cudaERNS_18TensorIteratorBaseEENKUlvE_clEvENKUlvE_clEvEUldE_St5arrayIPcLm2EELi4E23TrivialOffsetCalculatorILi1EjESC_NS0_6memory15LoadWithoutCastENSD_16StoreWithoutCastEEEviT_T0_T2_T3_T4_T5_.uses_vcc, or(1, .L_ZN2at6native25elementwise_kernel_helperILb0EZZZNS0_12_GLOBAL__N_121bessel_j0_kernel_cudaERNS_18TensorIteratorBaseEENKUlvE_clEvENKUlvE_clEvEUldE_NS0_6memory8policies11unroll_baseILi256ESt5arrayIPcLm2EE23TrivialOffsetCalculatorILi1EjESF_NS8_15LoadWithoutCastENS8_16StoreWithoutCastELi4ELi1EEEEEvT0_T1_.uses_vcc)
	.set _ZN2at6native27unrolled_elementwise_kernelIZZZNS0_12_GLOBAL__N_121bessel_j0_kernel_cudaERNS_18TensorIteratorBaseEENKUlvE_clEvENKUlvE_clEvEUldE_St5arrayIPcLm2EELi4E23TrivialOffsetCalculatorILi1EjESC_NS0_6memory15LoadWithoutCastENSD_16StoreWithoutCastEEEviT_T0_T2_T3_T4_T5_.uses_flat_scratch, or(0, .L_ZN2at6native25elementwise_kernel_helperILb0EZZZNS0_12_GLOBAL__N_121bessel_j0_kernel_cudaERNS_18TensorIteratorBaseEENKUlvE_clEvENKUlvE_clEvEUldE_NS0_6memory8policies11unroll_baseILi256ESt5arrayIPcLm2EE23TrivialOffsetCalculatorILi1EjESF_NS8_15LoadWithoutCastENS8_16StoreWithoutCastELi4ELi1EEEEEvT0_T1_.uses_flat_scratch)
	.set _ZN2at6native27unrolled_elementwise_kernelIZZZNS0_12_GLOBAL__N_121bessel_j0_kernel_cudaERNS_18TensorIteratorBaseEENKUlvE_clEvENKUlvE_clEvEUldE_St5arrayIPcLm2EELi4E23TrivialOffsetCalculatorILi1EjESC_NS0_6memory15LoadWithoutCastENSD_16StoreWithoutCastEEEviT_T0_T2_T3_T4_T5_.has_dyn_sized_stack, or(0, .L_ZN2at6native25elementwise_kernel_helperILb0EZZZNS0_12_GLOBAL__N_121bessel_j0_kernel_cudaERNS_18TensorIteratorBaseEENKUlvE_clEvENKUlvE_clEvEUldE_NS0_6memory8policies11unroll_baseILi256ESt5arrayIPcLm2EE23TrivialOffsetCalculatorILi1EjESF_NS8_15LoadWithoutCastENS8_16StoreWithoutCastELi4ELi1EEEEEvT0_T1_.has_dyn_sized_stack)
	.set _ZN2at6native27unrolled_elementwise_kernelIZZZNS0_12_GLOBAL__N_121bessel_j0_kernel_cudaERNS_18TensorIteratorBaseEENKUlvE_clEvENKUlvE_clEvEUldE_St5arrayIPcLm2EELi4E23TrivialOffsetCalculatorILi1EjESC_NS0_6memory15LoadWithoutCastENSD_16StoreWithoutCastEEEviT_T0_T2_T3_T4_T5_.has_recursion, or(0, .L_ZN2at6native25elementwise_kernel_helperILb0EZZZNS0_12_GLOBAL__N_121bessel_j0_kernel_cudaERNS_18TensorIteratorBaseEENKUlvE_clEvENKUlvE_clEvEUldE_NS0_6memory8policies11unroll_baseILi256ESt5arrayIPcLm2EE23TrivialOffsetCalculatorILi1EjESF_NS8_15LoadWithoutCastENS8_16StoreWithoutCastELi4ELi1EEEEEvT0_T1_.has_recursion)
	.set _ZN2at6native27unrolled_elementwise_kernelIZZZNS0_12_GLOBAL__N_121bessel_j0_kernel_cudaERNS_18TensorIteratorBaseEENKUlvE_clEvENKUlvE_clEvEUldE_St5arrayIPcLm2EELi4E23TrivialOffsetCalculatorILi1EjESC_NS0_6memory15LoadWithoutCastENSD_16StoreWithoutCastEEEviT_T0_T2_T3_T4_T5_.has_indirect_call, or(0, .L_ZN2at6native25elementwise_kernel_helperILb0EZZZNS0_12_GLOBAL__N_121bessel_j0_kernel_cudaERNS_18TensorIteratorBaseEENKUlvE_clEvENKUlvE_clEvEUldE_NS0_6memory8policies11unroll_baseILi256ESt5arrayIPcLm2EE23TrivialOffsetCalculatorILi1EjESF_NS8_15LoadWithoutCastENS8_16StoreWithoutCastELi4ELi1EEEEEvT0_T1_.has_indirect_call)
	.section	.AMDGPU.csdata,"",@progbits
; Kernel info:
; codeLenInByte = 96
; TotalNumSgprs: 52
; NumVgprs: 84
; ScratchSize: 0
; MemoryBound: 0
; FloatMode: 240
; IeeeMode: 1
; LDSByteSize: 0 bytes/workgroup (compile time only)
; SGPRBlocks: 6
; VGPRBlocks: 20
; NumSGPRsForWavesPerEU: 52
; NumVGPRsForWavesPerEU: 84
; Occupancy: 3
; WaveLimiterHint : 0
; COMPUTE_PGM_RSRC2:SCRATCH_EN: 0
; COMPUTE_PGM_RSRC2:USER_SGPR: 6
; COMPUTE_PGM_RSRC2:TRAP_HANDLER: 0
; COMPUTE_PGM_RSRC2:TGID_X_EN: 1
; COMPUTE_PGM_RSRC2:TGID_Y_EN: 0
; COMPUTE_PGM_RSRC2:TGID_Z_EN: 0
; COMPUTE_PGM_RSRC2:TIDIG_COMP_CNT: 0
	.section	.text._ZN2at6native32elementwise_kernel_manual_unrollILi128ELi4EZNS0_22gpu_kernel_impl_nocastIZZZNS0_12_GLOBAL__N_121bessel_j0_kernel_cudaERNS_18TensorIteratorBaseEENKUlvE_clEvENKUlvE_clEvEUldE_EEvS5_RKT_EUlibE_EEviT1_,"axG",@progbits,_ZN2at6native32elementwise_kernel_manual_unrollILi128ELi4EZNS0_22gpu_kernel_impl_nocastIZZZNS0_12_GLOBAL__N_121bessel_j0_kernel_cudaERNS_18TensorIteratorBaseEENKUlvE_clEvENKUlvE_clEvEUldE_EEvS5_RKT_EUlibE_EEviT1_,comdat
	.globl	_ZN2at6native32elementwise_kernel_manual_unrollILi128ELi4EZNS0_22gpu_kernel_impl_nocastIZZZNS0_12_GLOBAL__N_121bessel_j0_kernel_cudaERNS_18TensorIteratorBaseEENKUlvE_clEvENKUlvE_clEvEUldE_EEvS5_RKT_EUlibE_EEviT1_ ; -- Begin function _ZN2at6native32elementwise_kernel_manual_unrollILi128ELi4EZNS0_22gpu_kernel_impl_nocastIZZZNS0_12_GLOBAL__N_121bessel_j0_kernel_cudaERNS_18TensorIteratorBaseEENKUlvE_clEvENKUlvE_clEvEUldE_EEvS5_RKT_EUlibE_EEviT1_
	.p2align	8
	.type	_ZN2at6native32elementwise_kernel_manual_unrollILi128ELi4EZNS0_22gpu_kernel_impl_nocastIZZZNS0_12_GLOBAL__N_121bessel_j0_kernel_cudaERNS_18TensorIteratorBaseEENKUlvE_clEvENKUlvE_clEvEUldE_EEvS5_RKT_EUlibE_EEviT1_,@function
_ZN2at6native32elementwise_kernel_manual_unrollILi128ELi4EZNS0_22gpu_kernel_impl_nocastIZZZNS0_12_GLOBAL__N_121bessel_j0_kernel_cudaERNS_18TensorIteratorBaseEENKUlvE_clEvENKUlvE_clEvEUldE_EEvS5_RKT_EUlibE_EEviT1_: ; @_ZN2at6native32elementwise_kernel_manual_unrollILi128ELi4EZNS0_22gpu_kernel_impl_nocastIZZZNS0_12_GLOBAL__N_121bessel_j0_kernel_cudaERNS_18TensorIteratorBaseEENKUlvE_clEvENKUlvE_clEvEUldE_EEvS5_RKT_EUlibE_EEviT1_
; %bb.0:
	s_load_dword s57, s[4:5], 0x0
	s_load_dword s33, s[4:5], 0x8
	s_add_u32 s34, s4, 8
	s_addc_u32 s35, s5, 0
	v_lshl_or_b32 v27, s6, 9, v0
	v_or_b32_e32 v12, 0x180, v27
	s_waitcnt lgkmcnt(0)
	s_add_i32 s56, s33, -1
	s_cmp_gt_u32 s56, 1
	v_cmp_le_i32_e32 vcc, s57, v12
	s_cselect_b64 s[36:37], -1, 0
	s_and_saveexec_b64 s[0:1], vcc
	s_xor_b64 s[38:39], exec, s[0:1]
	s_cbranch_execz .LBB7_7
; %bb.1:
	s_load_dwordx4 s[24:27], s[34:35], 0x4
	s_load_dwordx2 s[40:41], s[34:35], 0x14
	s_load_dwordx4 s[20:23], s[34:35], 0xc4
	s_load_dwordx4 s[16:19], s[34:35], 0x148
	s_cmp_lg_u32 s33, 0
	s_cselect_b64 s[46:47], -1, 0
	s_add_u32 s44, s34, 0xc4
	s_addc_u32 s45, s35, 0
	s_min_u32 s58, s56, 15
	s_cmp_gt_u32 s33, 1
	s_cselect_b64 s[42:43], -1, 0
	v_cmp_gt_i32_e32 vcc, s57, v27
	s_and_saveexec_b64 s[48:49], vcc
	s_cbranch_execz .LBB7_14
; %bb.2:
	s_andn2_b64 vcc, exec, s[36:37]
	s_cbranch_vccnz .LBB7_21
; %bb.3:
	s_andn2_b64 vcc, exec, s[46:47]
	s_cbranch_vccnz .LBB7_137
; %bb.4:
	s_add_i32 s55, s58, 1
	s_cmp_eq_u32 s56, 2
	s_cbranch_scc1 .LBB7_139
; %bb.5:
	s_and_b32 s54, s55, 28
	v_mov_b32_e32 v2, 0
	s_mov_b32 s59, 0
	s_mov_b64 s[50:51], s[34:35]
	s_mov_b64 s[52:53], s[44:45]
	v_mov_b32_e32 v0, 0
	v_mov_b32_e32 v1, v27
.LBB7_6:                                ; =>This Inner Loop Header: Depth=1
	s_load_dwordx8 s[8:15], s[50:51], 0x4
	s_load_dwordx4 s[28:31], s[50:51], 0x24
	s_load_dwordx8 s[0:7], s[52:53], 0x0
	s_add_u32 s50, s50, 48
	s_addc_u32 s51, s51, 0
	s_waitcnt lgkmcnt(0)
	v_mul_hi_u32 v3, s9, v1
	s_add_i32 s59, s59, 4
	s_add_u32 s52, s52, 32
	s_addc_u32 s53, s53, 0
	v_add_u32_e32 v3, v1, v3
	v_lshrrev_b32_e32 v3, s10, v3
	v_mul_lo_u32 v4, v3, s8
	v_mul_hi_u32 v5, s12, v3
	s_cmp_lg_u32 s54, s59
	v_sub_u32_e32 v1, v1, v4
	v_add_u32_e32 v4, v3, v5
	v_mul_lo_u32 v5, v1, s0
	v_mul_lo_u32 v6, v1, s1
	v_lshrrev_b32_e32 v1, s13, v4
	v_mul_lo_u32 v4, v1, s11
	v_mul_hi_u32 v7, s15, v1
	v_sub_u32_e32 v3, v3, v4
	v_add_u32_e32 v4, v1, v7
	v_lshrrev_b32_e32 v4, s28, v4
	v_mul_hi_u32 v8, s30, v4
	v_mul_lo_u32 v9, v4, s14
	v_mul_lo_u32 v7, v3, s2
	;; [unrolled: 1-line block ×3, first 2 shown]
	v_sub_u32_e32 v9, v1, v9
	v_add_u32_e32 v1, v4, v8
	v_lshrrev_b32_e32 v1, s31, v1
	v_mul_lo_u32 v8, v1, s29
	v_mul_lo_u32 v10, v9, s4
	;; [unrolled: 1-line block ×3, first 2 shown]
	v_add3_u32 v0, v5, v0, v7
	v_sub_u32_e32 v4, v4, v8
	v_mul_lo_u32 v8, v4, s6
	v_mul_lo_u32 v4, v4, s7
	v_add3_u32 v2, v6, v2, v3
	v_add3_u32 v0, v10, v0, v8
	;; [unrolled: 1-line block ×3, first 2 shown]
	s_cbranch_scc1 .LBB7_6
	s_branch .LBB7_140
.LBB7_7:
	s_andn2_saveexec_b64 s[0:1], s[38:39]
	s_cbranch_execz .LBB7_197
.LBB7_8:
	v_cndmask_b32_e64 v0, 0, 1, s[36:37]
	v_cmp_ne_u32_e64 s[0:1], 1, v0
	s_andn2_b64 vcc, exec, s[36:37]
	s_cbranch_vccnz .LBB7_20
; %bb.9:
	s_cmp_lg_u32 s33, 0
	s_waitcnt lgkmcnt(0)
	s_mov_b32 s26, 0
	s_cbranch_scc0 .LBB7_23
; %bb.10:
	s_min_u32 s27, s56, 15
	s_add_i32 s27, s27, 1
	s_cmp_eq_u32 s56, 2
	s_cbranch_scc1 .LBB7_24
; %bb.11:
	s_and_b32 s26, s27, 28
	s_add_u32 s2, s34, 0xc4
	s_addc_u32 s3, s35, 0
	v_mov_b32_e32 v7, 0
	s_mov_b32 s28, 0
	s_mov_b64 s[24:25], s[34:35]
	v_mov_b32_e32 v0, 0
	v_mov_b32_e32 v1, v27
.LBB7_12:                               ; =>This Inner Loop Header: Depth=1
	s_load_dwordx8 s[12:19], s[24:25], 0x4
	s_load_dwordx4 s[20:23], s[24:25], 0x24
	s_load_dwordx8 s[4:11], s[2:3], 0x0
	s_add_u32 s24, s24, 48
	s_addc_u32 s25, s25, 0
	s_waitcnt lgkmcnt(0)
	v_mul_hi_u32 v2, s13, v1
	s_add_i32 s28, s28, 4
	s_add_u32 s2, s2, 32
	s_addc_u32 s3, s3, 0
	v_add_u32_e32 v2, v1, v2
	v_lshrrev_b32_e32 v2, s14, v2
	v_mul_lo_u32 v3, v2, s12
	v_mul_hi_u32 v4, s16, v2
	s_cmp_lg_u32 s26, s28
	v_sub_u32_e32 v1, v1, v3
	v_add_u32_e32 v3, v2, v4
	v_mul_lo_u32 v4, v1, s4
	v_mul_lo_u32 v5, v1, s5
	v_lshrrev_b32_e32 v1, s17, v3
	v_mul_lo_u32 v3, v1, s15
	v_mul_hi_u32 v6, s19, v1
	v_sub_u32_e32 v2, v2, v3
	v_add_u32_e32 v3, v1, v6
	v_lshrrev_b32_e32 v3, s20, v3
	v_mul_hi_u32 v8, s22, v3
	v_mul_lo_u32 v9, v3, s18
	v_mul_lo_u32 v6, v2, s6
	;; [unrolled: 1-line block ×3, first 2 shown]
	v_sub_u32_e32 v9, v1, v9
	v_add_u32_e32 v1, v3, v8
	v_lshrrev_b32_e32 v1, s23, v1
	v_mul_lo_u32 v8, v1, s21
	v_mul_lo_u32 v10, v9, s8
	;; [unrolled: 1-line block ×3, first 2 shown]
	v_add3_u32 v0, v4, v0, v6
	v_sub_u32_e32 v3, v3, v8
	v_mul_lo_u32 v8, v3, s10
	v_mul_lo_u32 v3, v3, s11
	v_add3_u32 v2, v5, v7, v2
	v_add3_u32 v0, v10, v0, v8
	;; [unrolled: 1-line block ×3, first 2 shown]
	s_cbranch_scc1 .LBB7_12
; %bb.13:
	s_and_b32 s6, s27, 3
	s_cmp_eq_u32 s6, 0
	s_cbranch_scc0 .LBB7_25
	s_branch .LBB7_27
.LBB7_14:
	s_or_b64 exec, exec, s[48:49]
	v_cmp_gt_i32_e32 vcc, s57, v27
	s_and_saveexec_b64 s[48:49], vcc
	s_cbranch_execz .LBB7_163
.LBB7_15:
	s_andn2_b64 vcc, exec, s[36:37]
	s_cbranch_vccnz .LBB7_22
; %bb.16:
	s_andn2_b64 vcc, exec, s[46:47]
	s_cbranch_vccnz .LBB7_138
; %bb.17:
	s_add_i32 s55, s58, 1
	s_cmp_eq_u32 s56, 2
	s_cbranch_scc1 .LBB7_171
; %bb.18:
	s_and_b32 s54, s55, 28
	v_mov_b32_e32 v2, 0
	s_mov_b32 s59, 0
	s_mov_b64 s[50:51], s[34:35]
	s_mov_b64 s[52:53], s[44:45]
	v_mov_b32_e32 v0, 0
	v_mov_b32_e32 v1, v27
.LBB7_19:                               ; =>This Inner Loop Header: Depth=1
	s_load_dwordx8 s[8:15], s[50:51], 0x4
	s_load_dwordx4 s[28:31], s[50:51], 0x24
	s_load_dwordx8 s[0:7], s[52:53], 0x0
	s_add_u32 s50, s50, 48
	s_addc_u32 s51, s51, 0
	s_waitcnt lgkmcnt(0)
	v_mul_hi_u32 v3, s9, v1
	s_add_i32 s59, s59, 4
	s_add_u32 s52, s52, 32
	s_addc_u32 s53, s53, 0
	v_add_u32_e32 v3, v1, v3
	v_lshrrev_b32_e32 v3, s10, v3
	v_mul_lo_u32 v4, v3, s8
	v_mul_hi_u32 v5, s12, v3
	s_cmp_eq_u32 s54, s59
	v_sub_u32_e32 v1, v1, v4
	v_add_u32_e32 v4, v3, v5
	v_mul_lo_u32 v5, v1, s0
	v_mul_lo_u32 v6, v1, s1
	v_lshrrev_b32_e32 v1, s13, v4
	v_mul_lo_u32 v4, v1, s11
	v_mul_hi_u32 v7, s15, v1
	v_sub_u32_e32 v3, v3, v4
	v_add_u32_e32 v4, v1, v7
	v_lshrrev_b32_e32 v4, s28, v4
	v_mul_hi_u32 v8, s30, v4
	v_mul_lo_u32 v9, v4, s14
	v_mul_lo_u32 v7, v3, s2
	v_mul_lo_u32 v3, v3, s3
	v_sub_u32_e32 v9, v1, v9
	v_add_u32_e32 v1, v4, v8
	v_lshrrev_b32_e32 v1, s31, v1
	v_mul_lo_u32 v8, v1, s29
	v_mul_lo_u32 v10, v9, s4
	;; [unrolled: 1-line block ×3, first 2 shown]
	v_add3_u32 v0, v5, v0, v7
	v_sub_u32_e32 v4, v4, v8
	v_mul_lo_u32 v8, v4, s6
	v_mul_lo_u32 v4, v4, s7
	v_add3_u32 v2, v6, v2, v3
	v_add3_u32 v0, v10, v0, v8
	;; [unrolled: 1-line block ×3, first 2 shown]
	s_cbranch_scc0 .LBB7_19
	s_branch .LBB7_172
.LBB7_20:
                                        ; implicit-def: $vgpr0
                                        ; implicit-def: $vgpr7
	s_branch .LBB7_28
.LBB7_21:
                                        ; implicit-def: $vgpr0
                                        ; implicit-def: $vgpr2
	s_branch .LBB7_144
.LBB7_22:
                                        ; implicit-def: $vgpr0
                                        ; implicit-def: $vgpr2
	s_branch .LBB7_176
.LBB7_23:
	v_mov_b32_e32 v0, 0
	v_mov_b32_e32 v7, 0
	s_branch .LBB7_27
.LBB7_24:
	v_mov_b32_e32 v0, 0
	v_mov_b32_e32 v7, 0
	;; [unrolled: 1-line block ×3, first 2 shown]
	s_and_b32 s6, s27, 3
	s_cmp_eq_u32 s6, 0
	s_cbranch_scc1 .LBB7_27
.LBB7_25:
	s_lshl_b32 s2, s26, 3
	s_add_u32 s2, s34, s2
	s_addc_u32 s3, s35, 0
	s_add_u32 s2, s2, 0xc4
	s_addc_u32 s3, s3, 0
	s_mul_i32 s4, s26, 12
	s_add_u32 s4, s34, s4
	s_addc_u32 s5, s35, 0
.LBB7_26:                               ; =>This Inner Loop Header: Depth=1
	s_load_dwordx2 s[8:9], s[4:5], 0x4
	s_load_dword s7, s[4:5], 0xc
	s_load_dwordx2 s[10:11], s[2:3], 0x0
	s_add_u32 s4, s4, 12
	s_addc_u32 s5, s5, 0
	s_waitcnt lgkmcnt(0)
	v_mul_hi_u32 v2, s9, v1
	s_add_u32 s2, s2, 8
	s_addc_u32 s3, s3, 0
	s_add_i32 s6, s6, -1
	v_add_u32_e32 v2, v1, v2
	v_lshrrev_b32_e32 v2, s7, v2
	v_mul_lo_u32 v3, v2, s8
	s_cmp_lg_u32 s6, 0
	v_sub_u32_e32 v3, v1, v3
	v_mad_u64_u32 v[0:1], s[8:9], v3, s10, v[0:1]
	v_mad_u64_u32 v[7:8], s[8:9], v3, s11, v[7:8]
	v_mov_b32_e32 v1, v2
	s_cbranch_scc1 .LBB7_26
.LBB7_27:
	s_cbranch_execnz .LBB7_30
.LBB7_28:
	s_load_dwordx4 s[4:7], s[34:35], 0x4
	s_load_dwordx2 s[2:3], s[34:35], 0xc4
	s_cmp_lt_u32 s33, 2
	s_waitcnt lgkmcnt(0)
	v_mul_hi_u32 v0, s5, v27
	v_add_u32_e32 v0, v27, v0
	v_lshrrev_b32_e32 v1, s6, v0
	v_mul_lo_u32 v0, v1, s4
	v_sub_u32_e32 v2, v27, v0
	v_mul_lo_u32 v0, v2, s2
	v_mul_lo_u32 v7, v2, s3
	s_cbranch_scc1 .LBB7_30
; %bb.29:
	s_load_dwordx4 s[4:7], s[34:35], 0x10
	s_load_dwordx2 s[2:3], s[34:35], 0xcc
	s_waitcnt lgkmcnt(0)
	v_mul_hi_u32 v2, s5, v1
	v_add_u32_e32 v2, v1, v2
	v_lshrrev_b32_e32 v2, s6, v2
	v_mul_lo_u32 v2, v2, s4
	v_sub_u32_e32 v2, v1, v2
	v_mad_u64_u32 v[0:1], s[4:5], v2, s2, v[0:1]
	v_mad_u64_u32 v[7:8], s[2:3], v2, s3, v[7:8]
.LBB7_30:
	s_and_b64 vcc, exec, s[0:1]
	v_add_u32_e32 v3, 0x80, v27
	s_cbranch_vccnz .LBB7_36
; %bb.31:
	s_cmp_lg_u32 s33, 0
	s_waitcnt lgkmcnt(0)
	s_mov_b32 s26, 0
	s_cbranch_scc0 .LBB7_37
; %bb.32:
	s_min_u32 s27, s56, 15
	s_add_i32 s27, s27, 1
	s_cmp_eq_u32 s56, 2
	s_cbranch_scc1 .LBB7_38
; %bb.33:
	s_and_b32 s26, s27, 28
	s_add_u32 s2, s34, 0xc4
	s_addc_u32 s3, s35, 0
	v_mov_b32_e32 v10, 0
	s_mov_b32 s28, 0
	s_mov_b64 s[24:25], s[34:35]
	v_mov_b32_e32 v1, 0
	v_mov_b32_e32 v2, v3
.LBB7_34:                               ; =>This Inner Loop Header: Depth=1
	s_load_dwordx8 s[12:19], s[24:25], 0x4
	s_load_dwordx4 s[20:23], s[24:25], 0x24
	s_load_dwordx8 s[4:11], s[2:3], 0x0
	s_add_u32 s24, s24, 48
	s_addc_u32 s25, s25, 0
	s_waitcnt lgkmcnt(0)
	v_mul_hi_u32 v4, s13, v2
	s_add_i32 s28, s28, 4
	s_add_u32 s2, s2, 32
	s_addc_u32 s3, s3, 0
	v_add_u32_e32 v4, v2, v4
	v_lshrrev_b32_e32 v4, s14, v4
	v_mul_lo_u32 v5, v4, s12
	v_mul_hi_u32 v6, s16, v4
	s_cmp_lg_u32 s26, s28
	v_sub_u32_e32 v2, v2, v5
	v_add_u32_e32 v5, v4, v6
	v_mul_lo_u32 v6, v2, s4
	v_mul_lo_u32 v8, v2, s5
	v_lshrrev_b32_e32 v2, s17, v5
	v_mul_lo_u32 v5, v2, s15
	v_mul_hi_u32 v9, s19, v2
	v_sub_u32_e32 v4, v4, v5
	v_add_u32_e32 v5, v2, v9
	v_lshrrev_b32_e32 v5, s20, v5
	v_mul_hi_u32 v11, s22, v5
	v_mul_lo_u32 v13, v5, s18
	v_mul_lo_u32 v9, v4, s6
	;; [unrolled: 1-line block ×3, first 2 shown]
	v_sub_u32_e32 v13, v2, v13
	v_add_u32_e32 v2, v5, v11
	v_lshrrev_b32_e32 v2, s23, v2
	v_mul_lo_u32 v11, v2, s21
	v_mul_lo_u32 v14, v13, s8
	;; [unrolled: 1-line block ×3, first 2 shown]
	v_add3_u32 v1, v6, v1, v9
	v_sub_u32_e32 v5, v5, v11
	v_mul_lo_u32 v11, v5, s10
	v_mul_lo_u32 v5, v5, s11
	v_add3_u32 v4, v8, v10, v4
	v_add3_u32 v1, v14, v1, v11
	;; [unrolled: 1-line block ×3, first 2 shown]
	s_cbranch_scc1 .LBB7_34
; %bb.35:
	s_and_b32 s6, s27, 3
	s_cmp_eq_u32 s6, 0
	s_cbranch_scc0 .LBB7_39
	s_branch .LBB7_41
.LBB7_36:
                                        ; implicit-def: $vgpr1
                                        ; implicit-def: $vgpr10
	s_branch .LBB7_42
.LBB7_37:
	v_mov_b32_e32 v1, 0
	v_mov_b32_e32 v10, 0
	s_branch .LBB7_41
.LBB7_38:
	v_mov_b32_e32 v1, 0
	v_mov_b32_e32 v10, 0
	;; [unrolled: 1-line block ×3, first 2 shown]
	s_and_b32 s6, s27, 3
	s_cmp_eq_u32 s6, 0
	s_cbranch_scc1 .LBB7_41
.LBB7_39:
	s_lshl_b32 s2, s26, 3
	s_add_u32 s2, s34, s2
	s_addc_u32 s3, s35, 0
	s_add_u32 s2, s2, 0xc4
	s_addc_u32 s3, s3, 0
	s_mul_i32 s4, s26, 12
	s_add_u32 s4, s34, s4
	s_addc_u32 s5, s35, 0
.LBB7_40:                               ; =>This Inner Loop Header: Depth=1
	s_load_dwordx2 s[8:9], s[4:5], 0x4
	s_load_dword s7, s[4:5], 0xc
	s_load_dwordx2 s[10:11], s[2:3], 0x0
	s_add_u32 s4, s4, 12
	s_addc_u32 s5, s5, 0
	s_waitcnt lgkmcnt(0)
	v_mul_hi_u32 v4, s9, v2
	s_add_u32 s2, s2, 8
	s_addc_u32 s3, s3, 0
	s_add_i32 s6, s6, -1
	v_add_u32_e32 v4, v2, v4
	v_lshrrev_b32_e32 v4, s7, v4
	v_mul_lo_u32 v5, v4, s8
	s_cmp_lg_u32 s6, 0
	v_sub_u32_e32 v5, v2, v5
	v_mad_u64_u32 v[1:2], s[8:9], v5, s10, v[1:2]
	v_mad_u64_u32 v[10:11], s[8:9], v5, s11, v[10:11]
	v_mov_b32_e32 v2, v4
	s_cbranch_scc1 .LBB7_40
.LBB7_41:
	s_cbranch_execnz .LBB7_44
.LBB7_42:
	s_load_dwordx4 s[4:7], s[34:35], 0x4
	s_load_dwordx2 s[2:3], s[34:35], 0xc4
	s_cmp_lt_u32 s33, 2
	s_waitcnt lgkmcnt(0)
	v_mul_hi_u32 v1, s5, v3
	v_add_u32_e32 v1, v3, v1
	v_lshrrev_b32_e32 v2, s6, v1
	v_mul_lo_u32 v1, v2, s4
	v_sub_u32_e32 v3, v3, v1
	v_mul_lo_u32 v1, v3, s2
	v_mul_lo_u32 v10, v3, s3
	s_cbranch_scc1 .LBB7_44
; %bb.43:
	s_load_dwordx4 s[4:7], s[34:35], 0x10
	s_load_dwordx2 s[2:3], s[34:35], 0xcc
	s_waitcnt lgkmcnt(0)
	v_mul_hi_u32 v3, s5, v2
	v_add_u32_e32 v3, v2, v3
	v_lshrrev_b32_e32 v3, s6, v3
	v_mul_lo_u32 v3, v3, s4
	v_sub_u32_e32 v3, v2, v3
	v_mad_u64_u32 v[1:2], s[4:5], v3, s2, v[1:2]
	v_mad_u64_u32 v[10:11], s[2:3], v3, s3, v[10:11]
.LBB7_44:
	s_and_b64 vcc, exec, s[0:1]
	v_add_u32_e32 v4, 0x100, v27
	s_cbranch_vccnz .LBB7_50
; %bb.45:
	s_cmp_lg_u32 s33, 0
	s_waitcnt lgkmcnt(0)
	s_mov_b32 s26, 0
	s_cbranch_scc0 .LBB7_51
; %bb.46:
	s_min_u32 s27, s56, 15
	s_add_i32 s27, s27, 1
	s_cmp_eq_u32 s56, 2
	s_cbranch_scc1 .LBB7_52
; %bb.47:
	s_and_b32 s26, s27, 28
	s_add_u32 s2, s34, 0xc4
	s_addc_u32 s3, s35, 0
	v_mov_b32_e32 v8, 0
	s_mov_b32 s28, 0
	s_mov_b64 s[24:25], s[34:35]
	v_mov_b32_e32 v2, 0
	v_mov_b32_e32 v3, v4
.LBB7_48:                               ; =>This Inner Loop Header: Depth=1
	s_load_dwordx8 s[12:19], s[24:25], 0x4
	s_load_dwordx4 s[20:23], s[24:25], 0x24
	s_load_dwordx8 s[4:11], s[2:3], 0x0
	s_add_u32 s24, s24, 48
	s_addc_u32 s25, s25, 0
	s_waitcnt lgkmcnt(0)
	v_mul_hi_u32 v5, s13, v3
	s_add_i32 s28, s28, 4
	s_add_u32 s2, s2, 32
	s_addc_u32 s3, s3, 0
	v_add_u32_e32 v5, v3, v5
	v_lshrrev_b32_e32 v5, s14, v5
	v_mul_lo_u32 v6, v5, s12
	v_mul_hi_u32 v9, s16, v5
	s_cmp_lg_u32 s26, s28
	v_sub_u32_e32 v3, v3, v6
	v_add_u32_e32 v6, v5, v9
	v_mul_lo_u32 v9, v3, s4
	v_mul_lo_u32 v11, v3, s5
	v_lshrrev_b32_e32 v3, s17, v6
	v_mul_lo_u32 v6, v3, s15
	v_mul_hi_u32 v13, s19, v3
	v_sub_u32_e32 v5, v5, v6
	v_add_u32_e32 v6, v3, v13
	v_lshrrev_b32_e32 v6, s20, v6
	v_mul_hi_u32 v14, s22, v6
	v_mul_lo_u32 v15, v6, s18
	v_mul_lo_u32 v13, v5, s6
	;; [unrolled: 1-line block ×3, first 2 shown]
	v_sub_u32_e32 v15, v3, v15
	v_add_u32_e32 v3, v6, v14
	v_lshrrev_b32_e32 v3, s23, v3
	v_mul_lo_u32 v14, v3, s21
	v_mul_lo_u32 v16, v15, s8
	;; [unrolled: 1-line block ×3, first 2 shown]
	v_add3_u32 v2, v9, v2, v13
	v_sub_u32_e32 v6, v6, v14
	v_mul_lo_u32 v14, v6, s10
	v_mul_lo_u32 v6, v6, s11
	v_add3_u32 v5, v11, v8, v5
	v_add3_u32 v2, v16, v2, v14
	;; [unrolled: 1-line block ×3, first 2 shown]
	s_cbranch_scc1 .LBB7_48
; %bb.49:
	s_and_b32 s6, s27, 3
	s_cmp_eq_u32 s6, 0
	s_cbranch_scc0 .LBB7_53
	s_branch .LBB7_55
.LBB7_50:
                                        ; implicit-def: $vgpr2
                                        ; implicit-def: $vgpr8
	s_branch .LBB7_56
.LBB7_51:
	v_mov_b32_e32 v2, 0
	v_mov_b32_e32 v8, 0
	s_branch .LBB7_55
.LBB7_52:
	v_mov_b32_e32 v2, 0
	v_mov_b32_e32 v8, 0
	;; [unrolled: 1-line block ×3, first 2 shown]
	s_and_b32 s6, s27, 3
	s_cmp_eq_u32 s6, 0
	s_cbranch_scc1 .LBB7_55
.LBB7_53:
	s_lshl_b32 s2, s26, 3
	s_add_u32 s2, s34, s2
	s_addc_u32 s3, s35, 0
	s_add_u32 s2, s2, 0xc4
	s_addc_u32 s3, s3, 0
	s_mul_i32 s4, s26, 12
	s_add_u32 s4, s34, s4
	s_addc_u32 s5, s35, 0
.LBB7_54:                               ; =>This Inner Loop Header: Depth=1
	s_load_dwordx2 s[8:9], s[4:5], 0x4
	s_load_dword s7, s[4:5], 0xc
	s_load_dwordx2 s[10:11], s[2:3], 0x0
	s_add_u32 s4, s4, 12
	s_addc_u32 s5, s5, 0
	s_waitcnt lgkmcnt(0)
	v_mul_hi_u32 v5, s9, v3
	s_add_u32 s2, s2, 8
	s_addc_u32 s3, s3, 0
	s_add_i32 s6, s6, -1
	v_add_u32_e32 v5, v3, v5
	v_lshrrev_b32_e32 v5, s7, v5
	v_mul_lo_u32 v6, v5, s8
	s_cmp_lg_u32 s6, 0
	v_sub_u32_e32 v6, v3, v6
	v_mad_u64_u32 v[2:3], s[8:9], v6, s10, v[2:3]
	v_mad_u64_u32 v[8:9], s[8:9], v6, s11, v[8:9]
	v_mov_b32_e32 v3, v5
	s_cbranch_scc1 .LBB7_54
.LBB7_55:
	s_cbranch_execnz .LBB7_58
.LBB7_56:
	s_load_dwordx4 s[4:7], s[34:35], 0x4
	s_load_dwordx2 s[2:3], s[34:35], 0xc4
	s_cmp_lt_u32 s33, 2
	s_waitcnt lgkmcnt(0)
	v_mul_hi_u32 v2, s5, v4
	v_add_u32_e32 v2, v4, v2
	v_lshrrev_b32_e32 v3, s6, v2
	v_mul_lo_u32 v2, v3, s4
	v_sub_u32_e32 v4, v4, v2
	v_mul_lo_u32 v2, v4, s2
	v_mul_lo_u32 v8, v4, s3
	s_cbranch_scc1 .LBB7_58
; %bb.57:
	s_load_dwordx4 s[4:7], s[34:35], 0x10
	s_load_dwordx2 s[2:3], s[34:35], 0xcc
	s_waitcnt lgkmcnt(0)
	v_mul_hi_u32 v4, s5, v3
	v_add_u32_e32 v4, v3, v4
	v_lshrrev_b32_e32 v4, s6, v4
	v_mul_lo_u32 v4, v4, s4
	v_sub_u32_e32 v4, v3, v4
	v_mad_u64_u32 v[2:3], s[4:5], v4, s2, v[2:3]
	v_mad_u64_u32 v[8:9], s[2:3], v4, s3, v[8:9]
.LBB7_58:
	s_and_b64 vcc, exec, s[0:1]
	s_cbranch_vccnz .LBB7_64
; %bb.59:
	s_cmp_lg_u32 s33, 0
	s_waitcnt lgkmcnt(0)
	s_mov_b32 s24, 0
	s_cbranch_scc0 .LBB7_65
; %bb.60:
	s_min_u32 s25, s56, 15
	s_add_i32 s25, s25, 1
	s_cmp_eq_u32 s56, 2
	s_cbranch_scc1 .LBB7_66
; %bb.61:
	s_and_b32 s24, s25, 28
	s_add_u32 s20, s34, 0xc4
	s_addc_u32 s21, s35, 0
	v_mov_b32_e32 v5, 0
	s_mov_b32 s26, 0
	s_mov_b64 s[22:23], s[34:35]
	v_mov_b32_e32 v3, 0
	v_mov_b32_e32 v4, v12
.LBB7_62:                               ; =>This Inner Loop Header: Depth=1
	s_load_dwordx8 s[8:15], s[22:23], 0x4
	s_load_dwordx4 s[16:19], s[22:23], 0x24
	s_load_dwordx8 s[0:7], s[20:21], 0x0
	s_add_u32 s22, s22, 48
	s_addc_u32 s23, s23, 0
	s_waitcnt lgkmcnt(0)
	v_mul_hi_u32 v6, s9, v4
	s_add_i32 s26, s26, 4
	s_add_u32 s20, s20, 32
	s_addc_u32 s21, s21, 0
	v_add_u32_e32 v6, v4, v6
	v_lshrrev_b32_e32 v6, s10, v6
	v_mul_lo_u32 v9, v6, s8
	v_mul_hi_u32 v11, s12, v6
	s_cmp_lg_u32 s24, s26
	v_sub_u32_e32 v4, v4, v9
	v_add_u32_e32 v9, v6, v11
	v_mul_lo_u32 v11, v4, s0
	v_mul_lo_u32 v13, v4, s1
	v_lshrrev_b32_e32 v4, s13, v9
	v_mul_lo_u32 v9, v4, s11
	v_mul_hi_u32 v14, s15, v4
	v_sub_u32_e32 v6, v6, v9
	v_add_u32_e32 v9, v4, v14
	v_lshrrev_b32_e32 v9, s16, v9
	v_mul_hi_u32 v15, s18, v9
	v_mul_lo_u32 v16, v9, s14
	v_mul_lo_u32 v14, v6, s2
	;; [unrolled: 1-line block ×3, first 2 shown]
	v_sub_u32_e32 v16, v4, v16
	v_add_u32_e32 v4, v9, v15
	v_lshrrev_b32_e32 v4, s19, v4
	v_mul_lo_u32 v15, v4, s17
	v_mul_lo_u32 v17, v16, s4
	;; [unrolled: 1-line block ×3, first 2 shown]
	v_add3_u32 v3, v11, v3, v14
	v_sub_u32_e32 v9, v9, v15
	v_mul_lo_u32 v15, v9, s6
	v_mul_lo_u32 v9, v9, s7
	v_add3_u32 v5, v13, v5, v6
	v_add3_u32 v3, v17, v3, v15
	;; [unrolled: 1-line block ×3, first 2 shown]
	s_cbranch_scc1 .LBB7_62
; %bb.63:
	s_and_b32 s4, s25, 3
	s_cmp_eq_u32 s4, 0
	s_cbranch_scc0 .LBB7_67
	s_branch .LBB7_69
.LBB7_64:
                                        ; implicit-def: $vgpr3
                                        ; implicit-def: $vgpr5
	s_branch .LBB7_70
.LBB7_65:
	v_mov_b32_e32 v3, 0
	v_mov_b32_e32 v5, 0
	s_branch .LBB7_69
.LBB7_66:
	v_mov_b32_e32 v3, 0
	v_mov_b32_e32 v5, 0
	;; [unrolled: 1-line block ×3, first 2 shown]
	s_and_b32 s4, s25, 3
	s_cmp_eq_u32 s4, 0
	s_cbranch_scc1 .LBB7_69
.LBB7_67:
	s_lshl_b32 s0, s24, 3
	s_add_u32 s0, s34, s0
	s_addc_u32 s1, s35, 0
	s_add_u32 s0, s0, 0xc4
	s_addc_u32 s1, s1, 0
	s_mul_i32 s2, s24, 12
	s_add_u32 s2, s34, s2
	s_addc_u32 s3, s35, 0
.LBB7_68:                               ; =>This Inner Loop Header: Depth=1
	s_load_dwordx2 s[6:7], s[2:3], 0x4
	s_load_dword s5, s[2:3], 0xc
	s_load_dwordx2 s[8:9], s[0:1], 0x0
	s_add_u32 s2, s2, 12
	s_addc_u32 s3, s3, 0
	s_waitcnt lgkmcnt(0)
	v_mul_hi_u32 v6, s7, v4
	s_add_u32 s0, s0, 8
	s_addc_u32 s1, s1, 0
	s_add_i32 s4, s4, -1
	v_add_u32_e32 v6, v4, v6
	v_lshrrev_b32_e32 v9, s5, v6
	v_mul_lo_u32 v6, v9, s6
	s_cmp_lg_u32 s4, 0
	v_sub_u32_e32 v6, v4, v6
	v_mad_u64_u32 v[3:4], s[6:7], v6, s8, v[3:4]
	v_mad_u64_u32 v[5:6], s[6:7], v6, s9, v[5:6]
	v_mov_b32_e32 v4, v9
	s_cbranch_scc1 .LBB7_68
.LBB7_69:
	s_cbranch_execnz .LBB7_72
.LBB7_70:
	s_load_dwordx4 s[0:3], s[34:35], 0x4
	s_load_dwordx2 s[4:5], s[34:35], 0xc4
	s_cmp_lt_u32 s33, 2
	s_waitcnt lgkmcnt(0)
	v_mul_hi_u32 v3, s1, v12
	v_add_u32_e32 v3, v12, v3
	v_lshrrev_b32_e32 v4, s2, v3
	v_mul_lo_u32 v3, v4, s0
	v_sub_u32_e32 v5, v12, v3
	v_mul_lo_u32 v3, v5, s4
	v_mul_lo_u32 v5, v5, s5
	s_cbranch_scc1 .LBB7_72
; %bb.71:
	s_load_dwordx4 s[0:3], s[34:35], 0x10
	s_load_dwordx2 s[4:5], s[34:35], 0xcc
	s_waitcnt lgkmcnt(0)
	v_mul_hi_u32 v6, s1, v4
	v_add_u32_e32 v6, v4, v6
	v_lshrrev_b32_e32 v6, s2, v6
	v_mul_lo_u32 v6, v6, s0
	v_sub_u32_e32 v6, v4, v6
	v_mad_u64_u32 v[3:4], s[0:1], v6, s4, v[3:4]
	v_mad_u64_u32 v[5:6], s[0:1], v6, s5, v[5:6]
.LBB7_72:
	s_load_dwordx4 s[4:7], s[34:35], 0x148
	s_mov_b32 s0, 0
	s_mov_b32 s1, 0x40140000
	s_waitcnt lgkmcnt(0)
	global_load_dwordx2 v[11:12], v7, s[6:7]
                                        ; implicit-def: $vgpr6_vgpr7
	s_waitcnt vmcnt(0)
	v_cmp_gt_f64_e32 vcc, 0, v[11:12]
	v_xor_b32_e32 v4, 0x80000000, v12
	v_cndmask_b32_e32 v12, v12, v4, vcc
	v_cmp_ge_f64_e32 vcc, s[0:1], v[11:12]
	s_and_saveexec_b64 s[0:1], vcc
	s_xor_b64 s[0:1], exec, s[0:1]
	s_cbranch_execz .LBB7_78
; %bb.73:
	s_mov_b32 s2, 0x88e368f1
	s_mov_b32 s3, 0x3ee4f8b5
	v_cmp_ngt_f64_e32 vcc, s[2:3], v[11:12]
	v_mul_f64 v[11:12], v[11:12], v[11:12]
                                        ; implicit-def: $vgpr6_vgpr7
	s_and_saveexec_b64 s[2:3], vcc
	s_xor_b64 s[2:3], exec, s[2:3]
	s_cbranch_execz .LBB7_75
; %bb.74:
	v_mov_b32_e32 v6, 0xa696b78c
	v_mov_b32_e32 v7, 0x407f3902
	v_fma_f64 v[6:7], v[11:12], 0, v[6:7]
	s_mov_b32 s8, 0x36a21a67
	s_mov_b32 s9, 0x410536cb
	;; [unrolled: 1-line block ×3, first 2 shown]
	v_mov_b32_e32 v13, 0xad1c8325
	v_mov_b32_e32 v14, 0xc1f1dc53
	s_mov_b32 s11, 0x4204d5b0
	v_fma_f64 v[13:14], v[11:12], 0, v[13:14]
	v_fma_f64 v[6:7], v[11:12], v[6:7], s[8:9]
	s_mov_b32 s8, 0x2eac0634
	s_mov_b32 s9, 0x41871934
	;; [unrolled: 1-line block ×6, first 2 shown]
	v_fma_f64 v[6:7], v[11:12], v[6:7], s[8:9]
	s_mov_b32 s8, 0xc772990d
	s_mov_b32 s9, 0x427c7751
	v_fma_f64 v[13:14], v[11:12], v[13:14], s[8:9]
	s_mov_b32 s8, 0x80462bbb
	s_mov_b32 s9, 0xc01721fb
	v_add_f64 v[15:16], v[11:12], s[8:9]
	s_mov_b32 s8, 0x7e7b2e9c
	v_fma_f64 v[6:7], v[11:12], v[6:7], s[10:11]
	s_mov_b32 s10, 0xe0d900f7
	s_mov_b32 s11, 0xc2ec5614
	v_fma_f64 v[13:14], v[11:12], v[13:14], s[10:11]
	s_mov_b32 s10, 0x69ff5fb4
	s_mov_b32 s9, 0x435c4141
	;; [unrolled: 1-line block ×3, first 2 shown]
	v_fma_f64 v[6:7], v[11:12], v[6:7], s[12:13]
	s_mov_b32 s12, 0xa621dd6f
	s_mov_b32 s13, 0xc03e78a4
	v_add_f64 v[17:18], v[11:12], s[12:13]
	v_fma_f64 v[13:14], v[11:12], v[13:14], s[10:11]
	v_fma_f64 v[6:7], v[11:12], v[6:7], s[14:15]
	v_mul_f64 v[15:16], v[15:16], v[17:18]
	v_fma_f64 v[6:7], v[11:12], v[6:7], s[8:9]
	s_mov_b32 s8, 0xc7b662cc
	s_mov_b32 s9, 0x43b7be34
	v_mul_f64 v[13:14], v[15:16], v[13:14]
	v_fma_f64 v[6:7], v[11:12], v[6:7], s[8:9]
	v_div_scale_f64 v[11:12], s[8:9], v[6:7], v[6:7], v[13:14]
	v_div_scale_f64 v[19:20], vcc, v[13:14], v[6:7], v[13:14]
	v_rcp_f64_e32 v[15:16], v[11:12]
	v_fma_f64 v[17:18], -v[11:12], v[15:16], 1.0
	v_fma_f64 v[15:16], v[15:16], v[17:18], v[15:16]
	v_fma_f64 v[17:18], -v[11:12], v[15:16], 1.0
	v_fma_f64 v[15:16], v[15:16], v[17:18], v[15:16]
	v_mul_f64 v[17:18], v[19:20], v[15:16]
	v_fma_f64 v[11:12], -v[11:12], v[17:18], v[19:20]
	v_div_fmas_f64 v[11:12], v[11:12], v[15:16], v[17:18]
	v_div_fixup_f64 v[6:7], v[11:12], v[6:7], v[13:14]
                                        ; implicit-def: $vgpr11_vgpr12
.LBB7_75:
	s_andn2_saveexec_b64 s[2:3], s[2:3]
	s_cbranch_execz .LBB7_77
; %bb.76:
	s_mov_b32 s8, 0
	s_mov_b32 s9, 0xbfd00000
	v_fma_f64 v[6:7], v[11:12], s[8:9], 1.0
.LBB7_77:
	s_or_b64 exec, exec, s[2:3]
                                        ; implicit-def: $vgpr11_vgpr12
.LBB7_78:
	s_andn2_saveexec_b64 s[2:3], s[0:1]
	s_cbranch_execz .LBB7_88
; %bb.79:
	s_mov_b32 s11, 0xbfe921fb
	s_mov_b32 s10, 0x54442d18
	v_add_f64 v[6:7], v[11:12], s[10:11]
	s_mov_b32 s0, 0
	s_mov_b32 s1, 0x41d00000
                                        ; implicit-def: $vgpr9
                                        ; implicit-def: $vgpr17_vgpr18
                                        ; implicit-def: $vgpr19_vgpr20
	v_trig_preop_f64 v[25:26], |v[6:7]|, 0
	v_trig_preop_f64 v[23:24], |v[6:7]|, 1
	;; [unrolled: 1-line block ×3, first 2 shown]
	v_cmp_nlt_f64_e64 s[8:9], |v[6:7]|, s[0:1]
	s_and_saveexec_b64 s[0:1], s[8:9]
	s_xor_b64 s[12:13], exec, s[0:1]
	s_cbranch_execz .LBB7_81
; %bb.80:
	s_mov_b32 s0, 0
	s_mov_b32 s1, 0x7b000000
	s_movk_i32 s11, 0xff80
	v_ldexp_f64 v[13:14], |v[6:7]|, s11
	v_cmp_ge_f64_e64 vcc, |v[6:7]|, s[0:1]
	v_and_b32_e32 v4, 0x7fffffff, v7
	s_mov_b32 s0, 0
	s_mov_b32 s1, 0x7ff00000
	v_mov_b32_e32 v39, 0
	s_mov_b32 s11, 0x3ff921fb
	v_cndmask_b32_e32 v14, v4, v14, vcc
	v_cndmask_b32_e32 v13, v6, v13, vcc
	v_mul_f64 v[15:16], v[25:26], v[13:14]
	v_mul_f64 v[17:18], v[23:24], v[13:14]
	;; [unrolled: 1-line block ×3, first 2 shown]
	v_mov_b32_e32 v4, 0x40100000
	v_fma_f64 v[19:20], v[25:26], v[13:14], -v[15:16]
	v_fma_f64 v[35:36], v[23:24], v[13:14], -v[17:18]
	;; [unrolled: 1-line block ×3, first 2 shown]
	v_add_f64 v[27:28], v[17:18], v[19:20]
	v_add_f64 v[29:30], v[27:28], -v[17:18]
	v_add_f64 v[37:38], v[15:16], v[27:28]
	v_add_f64 v[31:32], v[27:28], -v[29:30]
	v_add_f64 v[19:20], v[19:20], -v[29:30]
	v_add_f64 v[29:30], v[33:34], v[35:36]
	v_add_f64 v[15:16], v[37:38], -v[15:16]
	v_add_f64 v[17:18], v[17:18], -v[31:32]
	v_ldexp_f64 v[31:32], v[37:38], -2
	v_add_f64 v[41:42], v[29:30], -v[33:34]
	v_add_f64 v[15:16], v[27:28], -v[15:16]
	v_add_f64 v[17:18], v[19:20], v[17:18]
	v_fract_f64_e32 v[19:20], v[31:32]
	v_cmp_neq_f64_e64 vcc, |v[31:32]|, s[0:1]
	v_add_f64 v[35:36], v[35:36], -v[41:42]
	v_add_f64 v[27:28], v[29:30], v[17:18]
	v_ldexp_f64 v[19:20], v[19:20], 2
	v_add_f64 v[31:32], v[15:16], v[27:28]
	v_cndmask_b32_e32 v20, 0, v20, vcc
	v_cndmask_b32_e32 v19, 0, v19, vcc
	v_add_f64 v[43:44], v[27:28], -v[29:30]
	v_add_f64 v[37:38], v[31:32], v[19:20]
	v_add_f64 v[15:16], v[31:32], -v[15:16]
	v_add_f64 v[45:46], v[27:28], -v[43:44]
	;; [unrolled: 1-line block ×3, first 2 shown]
	v_cmp_gt_f64_e32 vcc, 0, v[37:38]
	v_add_f64 v[37:38], v[29:30], -v[41:42]
	v_add_f64 v[15:16], v[27:28], -v[15:16]
	;; [unrolled: 1-line block ×3, first 2 shown]
	v_cndmask_b32_e32 v40, 0, v4, vcc
	v_add_f64 v[19:20], v[19:20], v[39:40]
	v_add_f64 v[37:38], v[33:34], -v[37:38]
	v_add_f64 v[17:18], v[17:18], v[29:30]
	v_add_f64 v[47:48], v[31:32], v[19:20]
	;; [unrolled: 1-line block ×3, first 2 shown]
	v_cvt_i32_f64_e32 v4, v[47:48]
	v_add_f64 v[17:18], v[35:36], v[17:18]
	v_cvt_f64_i32_e32 v[40:41], v4
	v_add_f64 v[19:20], v[19:20], -v[40:41]
	v_add_f64 v[13:14], v[13:14], v[17:18]
	v_add_f64 v[29:30], v[31:32], v[19:20]
	;; [unrolled: 1-line block ×3, first 2 shown]
	v_add_f64 v[17:18], v[29:30], -v[19:20]
	v_cmp_le_f64_e32 vcc, 0.5, v[29:30]
	v_add_f64 v[15:16], v[31:32], -v[17:18]
	v_mov_b32_e32 v17, 0x3ff00000
	v_cndmask_b32_e32 v40, 0, v17, vcc
	v_addc_co_u32_e64 v9, s[0:1], 0, v4, vcc
	s_mov_b32 s0, 0x33145c07
	s_mov_b32 s1, 0x3c91a626
	v_add_f64 v[13:14], v[13:14], v[15:16]
	v_add_f64 v[15:16], v[29:30], -v[39:40]
	v_add_f64 v[17:18], v[15:16], v[13:14]
	v_mul_f64 v[19:20], v[17:18], s[10:11]
	v_add_f64 v[15:16], v[17:18], -v[15:16]
	v_fma_f64 v[27:28], v[17:18], s[10:11], -v[19:20]
	v_add_f64 v[13:14], v[13:14], -v[15:16]
	v_fma_f64 v[15:16], v[17:18], s[0:1], v[27:28]
	v_fma_f64 v[13:14], v[13:14], s[10:11], v[15:16]
	v_add_f64 v[17:18], v[19:20], v[13:14]
	v_add_f64 v[15:16], v[17:18], -v[19:20]
	v_add_f64 v[19:20], v[13:14], -v[15:16]
	s_andn2_saveexec_b64 s[0:1], s[12:13]
	s_cbranch_execz .LBB7_83
	s_branch .LBB7_82
.LBB7_81:
	s_andn2_saveexec_b64 s[0:1], s[12:13]
	s_cbranch_execz .LBB7_83
.LBB7_82:
	s_mov_b32 s10, 0x6dc9c883
	s_mov_b32 s11, 0x3fe45f30
	v_mul_f64 v[13:14], |v[6:7]|, s[10:11]
	s_mov_b32 s10, 0x54442d18
	s_mov_b32 s11, 0xbff921fb
	;; [unrolled: 1-line block ×4, first 2 shown]
	v_rndne_f64_e32 v[13:14], v[13:14]
	v_fma_f64 v[15:16], v[13:14], s[10:11], |v[6:7]|
	v_mul_f64 v[17:18], v[13:14], s[12:13]
	s_mov_b32 s10, 0x252049c0
	s_mov_b32 s11, 0xb97b839a
	v_cvt_i32_f64_e32 v9, v[13:14]
	v_add_f64 v[19:20], v[15:16], v[17:18]
	v_add_f64 v[27:28], v[15:16], -v[19:20]
	v_fma_f64 v[15:16], v[13:14], s[12:13], v[15:16]
	s_mov_b32 s13, 0x3c91a626
	v_add_f64 v[27:28], v[27:28], v[17:18]
	v_add_f64 v[19:20], v[19:20], -v[15:16]
	v_fma_f64 v[17:18], v[13:14], s[12:13], v[17:18]
	v_add_f64 v[19:20], v[19:20], v[27:28]
	v_add_f64 v[17:18], v[19:20], -v[17:18]
	v_fma_f64 v[19:20], v[13:14], s[10:11], v[17:18]
	v_add_f64 v[17:18], v[15:16], v[19:20]
	v_add_f64 v[15:16], v[17:18], -v[15:16]
	v_add_f64 v[19:20], v[19:20], -v[15:16]
.LBB7_83:
	s_or_b64 exec, exec, s[0:1]
                                        ; implicit-def: $vgpr4
                                        ; implicit-def: $vgpr13_vgpr14
                                        ; implicit-def: $vgpr15_vgpr16
	s_and_saveexec_b64 s[0:1], s[8:9]
	s_xor_b64 s[0:1], exec, s[0:1]
	s_cbranch_execz .LBB7_85
; %bb.84:
	s_mov_b32 s8, 0
	s_mov_b32 s9, 0x7b000000
	s_movk_i32 s10, 0xff80
	v_ldexp_f64 v[13:14], |v[6:7]|, s10
	v_cmp_ge_f64_e64 vcc, |v[6:7]|, s[8:9]
	v_and_b32_e32 v4, 0x7fffffff, v7
	s_mov_b32 s8, 0
	s_mov_b32 s9, 0x7ff00000
	v_mov_b32_e32 v39, 0
	s_mov_b32 s10, 0x33145c07
	s_mov_b32 s11, 0x3c91a626
	v_cndmask_b32_e32 v14, v4, v14, vcc
	v_cndmask_b32_e32 v13, v6, v13, vcc
	v_mul_f64 v[15:16], v[25:26], v[13:14]
	v_mul_f64 v[27:28], v[23:24], v[13:14]
	;; [unrolled: 1-line block ×3, first 2 shown]
	v_mov_b32_e32 v4, 0x40100000
	v_fma_f64 v[25:26], v[25:26], v[13:14], -v[15:16]
	v_fma_f64 v[23:24], v[23:24], v[13:14], -v[27:28]
	;; [unrolled: 1-line block ×3, first 2 shown]
	v_add_f64 v[29:30], v[27:28], v[25:26]
	v_add_f64 v[31:32], v[29:30], -v[27:28]
	v_add_f64 v[37:38], v[15:16], v[29:30]
	v_add_f64 v[33:34], v[29:30], -v[31:32]
	v_add_f64 v[25:26], v[25:26], -v[31:32]
	v_add_f64 v[31:32], v[35:36], v[23:24]
	v_add_f64 v[15:16], v[37:38], -v[15:16]
	v_add_f64 v[27:28], v[27:28], -v[33:34]
	v_ldexp_f64 v[33:34], v[37:38], -2
	v_add_f64 v[15:16], v[29:30], -v[15:16]
	v_add_f64 v[25:26], v[25:26], v[27:28]
	v_fract_f64_e32 v[27:28], v[33:34]
	v_cmp_neq_f64_e64 vcc, |v[33:34]|, s[8:9]
	s_mov_b32 s8, 0x54442d18
	s_mov_b32 s9, 0x3ff921fb
	v_add_f64 v[29:30], v[31:32], v[25:26]
	v_ldexp_f64 v[27:28], v[27:28], 2
	v_add_f64 v[33:34], v[15:16], v[29:30]
	v_cndmask_b32_e32 v28, 0, v28, vcc
	v_cndmask_b32_e32 v27, 0, v27, vcc
	v_add_f64 v[41:42], v[29:30], -v[31:32]
	v_add_f64 v[37:38], v[33:34], v[27:28]
	v_add_f64 v[15:16], v[33:34], -v[15:16]
	v_add_f64 v[45:46], v[29:30], -v[41:42]
	;; [unrolled: 1-line block ×3, first 2 shown]
	v_cmp_gt_f64_e32 vcc, 0, v[37:38]
	v_add_f64 v[37:38], v[31:32], -v[35:36]
	v_add_f64 v[15:16], v[29:30], -v[15:16]
	v_cndmask_b32_e32 v40, 0, v4, vcc
	v_add_f64 v[27:28], v[27:28], v[39:40]
	v_add_f64 v[43:44], v[31:32], -v[37:38]
	v_add_f64 v[23:24], v[23:24], -v[37:38]
	;; [unrolled: 1-line block ×3, first 2 shown]
	v_add_f64 v[47:48], v[33:34], v[27:28]
	v_add_f64 v[37:38], v[35:36], -v[43:44]
	v_add_f64 v[25:26], v[25:26], v[31:32]
	v_cvt_i32_f64_e32 v4, v[47:48]
	v_add_f64 v[23:24], v[23:24], v[37:38]
	v_cvt_f64_i32_e32 v[40:41], v4
	v_add_f64 v[27:28], v[27:28], -v[40:41]
	v_add_f64 v[21:22], v[23:24], v[25:26]
	v_add_f64 v[23:24], v[33:34], v[27:28]
	;; [unrolled: 1-line block ×3, first 2 shown]
	v_add_f64 v[21:22], v[23:24], -v[27:28]
	v_cmp_le_f64_e32 vcc, 0.5, v[23:24]
	v_add_f64 v[13:14], v[15:16], v[13:14]
	v_add_f64 v[15:16], v[33:34], -v[21:22]
	v_mov_b32_e32 v21, 0x3ff00000
	v_cndmask_b32_e32 v40, 0, v21, vcc
	v_addc_co_u32_e32 v4, vcc, 0, v4, vcc
	v_add_f64 v[13:14], v[13:14], v[15:16]
	v_add_f64 v[15:16], v[23:24], -v[39:40]
	v_add_f64 v[21:22], v[15:16], v[13:14]
	v_mul_f64 v[23:24], v[21:22], s[8:9]
	v_add_f64 v[15:16], v[21:22], -v[15:16]
	v_fma_f64 v[25:26], v[21:22], s[8:9], -v[23:24]
	v_add_f64 v[13:14], v[13:14], -v[15:16]
	v_fma_f64 v[15:16], v[21:22], s[10:11], v[25:26]
	v_fma_f64 v[15:16], v[13:14], s[8:9], v[15:16]
	v_add_f64 v[13:14], v[23:24], v[15:16]
	v_add_f64 v[21:22], v[13:14], -v[23:24]
	v_add_f64 v[15:16], v[15:16], -v[21:22]
	s_andn2_saveexec_b64 s[0:1], s[0:1]
	s_cbranch_execnz .LBB7_86
	s_branch .LBB7_87
.LBB7_85:
	s_andn2_saveexec_b64 s[0:1], s[0:1]
	s_cbranch_execz .LBB7_87
.LBB7_86:
	s_mov_b32 s8, 0x6dc9c883
	s_mov_b32 s9, 0x3fe45f30
	v_mul_f64 v[13:14], |v[6:7]|, s[8:9]
	s_mov_b32 s8, 0x54442d18
	s_mov_b32 s9, 0xbff921fb
	;; [unrolled: 1-line block ×4, first 2 shown]
	v_rndne_f64_e32 v[21:22], v[13:14]
	v_fma_f64 v[13:14], v[21:22], s[8:9], |v[6:7]|
	v_mul_f64 v[15:16], v[21:22], s[10:11]
	s_mov_b32 s8, 0x252049c0
	s_mov_b32 s9, 0xb97b839a
	v_cvt_i32_f64_e32 v4, v[21:22]
	v_fma_f64 v[27:28], v[21:22], s[10:11], v[13:14]
	v_add_f64 v[23:24], v[13:14], v[15:16]
	s_mov_b32 s11, 0x3c91a626
	v_add_f64 v[25:26], v[13:14], -v[23:24]
	v_add_f64 v[23:24], v[23:24], -v[27:28]
	v_add_f64 v[13:14], v[25:26], v[15:16]
	v_fma_f64 v[15:16], v[21:22], s[10:11], v[15:16]
	v_add_f64 v[13:14], v[23:24], v[13:14]
	v_add_f64 v[13:14], v[13:14], -v[15:16]
	v_fma_f64 v[15:16], v[21:22], s[8:9], v[13:14]
	v_add_f64 v[13:14], v[27:28], v[15:16]
	v_add_f64 v[23:24], v[13:14], -v[27:28]
	v_add_f64 v[15:16], v[15:16], -v[23:24]
.LBB7_87:
	s_or_b64 exec, exec, s[0:1]
	v_mul_f64 v[21:22], v[11:12], v[11:12]
	s_mov_b32 s0, 0
	s_mov_b32 s1, 0x40390000
	;; [unrolled: 1-line block ×7, first 2 shown]
	v_div_scale_f64 v[23:24], s[8:9], v[21:22], v[21:22], s[0:1]
	s_mov_b32 s8, 0x46cc5e42
	s_mov_b32 s9, 0xbda907db
	;; [unrolled: 1-line block ×13, first 2 shown]
	v_mul_f64 v[39:40], v[19:20], 0.5
	v_rcp_f64_e32 v[25:26], v[23:24]
	s_mov_b32 s27, 0xbfc55555
	s_mov_b32 s26, s16
	;; [unrolled: 1-line block ×4, first 2 shown]
	v_fma_f64 v[27:28], -v[23:24], v[25:26], 1.0
	v_fma_f64 v[25:26], v[25:26], v[27:28], v[25:26]
	v_fma_f64 v[27:28], -v[23:24], v[25:26], 1.0
	v_fma_f64 v[25:26], v[25:26], v[27:28], v[25:26]
	v_div_scale_f64 v[27:28], vcc, s[0:1], v[21:22], s[0:1]
	v_mul_f64 v[29:30], v[27:28], v[25:26]
	v_fma_f64 v[23:24], -v[23:24], v[29:30], v[27:28]
	s_nop 1
	v_div_fmas_f64 v[23:24], v[23:24], v[25:26], v[29:30]
	v_mov_b32_e32 v29, 0x413c25ac
	v_mov_b32_e32 v30, 0x40501457
	v_div_fixup_f64 v[23:24], v[23:24], v[21:22], s[0:1]
	v_mov_b32_e32 v21, 0x983b6b27
	v_mov_b32_e32 v22, 0x3f4a1d30
	s_mov_b32 s0, 0xb35dd1cf
	s_mov_b32 s1, 0x3fb534b0
	v_fma_f64 v[21:22], v[23:24], 0, v[21:22]
	v_fma_f64 v[29:30], v[23:24], 0, v[29:30]
	;; [unrolled: 1-line block ×3, first 2 shown]
	s_mov_b32 s0, 0x4e680b98
	s_mov_b32 s1, 0x3ff3d521
	v_fma_f64 v[21:22], v[23:24], v[21:22], s[0:1]
	s_mov_b32 s0, 0xe97a0956
	s_mov_b32 s1, 0x4015c9fb
	v_fma_f64 v[21:22], v[23:24], v[21:22], s[0:1]
	;; [unrolled: 3-line block ×4, first 2 shown]
	v_mov_b32_e32 v21, 0xce039737
	v_mov_b32_e32 v22, 0x3f4e4a80
	v_fma_f64 v[21:22], v[23:24], 0, v[21:22]
	s_mov_b32 s0, 0xab5454e3
	s_mov_b32 s1, 0x3fb5ebc5
	v_fma_f64 v[21:22], v[23:24], v[21:22], s[0:1]
	s_mov_b32 s0, 0xc9b3069f
	s_mov_b32 s1, 0x3ff40e72
	;; [unrolled: 3-line block ×6, first 2 shown]
	v_fma_f64 v[27:28], v[23:24], v[21:22], 1.0
	v_mov_b32_e32 v21, 0x38a5384a
	v_mov_b32_e32 v22, 0xbf874742
	v_fma_f64 v[21:22], v[23:24], 0, v[21:22]
	v_fma_f64 v[21:22], v[23:24], v[21:22], s[0:1]
	s_mov_b32 s0, 0xf50e2c0c
	s_mov_b32 s1, 0xc0338dcf
	v_fma_f64 v[21:22], v[23:24], v[21:22], s[0:1]
	s_mov_b32 s0, 0x5a6de8c4
	s_mov_b32 s1, 0xc0574d2f
	;; [unrolled: 3-line block ×12, first 2 shown]
	v_fma_f64 v[29:30], v[23:24], v[29:30], s[0:1]
	v_fma_f64 v[23:24], v[23:24], v[25:26], 1.0
	v_div_scale_f64 v[25:26], s[0:1], v[27:28], v[27:28], v[23:24]
	s_mov_b32 s0, 0x9037ab78
	s_mov_b32 s1, 0x3e21eeb6
	v_rcp_f64_e32 v[31:32], v[25:26]
	v_fma_f64 v[33:34], -v[25:26], v[31:32], 1.0
	v_fma_f64 v[31:32], v[31:32], v[33:34], v[31:32]
	v_fma_f64 v[33:34], -v[25:26], v[31:32], 1.0
	v_fma_f64 v[31:32], v[31:32], v[33:34], v[31:32]
	v_div_scale_f64 v[33:34], vcc, v[23:24], v[27:28], v[23:24]
	v_mul_f64 v[35:36], v[33:34], v[31:32]
	v_fma_f64 v[25:26], -v[25:26], v[35:36], v[33:34]
	s_nop 1
	v_div_fmas_f64 v[25:26], v[25:26], v[31:32], v[35:36]
	v_mul_f64 v[31:32], v[17:18], v[17:18]
	v_mul_f64 v[35:36], v[31:32], v[31:32]
	v_div_fixup_f64 v[23:24], v[25:26], v[27:28], v[23:24]
	v_mul_f64 v[25:26], v[31:32], 0.5
	v_add_f64 v[27:28], -v[25:26], 1.0
	v_add_f64 v[33:34], -v[27:28], 1.0
	v_add_f64 v[33:34], v[33:34], -v[25:26]
	v_mov_b32_e32 v26, s1
	v_mov_b32_e32 v25, s0
	v_fma_f64 v[37:38], v[31:32], s[8:9], v[25:26]
	s_mov_b32 s0, 0xb42fdfa7
	s_mov_b32 s1, 0xbe5ae600
	v_fma_f64 v[33:34], v[17:18], -v[19:20], v[33:34]
	v_fma_f64 v[37:38], v[31:32], v[37:38], s[10:11]
	v_fma_f64 v[37:38], v[31:32], v[37:38], s[12:13]
	;; [unrolled: 1-line block ×5, first 2 shown]
	v_mul_f64 v[37:38], v[17:18], -v[31:32]
	v_add_f64 v[33:34], v[27:28], v[33:34]
	v_mov_b32_e32 v28, s1
	v_mov_b32_e32 v27, s0
	v_fma_f64 v[35:36], v[31:32], s[18:19], v[27:28]
	s_movk_i32 s0, 0x1f8
	v_cmp_class_f64_e64 s[0:1], v[6:7], s0
	v_mov_b32_e32 v6, 0x7ff80000
	v_fma_f64 v[35:36], v[31:32], v[35:36], s[20:21]
	v_fma_f64 v[35:36], v[31:32], v[35:36], s[22:23]
	;; [unrolled: 1-line block ×4, first 2 shown]
	v_fma_f64 v[19:20], v[31:32], v[35:36], -v[19:20]
	v_fma_f64 v[19:20], v[37:38], s[26:27], v[19:20]
	v_add_f64 v[17:18], v[17:18], -v[19:20]
	v_and_b32_e32 v19, 1, v9
	v_cmp_eq_u32_e32 vcc, 0, v19
	v_div_scale_f64 v[19:20], s[30:31], v[11:12], v[11:12], s[28:29]
	v_lshlrev_b32_e32 v9, 30, v9
	v_and_b32_e32 v9, 0x80000000, v9
	v_xor_b32_e32 v18, 0x80000000, v18
	v_cndmask_b32_e32 v17, v17, v33, vcc
	v_cndmask_b32_e32 v18, v18, v34, vcc
	v_xor_b32_e32 v9, v18, v9
	v_cndmask_b32_e64 v18, v6, v9, s[0:1]
	v_and_b32_e32 v9, 1, v4
	v_lshlrev_b32_e32 v4, 30, v4
	v_xor_b32_e32 v4, v4, v7
	v_and_b32_e32 v4, 0x80000000, v4
	v_cndmask_b32_e64 v17, 0, v17, s[0:1]
	v_rcp_f64_e32 v[31:32], v[19:20]
	v_fma_f64 v[33:34], -v[19:20], v[31:32], 1.0
	v_fma_f64 v[31:32], v[31:32], v[33:34], v[31:32]
	v_fma_f64 v[33:34], -v[19:20], v[31:32], 1.0
	v_fma_f64 v[31:32], v[31:32], v[33:34], v[31:32]
	v_div_scale_f64 v[33:34], vcc, s[28:29], v[11:12], s[28:29]
	v_mul_f64 v[35:36], v[33:34], v[31:32]
	v_fma_f64 v[19:20], -v[19:20], v[35:36], v[33:34]
	s_nop 1
	v_div_fmas_f64 v[19:20], v[19:20], v[31:32], v[35:36]
	v_div_fixup_f64 v[19:20], v[19:20], v[11:12], s[28:29]
	v_div_scale_f64 v[31:32], s[28:29], v[29:30], v[29:30], v[21:22]
	v_rcp_f64_e32 v[33:34], v[31:32]
	v_fma_f64 v[35:36], -v[31:32], v[33:34], 1.0
	v_fma_f64 v[33:34], v[33:34], v[35:36], v[33:34]
	v_fma_f64 v[35:36], -v[31:32], v[33:34], 1.0
	v_fma_f64 v[33:34], v[33:34], v[35:36], v[33:34]
	v_div_scale_f64 v[35:36], vcc, v[21:22], v[29:30], v[21:22]
	v_mul_f64 v[37:38], v[35:36], v[33:34]
	v_fma_f64 v[31:32], -v[31:32], v[37:38], v[35:36]
	s_nop 1
	v_div_fmas_f64 v[31:32], v[31:32], v[33:34], v[37:38]
	v_cmp_eq_u32_e32 vcc, 0, v9
	v_div_fixup_f64 v[21:22], v[31:32], v[29:30], v[21:22]
	v_mul_f64 v[19:20], v[19:20], v[21:22]
	v_mul_f64 v[21:22], v[13:14], v[13:14]
	v_mul_f64 v[29:30], v[21:22], 0.5
	v_fma_f64 v[25:26], v[21:22], s[8:9], v[25:26]
	v_fma_f64 v[27:28], v[21:22], s[18:19], v[27:28]
	v_add_f64 v[31:32], -v[29:30], 1.0
	v_fma_f64 v[25:26], v[21:22], v[25:26], s[10:11]
	v_fma_f64 v[27:28], v[21:22], v[27:28], s[20:21]
	v_add_f64 v[33:34], -v[31:32], 1.0
	v_fma_f64 v[25:26], v[21:22], v[25:26], s[12:13]
	v_fma_f64 v[27:28], v[21:22], v[27:28], s[22:23]
	v_add_f64 v[29:30], v[33:34], -v[29:30]
	v_fma_f64 v[25:26], v[21:22], v[25:26], s[14:15]
	v_mul_f64 v[33:34], v[21:22], v[21:22]
	v_fma_f64 v[27:28], v[21:22], v[27:28], s[24:25]
	v_fma_f64 v[29:30], v[13:14], -v[15:16], v[29:30]
	v_fma_f64 v[25:26], v[21:22], v[25:26], s[16:17]
	v_fma_f64 v[25:26], v[33:34], v[25:26], v[29:30]
	v_mul_f64 v[29:30], v[13:14], -v[21:22]
	v_add_f64 v[25:26], v[31:32], v[25:26]
	v_mul_f64 v[31:32], v[15:16], 0.5
	v_fma_f64 v[27:28], v[29:30], v[27:28], v[31:32]
	v_fma_f64 v[15:16], v[21:22], v[27:28], -v[15:16]
	v_fma_f64 v[15:16], v[29:30], s[26:27], v[15:16]
	v_add_f64 v[13:14], v[13:14], -v[15:16]
	v_cndmask_b32_e32 v9, v25, v13, vcc
	v_cndmask_b32_e32 v13, v26, v14, vcc
	v_xor_b32_e32 v4, v13, v4
	v_cndmask_b32_e64 v13, 0, v9, s[0:1]
	v_cndmask_b32_e64 v14, v6, v4, s[0:1]
	v_mul_f64 v[6:7], v[19:20], v[13:14]
	s_mov_b32 s0, 0x33d43651
	s_mov_b32 s1, 0x3fe98845
	v_mov_b32_e32 v4, 0x100
	v_fma_f64 v[6:7], v[23:24], v[17:18], v[6:7]
	v_mul_f64 v[6:7], v[6:7], s[0:1]
	s_mov_b32 s0, 0
	s_brev_b32 s1, 8
	v_cmp_gt_f64_e32 vcc, s[0:1], v[11:12]
	v_cndmask_b32_e32 v4, 0, v4, vcc
	v_ldexp_f64 v[11:12], v[11:12], v4
	v_mov_b32_e32 v4, 0xffffff80
	v_cndmask_b32_e32 v4, 0, v4, vcc
	v_rsq_f64_e32 v[13:14], v[11:12]
	v_mul_f64 v[15:16], v[11:12], v[13:14]
	v_mul_f64 v[13:14], v[13:14], 0.5
	v_fma_f64 v[17:18], -v[13:14], v[15:16], 0.5
	v_fma_f64 v[15:16], v[15:16], v[17:18], v[15:16]
	v_fma_f64 v[13:14], v[13:14], v[17:18], v[13:14]
	v_fma_f64 v[19:20], -v[15:16], v[15:16], v[11:12]
	v_fma_f64 v[15:16], v[19:20], v[13:14], v[15:16]
	v_fma_f64 v[17:18], -v[15:16], v[15:16], v[11:12]
	v_fma_f64 v[13:14], v[17:18], v[13:14], v[15:16]
	v_ldexp_f64 v[13:14], v[13:14], v4
	v_mov_b32_e32 v4, 0x260
	v_cmp_class_f64_e32 vcc, v[11:12], v4
	v_cndmask_b32_e32 v12, v14, v12, vcc
	v_cndmask_b32_e32 v11, v13, v11, vcc
	v_div_scale_f64 v[13:14], s[0:1], v[11:12], v[11:12], v[6:7]
	v_rcp_f64_e32 v[15:16], v[13:14]
	v_fma_f64 v[17:18], -v[13:14], v[15:16], 1.0
	v_fma_f64 v[15:16], v[15:16], v[17:18], v[15:16]
	v_fma_f64 v[17:18], -v[13:14], v[15:16], 1.0
	v_fma_f64 v[15:16], v[15:16], v[17:18], v[15:16]
	v_div_scale_f64 v[17:18], vcc, v[6:7], v[11:12], v[6:7]
	v_mul_f64 v[19:20], v[17:18], v[15:16]
	v_fma_f64 v[13:14], -v[13:14], v[19:20], v[17:18]
	s_nop 1
	v_div_fmas_f64 v[13:14], v[13:14], v[15:16], v[19:20]
	v_div_fixup_f64 v[6:7], v[13:14], v[11:12], v[6:7]
.LBB7_88:
	s_or_b64 exec, exec, s[2:3]
	global_load_dwordx2 v[11:12], v10, s[6:7]
	s_mov_b32 s0, 0
	s_mov_b32 s1, 0x40140000
                                        ; implicit-def: $vgpr9_vgpr10
	s_waitcnt vmcnt(0)
	v_cmp_gt_f64_e32 vcc, 0, v[11:12]
	v_xor_b32_e32 v4, 0x80000000, v12
	v_cndmask_b32_e32 v12, v12, v4, vcc
	v_cmp_ge_f64_e32 vcc, s[0:1], v[11:12]
	s_and_saveexec_b64 s[0:1], vcc
	s_xor_b64 s[0:1], exec, s[0:1]
	s_cbranch_execz .LBB7_94
; %bb.89:
	s_mov_b32 s2, 0x88e368f1
	s_mov_b32 s3, 0x3ee4f8b5
	v_cmp_ngt_f64_e32 vcc, s[2:3], v[11:12]
	v_mul_f64 v[11:12], v[11:12], v[11:12]
                                        ; implicit-def: $vgpr9_vgpr10
	s_and_saveexec_b64 s[2:3], vcc
	s_xor_b64 s[2:3], exec, s[2:3]
	s_cbranch_execz .LBB7_91
; %bb.90:
	v_mov_b32_e32 v9, 0xa696b78c
	v_mov_b32_e32 v10, 0x407f3902
	v_fma_f64 v[9:10], v[11:12], 0, v[9:10]
	s_mov_b32 s8, 0x36a21a67
	s_mov_b32 s9, 0x410536cb
	;; [unrolled: 1-line block ×3, first 2 shown]
	v_mov_b32_e32 v13, 0xad1c8325
	v_mov_b32_e32 v14, 0xc1f1dc53
	s_mov_b32 s11, 0x4204d5b0
	v_fma_f64 v[13:14], v[11:12], 0, v[13:14]
	v_fma_f64 v[9:10], v[11:12], v[9:10], s[8:9]
	s_mov_b32 s8, 0x2eac0634
	s_mov_b32 s9, 0x41871934
	s_mov_b32 s12, 0x72182e46
	s_mov_b32 s13, 0x427ebeb3
	s_mov_b32 s14, 0x8c9748e9
	s_mov_b32 s15, 0x42f1a6a2
	v_fma_f64 v[9:10], v[11:12], v[9:10], s[8:9]
	s_mov_b32 s8, 0xc772990d
	s_mov_b32 s9, 0x427c7751
	v_fma_f64 v[13:14], v[11:12], v[13:14], s[8:9]
	s_mov_b32 s8, 0x80462bbb
	s_mov_b32 s9, 0xc01721fb
	v_add_f64 v[15:16], v[11:12], s[8:9]
	s_mov_b32 s8, 0x7e7b2e9c
	v_fma_f64 v[9:10], v[11:12], v[9:10], s[10:11]
	s_mov_b32 s10, 0xe0d900f7
	s_mov_b32 s11, 0xc2ec5614
	v_fma_f64 v[13:14], v[11:12], v[13:14], s[10:11]
	s_mov_b32 s10, 0x69ff5fb4
	s_mov_b32 s9, 0x435c4141
	;; [unrolled: 1-line block ×3, first 2 shown]
	v_fma_f64 v[9:10], v[11:12], v[9:10], s[12:13]
	s_mov_b32 s12, 0xa621dd6f
	s_mov_b32 s13, 0xc03e78a4
	v_add_f64 v[17:18], v[11:12], s[12:13]
	v_fma_f64 v[13:14], v[11:12], v[13:14], s[10:11]
	v_fma_f64 v[9:10], v[11:12], v[9:10], s[14:15]
	v_mul_f64 v[15:16], v[15:16], v[17:18]
	v_fma_f64 v[9:10], v[11:12], v[9:10], s[8:9]
	s_mov_b32 s8, 0xc7b662cc
	s_mov_b32 s9, 0x43b7be34
	v_mul_f64 v[13:14], v[15:16], v[13:14]
	v_fma_f64 v[9:10], v[11:12], v[9:10], s[8:9]
	v_div_scale_f64 v[11:12], s[8:9], v[9:10], v[9:10], v[13:14]
	v_div_scale_f64 v[19:20], vcc, v[13:14], v[9:10], v[13:14]
	v_rcp_f64_e32 v[15:16], v[11:12]
	v_fma_f64 v[17:18], -v[11:12], v[15:16], 1.0
	v_fma_f64 v[15:16], v[15:16], v[17:18], v[15:16]
	v_fma_f64 v[17:18], -v[11:12], v[15:16], 1.0
	v_fma_f64 v[15:16], v[15:16], v[17:18], v[15:16]
	v_mul_f64 v[17:18], v[19:20], v[15:16]
	v_fma_f64 v[11:12], -v[11:12], v[17:18], v[19:20]
	v_div_fmas_f64 v[11:12], v[11:12], v[15:16], v[17:18]
	v_div_fixup_f64 v[9:10], v[11:12], v[9:10], v[13:14]
                                        ; implicit-def: $vgpr11_vgpr12
.LBB7_91:
	s_andn2_saveexec_b64 s[2:3], s[2:3]
	s_cbranch_execz .LBB7_93
; %bb.92:
	s_mov_b32 s8, 0
	s_mov_b32 s9, 0xbfd00000
	v_fma_f64 v[9:10], v[11:12], s[8:9], 1.0
.LBB7_93:
	s_or_b64 exec, exec, s[2:3]
                                        ; implicit-def: $vgpr11_vgpr12
.LBB7_94:
	s_andn2_saveexec_b64 s[2:3], s[0:1]
	s_cbranch_execz .LBB7_104
; %bb.95:
	s_mov_b32 s11, 0xbfe921fb
	s_mov_b32 s10, 0x54442d18
	v_add_f64 v[9:10], v[11:12], s[10:11]
	s_mov_b32 s0, 0
	s_mov_b32 s1, 0x41d00000
                                        ; implicit-def: $vgpr31
                                        ; implicit-def: $vgpr17_vgpr18
                                        ; implicit-def: $vgpr19_vgpr20
	v_trig_preop_f64 v[25:26], |v[9:10]|, 0
	v_trig_preop_f64 v[23:24], |v[9:10]|, 1
	;; [unrolled: 1-line block ×3, first 2 shown]
	v_cmp_nlt_f64_e64 s[8:9], |v[9:10]|, s[0:1]
	s_and_saveexec_b64 s[0:1], s[8:9]
	s_xor_b64 s[12:13], exec, s[0:1]
	s_cbranch_execz .LBB7_97
; %bb.96:
	s_mov_b32 s0, 0
	s_mov_b32 s1, 0x7b000000
	s_movk_i32 s11, 0xff80
	v_ldexp_f64 v[13:14], |v[9:10]|, s11
	v_cmp_ge_f64_e64 vcc, |v[9:10]|, s[0:1]
	v_and_b32_e32 v4, 0x7fffffff, v10
	s_mov_b32 s0, 0
	s_mov_b32 s1, 0x7ff00000
	v_mov_b32_e32 v39, 0
	s_mov_b32 s11, 0x3ff921fb
	v_cndmask_b32_e32 v14, v4, v14, vcc
	v_cndmask_b32_e32 v13, v9, v13, vcc
	v_mul_f64 v[15:16], v[25:26], v[13:14]
	v_mul_f64 v[17:18], v[23:24], v[13:14]
	;; [unrolled: 1-line block ×3, first 2 shown]
	v_mov_b32_e32 v4, 0x40100000
	v_fma_f64 v[19:20], v[25:26], v[13:14], -v[15:16]
	v_fma_f64 v[35:36], v[23:24], v[13:14], -v[17:18]
	v_fma_f64 v[13:14], v[21:22], v[13:14], -v[33:34]
	v_add_f64 v[27:28], v[17:18], v[19:20]
	v_add_f64 v[29:30], v[27:28], -v[17:18]
	v_add_f64 v[37:38], v[15:16], v[27:28]
	v_add_f64 v[31:32], v[27:28], -v[29:30]
	v_add_f64 v[19:20], v[19:20], -v[29:30]
	v_add_f64 v[29:30], v[33:34], v[35:36]
	v_add_f64 v[15:16], v[37:38], -v[15:16]
	v_add_f64 v[17:18], v[17:18], -v[31:32]
	v_ldexp_f64 v[31:32], v[37:38], -2
	v_add_f64 v[41:42], v[29:30], -v[33:34]
	v_add_f64 v[15:16], v[27:28], -v[15:16]
	v_add_f64 v[17:18], v[19:20], v[17:18]
	v_fract_f64_e32 v[19:20], v[31:32]
	v_cmp_neq_f64_e64 vcc, |v[31:32]|, s[0:1]
	v_add_f64 v[35:36], v[35:36], -v[41:42]
	v_add_f64 v[27:28], v[29:30], v[17:18]
	v_ldexp_f64 v[19:20], v[19:20], 2
	v_add_f64 v[31:32], v[15:16], v[27:28]
	v_cndmask_b32_e32 v20, 0, v20, vcc
	v_cndmask_b32_e32 v19, 0, v19, vcc
	v_add_f64 v[43:44], v[27:28], -v[29:30]
	v_add_f64 v[37:38], v[31:32], v[19:20]
	v_add_f64 v[15:16], v[31:32], -v[15:16]
	v_add_f64 v[45:46], v[27:28], -v[43:44]
	;; [unrolled: 1-line block ×3, first 2 shown]
	v_cmp_gt_f64_e32 vcc, 0, v[37:38]
	v_add_f64 v[37:38], v[29:30], -v[41:42]
	v_add_f64 v[15:16], v[27:28], -v[15:16]
	;; [unrolled: 1-line block ×3, first 2 shown]
	v_cndmask_b32_e32 v40, 0, v4, vcc
	v_add_f64 v[19:20], v[19:20], v[39:40]
	v_add_f64 v[37:38], v[33:34], -v[37:38]
	v_add_f64 v[17:18], v[17:18], v[29:30]
	v_add_f64 v[47:48], v[31:32], v[19:20]
	;; [unrolled: 1-line block ×3, first 2 shown]
	v_cvt_i32_f64_e32 v4, v[47:48]
	v_add_f64 v[17:18], v[35:36], v[17:18]
	v_cvt_f64_i32_e32 v[40:41], v4
	v_add_f64 v[19:20], v[19:20], -v[40:41]
	v_add_f64 v[13:14], v[13:14], v[17:18]
	v_add_f64 v[29:30], v[31:32], v[19:20]
	;; [unrolled: 1-line block ×3, first 2 shown]
	v_add_f64 v[17:18], v[29:30], -v[19:20]
	v_cmp_le_f64_e32 vcc, 0.5, v[29:30]
	v_add_f64 v[15:16], v[31:32], -v[17:18]
	v_mov_b32_e32 v17, 0x3ff00000
	v_cndmask_b32_e32 v40, 0, v17, vcc
	v_addc_co_u32_e64 v31, s[0:1], 0, v4, vcc
	s_mov_b32 s0, 0x33145c07
	s_mov_b32 s1, 0x3c91a626
	v_add_f64 v[13:14], v[13:14], v[15:16]
	v_add_f64 v[15:16], v[29:30], -v[39:40]
	v_add_f64 v[17:18], v[15:16], v[13:14]
	v_mul_f64 v[19:20], v[17:18], s[10:11]
	v_add_f64 v[15:16], v[17:18], -v[15:16]
	v_fma_f64 v[27:28], v[17:18], s[10:11], -v[19:20]
	v_add_f64 v[13:14], v[13:14], -v[15:16]
	v_fma_f64 v[15:16], v[17:18], s[0:1], v[27:28]
	v_fma_f64 v[13:14], v[13:14], s[10:11], v[15:16]
	v_add_f64 v[17:18], v[19:20], v[13:14]
	v_add_f64 v[15:16], v[17:18], -v[19:20]
	v_add_f64 v[19:20], v[13:14], -v[15:16]
	s_andn2_saveexec_b64 s[0:1], s[12:13]
	s_cbranch_execz .LBB7_99
	s_branch .LBB7_98
.LBB7_97:
	s_andn2_saveexec_b64 s[0:1], s[12:13]
	s_cbranch_execz .LBB7_99
.LBB7_98:
	s_mov_b32 s10, 0x6dc9c883
	s_mov_b32 s11, 0x3fe45f30
	v_mul_f64 v[13:14], |v[9:10]|, s[10:11]
	s_mov_b32 s10, 0x54442d18
	s_mov_b32 s11, 0xbff921fb
	s_mov_b32 s13, 0xbc91a626
	s_mov_b32 s12, 0x33145c00
	v_rndne_f64_e32 v[13:14], v[13:14]
	v_fma_f64 v[15:16], v[13:14], s[10:11], |v[9:10]|
	v_mul_f64 v[17:18], v[13:14], s[12:13]
	s_mov_b32 s10, 0x252049c0
	s_mov_b32 s11, 0xb97b839a
	v_cvt_i32_f64_e32 v31, v[13:14]
	v_add_f64 v[19:20], v[15:16], v[17:18]
	v_add_f64 v[27:28], v[15:16], -v[19:20]
	v_fma_f64 v[15:16], v[13:14], s[12:13], v[15:16]
	s_mov_b32 s13, 0x3c91a626
	v_add_f64 v[27:28], v[27:28], v[17:18]
	v_add_f64 v[19:20], v[19:20], -v[15:16]
	v_fma_f64 v[17:18], v[13:14], s[12:13], v[17:18]
	v_add_f64 v[19:20], v[19:20], v[27:28]
	v_add_f64 v[17:18], v[19:20], -v[17:18]
	v_fma_f64 v[19:20], v[13:14], s[10:11], v[17:18]
	v_add_f64 v[17:18], v[15:16], v[19:20]
	v_add_f64 v[15:16], v[17:18], -v[15:16]
	v_add_f64 v[19:20], v[19:20], -v[15:16]
.LBB7_99:
	s_or_b64 exec, exec, s[0:1]
                                        ; implicit-def: $vgpr4
                                        ; implicit-def: $vgpr13_vgpr14
                                        ; implicit-def: $vgpr15_vgpr16
	s_and_saveexec_b64 s[0:1], s[8:9]
	s_xor_b64 s[8:9], exec, s[0:1]
	s_cbranch_execz .LBB7_101
; %bb.100:
	s_mov_b32 s0, 0
	s_mov_b32 s1, 0x7b000000
	s_movk_i32 s10, 0xff80
	v_ldexp_f64 v[13:14], |v[9:10]|, s10
	v_cmp_ge_f64_e64 vcc, |v[9:10]|, s[0:1]
	v_and_b32_e32 v4, 0x7fffffff, v10
	s_mov_b32 s0, 0
	s_mov_b32 s1, 0x7ff00000
	v_mov_b32_e32 v40, 0
	s_mov_b32 s10, 0x33145c07
	s_mov_b32 s11, 0x3c91a626
	v_cndmask_b32_e32 v14, v4, v14, vcc
	v_cndmask_b32_e32 v13, v9, v13, vcc
	v_mul_f64 v[15:16], v[25:26], v[13:14]
	v_mul_f64 v[27:28], v[23:24], v[13:14]
	;; [unrolled: 1-line block ×3, first 2 shown]
	v_mov_b32_e32 v4, 0x40100000
	v_fma_f64 v[25:26], v[25:26], v[13:14], -v[15:16]
	v_fma_f64 v[23:24], v[23:24], v[13:14], -v[27:28]
	;; [unrolled: 1-line block ×3, first 2 shown]
	v_add_f64 v[29:30], v[27:28], v[25:26]
	v_add_f64 v[32:33], v[29:30], -v[27:28]
	v_add_f64 v[38:39], v[15:16], v[29:30]
	v_add_f64 v[34:35], v[29:30], -v[32:33]
	v_add_f64 v[25:26], v[25:26], -v[32:33]
	v_add_f64 v[32:33], v[36:37], v[23:24]
	v_add_f64 v[15:16], v[38:39], -v[15:16]
	v_add_f64 v[27:28], v[27:28], -v[34:35]
	v_ldexp_f64 v[34:35], v[38:39], -2
	v_add_f64 v[42:43], v[32:33], -v[36:37]
	v_add_f64 v[15:16], v[29:30], -v[15:16]
	v_add_f64 v[25:26], v[25:26], v[27:28]
	v_fract_f64_e32 v[27:28], v[34:35]
	v_cmp_neq_f64_e64 vcc, |v[34:35]|, s[0:1]
	v_add_f64 v[23:24], v[23:24], -v[42:43]
	v_add_f64 v[29:30], v[32:33], v[25:26]
	v_ldexp_f64 v[27:28], v[27:28], 2
	v_add_f64 v[34:35], v[15:16], v[29:30]
	v_cndmask_b32_e32 v28, 0, v28, vcc
	v_cndmask_b32_e32 v27, 0, v27, vcc
	v_add_f64 v[44:45], v[29:30], -v[32:33]
	v_add_f64 v[38:39], v[34:35], v[27:28]
	v_add_f64 v[15:16], v[34:35], -v[15:16]
	v_add_f64 v[46:47], v[29:30], -v[44:45]
	;; [unrolled: 1-line block ×3, first 2 shown]
	v_cmp_gt_f64_e32 vcc, 0, v[38:39]
	v_add_f64 v[38:39], v[32:33], -v[42:43]
	v_add_f64 v[15:16], v[29:30], -v[15:16]
	;; [unrolled: 1-line block ×3, first 2 shown]
	v_cndmask_b32_e32 v41, 0, v4, vcc
	v_add_f64 v[27:28], v[27:28], v[40:41]
	v_add_f64 v[38:39], v[36:37], -v[38:39]
	v_add_f64 v[25:26], v[25:26], v[32:33]
	v_add_f64 v[48:49], v[34:35], v[27:28]
	;; [unrolled: 1-line block ×3, first 2 shown]
	v_cvt_i32_f64_e32 v4, v[48:49]
	v_add_f64 v[21:22], v[23:24], v[25:26]
	v_cvt_f64_i32_e32 v[41:42], v4
	v_add_f64 v[27:28], v[27:28], -v[41:42]
	v_add_f64 v[13:14], v[13:14], v[21:22]
	v_add_f64 v[23:24], v[34:35], v[27:28]
	;; [unrolled: 1-line block ×3, first 2 shown]
	v_add_f64 v[21:22], v[23:24], -v[27:28]
	v_cmp_le_f64_e32 vcc, 0.5, v[23:24]
	v_add_f64 v[15:16], v[34:35], -v[21:22]
	v_mov_b32_e32 v21, 0x3ff00000
	v_cndmask_b32_e32 v41, 0, v21, vcc
	v_addc_co_u32_e64 v4, s[0:1], 0, v4, vcc
	s_mov_b32 s0, 0x54442d18
	s_mov_b32 s1, 0x3ff921fb
	v_add_f64 v[13:14], v[13:14], v[15:16]
	v_add_f64 v[15:16], v[23:24], -v[40:41]
	v_add_f64 v[21:22], v[15:16], v[13:14]
	v_mul_f64 v[23:24], v[21:22], s[0:1]
	v_add_f64 v[15:16], v[21:22], -v[15:16]
	v_fma_f64 v[25:26], v[21:22], s[0:1], -v[23:24]
	v_add_f64 v[13:14], v[13:14], -v[15:16]
	v_fma_f64 v[15:16], v[21:22], s[10:11], v[25:26]
	v_fma_f64 v[15:16], v[13:14], s[0:1], v[15:16]
	v_add_f64 v[13:14], v[23:24], v[15:16]
	v_add_f64 v[21:22], v[13:14], -v[23:24]
	v_add_f64 v[15:16], v[15:16], -v[21:22]
	s_andn2_saveexec_b64 s[0:1], s[8:9]
	s_cbranch_execnz .LBB7_102
	s_branch .LBB7_103
.LBB7_101:
	s_andn2_saveexec_b64 s[0:1], s[8:9]
	s_cbranch_execz .LBB7_103
.LBB7_102:
	s_mov_b32 s8, 0x6dc9c883
	s_mov_b32 s9, 0x3fe45f30
	v_mul_f64 v[13:14], |v[9:10]|, s[8:9]
	s_mov_b32 s8, 0x54442d18
	s_mov_b32 s9, 0xbff921fb
	;; [unrolled: 1-line block ×4, first 2 shown]
	v_rndne_f64_e32 v[21:22], v[13:14]
	v_fma_f64 v[13:14], v[21:22], s[8:9], |v[9:10]|
	v_mul_f64 v[15:16], v[21:22], s[10:11]
	s_mov_b32 s8, 0x252049c0
	s_mov_b32 s9, 0xb97b839a
	v_cvt_i32_f64_e32 v4, v[21:22]
	v_fma_f64 v[27:28], v[21:22], s[10:11], v[13:14]
	v_add_f64 v[23:24], v[13:14], v[15:16]
	s_mov_b32 s11, 0x3c91a626
	v_add_f64 v[25:26], v[13:14], -v[23:24]
	v_add_f64 v[23:24], v[23:24], -v[27:28]
	v_add_f64 v[13:14], v[25:26], v[15:16]
	v_fma_f64 v[15:16], v[21:22], s[10:11], v[15:16]
	v_add_f64 v[13:14], v[23:24], v[13:14]
	v_add_f64 v[13:14], v[13:14], -v[15:16]
	v_fma_f64 v[15:16], v[21:22], s[8:9], v[13:14]
	v_add_f64 v[13:14], v[27:28], v[15:16]
	v_add_f64 v[23:24], v[13:14], -v[27:28]
	v_add_f64 v[15:16], v[15:16], -v[23:24]
.LBB7_103:
	s_or_b64 exec, exec, s[0:1]
	v_mul_f64 v[21:22], v[11:12], v[11:12]
	s_mov_b32 s0, 0
	s_mov_b32 s1, 0x40390000
	;; [unrolled: 1-line block ×7, first 2 shown]
	v_div_scale_f64 v[23:24], s[8:9], v[21:22], v[21:22], s[0:1]
	s_mov_b32 s8, 0x46cc5e42
	s_mov_b32 s9, 0xbda907db
	s_mov_b32 s15, 0xbf56c16c
	s_mov_b32 s16, 0x55555555
	s_mov_b32 s17, 0x3fa55555
	s_mov_b32 s18, 0xf9a43bb8
	s_mov_b32 s19, 0x3de5e0b2
	s_mov_b32 s20, 0x796cde01
	s_mov_b32 s21, 0x3ec71de3
	s_mov_b32 s22, 0x19e83e5c
	s_mov_b32 s23, 0xbf2a01a0
	s_mov_b32 s24, 0x11110bb3
	s_mov_b32 s25, 0x3f811111
	v_mul_f64 v[40:41], v[19:20], 0.5
	v_rcp_f64_e32 v[25:26], v[23:24]
	s_mov_b32 s27, 0xbfc55555
	s_mov_b32 s26, s16
	;; [unrolled: 1-line block ×4, first 2 shown]
	v_fma_f64 v[27:28], -v[23:24], v[25:26], 1.0
	v_fma_f64 v[25:26], v[25:26], v[27:28], v[25:26]
	v_fma_f64 v[27:28], -v[23:24], v[25:26], 1.0
	v_fma_f64 v[25:26], v[25:26], v[27:28], v[25:26]
	v_div_scale_f64 v[27:28], vcc, s[0:1], v[21:22], s[0:1]
	v_mul_f64 v[29:30], v[27:28], v[25:26]
	v_fma_f64 v[23:24], -v[23:24], v[29:30], v[27:28]
	s_nop 1
	v_div_fmas_f64 v[23:24], v[23:24], v[25:26], v[29:30]
	v_mov_b32_e32 v29, 0x413c25ac
	v_mov_b32_e32 v30, 0x40501457
	v_div_fixup_f64 v[23:24], v[23:24], v[21:22], s[0:1]
	v_mov_b32_e32 v21, 0x983b6b27
	v_mov_b32_e32 v22, 0x3f4a1d30
	s_mov_b32 s0, 0xb35dd1cf
	s_mov_b32 s1, 0x3fb534b0
	v_fma_f64 v[21:22], v[23:24], 0, v[21:22]
	v_fma_f64 v[29:30], v[23:24], 0, v[29:30]
	;; [unrolled: 1-line block ×3, first 2 shown]
	s_mov_b32 s0, 0x4e680b98
	s_mov_b32 s1, 0x3ff3d521
	v_fma_f64 v[21:22], v[23:24], v[21:22], s[0:1]
	s_mov_b32 s0, 0xe97a0956
	s_mov_b32 s1, 0x4015c9fb
	v_fma_f64 v[21:22], v[23:24], v[21:22], s[0:1]
	;; [unrolled: 3-line block ×4, first 2 shown]
	v_mov_b32_e32 v21, 0xce039737
	v_mov_b32_e32 v22, 0x3f4e4a80
	v_fma_f64 v[21:22], v[23:24], 0, v[21:22]
	s_mov_b32 s0, 0xab5454e3
	s_mov_b32 s1, 0x3fb5ebc5
	v_fma_f64 v[21:22], v[23:24], v[21:22], s[0:1]
	s_mov_b32 s0, 0xc9b3069f
	s_mov_b32 s1, 0x3ff40e72
	;; [unrolled: 3-line block ×6, first 2 shown]
	v_fma_f64 v[27:28], v[23:24], v[21:22], 1.0
	v_mov_b32_e32 v21, 0x38a5384a
	v_mov_b32_e32 v22, 0xbf874742
	v_fma_f64 v[21:22], v[23:24], 0, v[21:22]
	v_fma_f64 v[21:22], v[23:24], v[21:22], s[0:1]
	s_mov_b32 s0, 0xf50e2c0c
	s_mov_b32 s1, 0xc0338dcf
	v_fma_f64 v[21:22], v[23:24], v[21:22], s[0:1]
	s_mov_b32 s0, 0x5a6de8c4
	s_mov_b32 s1, 0xc0574d2f
	;; [unrolled: 3-line block ×12, first 2 shown]
	v_fma_f64 v[29:30], v[23:24], v[29:30], s[0:1]
	v_fma_f64 v[23:24], v[23:24], v[25:26], 1.0
	v_div_scale_f64 v[25:26], s[0:1], v[27:28], v[27:28], v[23:24]
	s_mov_b32 s0, 0x9037ab78
	s_mov_b32 s1, 0x3e21eeb6
	v_rcp_f64_e32 v[32:33], v[25:26]
	v_fma_f64 v[34:35], -v[25:26], v[32:33], 1.0
	v_fma_f64 v[32:33], v[32:33], v[34:35], v[32:33]
	v_fma_f64 v[34:35], -v[25:26], v[32:33], 1.0
	v_fma_f64 v[32:33], v[32:33], v[34:35], v[32:33]
	v_div_scale_f64 v[34:35], vcc, v[23:24], v[27:28], v[23:24]
	v_mul_f64 v[36:37], v[34:35], v[32:33]
	v_fma_f64 v[25:26], -v[25:26], v[36:37], v[34:35]
	s_nop 1
	v_div_fmas_f64 v[25:26], v[25:26], v[32:33], v[36:37]
	v_mul_f64 v[32:33], v[17:18], v[17:18]
	v_mul_f64 v[36:37], v[32:33], v[32:33]
	v_div_fixup_f64 v[23:24], v[25:26], v[27:28], v[23:24]
	v_mul_f64 v[25:26], v[32:33], 0.5
	v_add_f64 v[27:28], -v[25:26], 1.0
	v_add_f64 v[34:35], -v[27:28], 1.0
	v_add_f64 v[34:35], v[34:35], -v[25:26]
	v_mov_b32_e32 v26, s1
	v_mov_b32_e32 v25, s0
	v_fma_f64 v[38:39], v[32:33], s[8:9], v[25:26]
	s_mov_b32 s0, 0xb42fdfa7
	s_mov_b32 s1, 0xbe5ae600
	v_fma_f64 v[34:35], v[17:18], -v[19:20], v[34:35]
	v_fma_f64 v[38:39], v[32:33], v[38:39], s[10:11]
	v_fma_f64 v[38:39], v[32:33], v[38:39], s[12:13]
	v_fma_f64 v[38:39], v[32:33], v[38:39], s[14:15]
	v_fma_f64 v[38:39], v[32:33], v[38:39], s[16:17]
	v_fma_f64 v[34:35], v[36:37], v[38:39], v[34:35]
	v_mul_f64 v[38:39], v[17:18], -v[32:33]
	v_add_f64 v[34:35], v[27:28], v[34:35]
	v_mov_b32_e32 v28, s1
	v_mov_b32_e32 v27, s0
	v_fma_f64 v[36:37], v[32:33], s[18:19], v[27:28]
	s_movk_i32 s0, 0x1f8
	v_cmp_class_f64_e64 s[0:1], v[9:10], s0
	v_mov_b32_e32 v9, 0x7ff80000
	v_fma_f64 v[36:37], v[32:33], v[36:37], s[20:21]
	v_fma_f64 v[36:37], v[32:33], v[36:37], s[22:23]
	;; [unrolled: 1-line block ×4, first 2 shown]
	v_fma_f64 v[19:20], v[32:33], v[36:37], -v[19:20]
	v_fma_f64 v[19:20], v[38:39], s[26:27], v[19:20]
	v_add_f64 v[17:18], v[17:18], -v[19:20]
	v_and_b32_e32 v19, 1, v31
	v_cmp_eq_u32_e32 vcc, 0, v19
	v_lshlrev_b32_e32 v19, 30, v31
	v_and_b32_e32 v19, 0x80000000, v19
	v_xor_b32_e32 v18, 0x80000000, v18
	v_cndmask_b32_e32 v18, v18, v35, vcc
	v_xor_b32_e32 v18, v18, v19
	v_div_scale_f64 v[19:20], s[30:31], v[11:12], v[11:12], s[28:29]
	v_cndmask_b32_e32 v17, v17, v34, vcc
	v_cndmask_b32_e64 v18, v9, v18, s[0:1]
	v_cndmask_b32_e64 v17, 0, v17, s[0:1]
	v_rcp_f64_e32 v[31:32], v[19:20]
	v_fma_f64 v[33:34], -v[19:20], v[31:32], 1.0
	v_fma_f64 v[31:32], v[31:32], v[33:34], v[31:32]
	v_fma_f64 v[33:34], -v[19:20], v[31:32], 1.0
	v_fma_f64 v[31:32], v[31:32], v[33:34], v[31:32]
	v_div_scale_f64 v[33:34], vcc, s[28:29], v[11:12], s[28:29]
	v_mul_f64 v[35:36], v[33:34], v[31:32]
	v_fma_f64 v[19:20], -v[19:20], v[35:36], v[33:34]
	s_nop 1
	v_div_fmas_f64 v[19:20], v[19:20], v[31:32], v[35:36]
	v_div_fixup_f64 v[19:20], v[19:20], v[11:12], s[28:29]
	v_div_scale_f64 v[31:32], s[28:29], v[29:30], v[29:30], v[21:22]
	v_rcp_f64_e32 v[33:34], v[31:32]
	v_fma_f64 v[35:36], -v[31:32], v[33:34], 1.0
	v_fma_f64 v[33:34], v[33:34], v[35:36], v[33:34]
	v_fma_f64 v[35:36], -v[31:32], v[33:34], 1.0
	v_fma_f64 v[33:34], v[33:34], v[35:36], v[33:34]
	v_div_scale_f64 v[35:36], vcc, v[21:22], v[29:30], v[21:22]
	v_mul_f64 v[37:38], v[35:36], v[33:34]
	v_fma_f64 v[31:32], -v[31:32], v[37:38], v[35:36]
	s_nop 1
	v_div_fmas_f64 v[31:32], v[31:32], v[33:34], v[37:38]
	v_div_fixup_f64 v[21:22], v[31:32], v[29:30], v[21:22]
	v_mul_f64 v[19:20], v[19:20], v[21:22]
	v_mul_f64 v[21:22], v[13:14], v[13:14]
	v_mul_f64 v[29:30], v[21:22], 0.5
	v_fma_f64 v[25:26], v[21:22], s[8:9], v[25:26]
	v_fma_f64 v[27:28], v[21:22], s[18:19], v[27:28]
	v_add_f64 v[31:32], -v[29:30], 1.0
	v_fma_f64 v[25:26], v[21:22], v[25:26], s[10:11]
	v_fma_f64 v[27:28], v[21:22], v[27:28], s[20:21]
	v_add_f64 v[33:34], -v[31:32], 1.0
	v_fma_f64 v[25:26], v[21:22], v[25:26], s[12:13]
	v_fma_f64 v[27:28], v[21:22], v[27:28], s[22:23]
	v_add_f64 v[29:30], v[33:34], -v[29:30]
	v_fma_f64 v[25:26], v[21:22], v[25:26], s[14:15]
	v_mul_f64 v[33:34], v[21:22], v[21:22]
	v_fma_f64 v[27:28], v[21:22], v[27:28], s[24:25]
	v_fma_f64 v[29:30], v[13:14], -v[15:16], v[29:30]
	v_fma_f64 v[25:26], v[21:22], v[25:26], s[16:17]
	v_fma_f64 v[25:26], v[33:34], v[25:26], v[29:30]
	v_mul_f64 v[29:30], v[13:14], -v[21:22]
	v_add_f64 v[25:26], v[31:32], v[25:26]
	v_mul_f64 v[31:32], v[15:16], 0.5
	v_fma_f64 v[27:28], v[29:30], v[27:28], v[31:32]
	v_fma_f64 v[15:16], v[21:22], v[27:28], -v[15:16]
	v_fma_f64 v[15:16], v[29:30], s[26:27], v[15:16]
	v_add_f64 v[13:14], v[13:14], -v[15:16]
	v_and_b32_e32 v15, 1, v4
	v_lshlrev_b32_e32 v4, 30, v4
	v_cmp_eq_u32_e32 vcc, 0, v15
	v_xor_b32_e32 v4, v4, v10
	v_and_b32_e32 v4, 0x80000000, v4
	v_cndmask_b32_e32 v14, v26, v14, vcc
	v_cndmask_b32_e32 v13, v25, v13, vcc
	v_xor_b32_e32 v4, v14, v4
	v_cndmask_b32_e64 v13, 0, v13, s[0:1]
	v_cndmask_b32_e64 v14, v9, v4, s[0:1]
	v_mul_f64 v[9:10], v[19:20], v[13:14]
	s_mov_b32 s0, 0x33d43651
	s_mov_b32 s1, 0x3fe98845
	v_mov_b32_e32 v4, 0x100
	v_fma_f64 v[9:10], v[23:24], v[17:18], v[9:10]
	v_mul_f64 v[9:10], v[9:10], s[0:1]
	s_mov_b32 s0, 0
	s_brev_b32 s1, 8
	v_cmp_gt_f64_e32 vcc, s[0:1], v[11:12]
	v_cndmask_b32_e32 v4, 0, v4, vcc
	v_ldexp_f64 v[11:12], v[11:12], v4
	v_mov_b32_e32 v4, 0xffffff80
	v_cndmask_b32_e32 v4, 0, v4, vcc
	v_rsq_f64_e32 v[13:14], v[11:12]
	v_mul_f64 v[15:16], v[11:12], v[13:14]
	v_mul_f64 v[13:14], v[13:14], 0.5
	v_fma_f64 v[17:18], -v[13:14], v[15:16], 0.5
	v_fma_f64 v[15:16], v[15:16], v[17:18], v[15:16]
	v_fma_f64 v[13:14], v[13:14], v[17:18], v[13:14]
	v_fma_f64 v[19:20], -v[15:16], v[15:16], v[11:12]
	v_fma_f64 v[15:16], v[19:20], v[13:14], v[15:16]
	v_fma_f64 v[17:18], -v[15:16], v[15:16], v[11:12]
	v_fma_f64 v[13:14], v[17:18], v[13:14], v[15:16]
	v_ldexp_f64 v[13:14], v[13:14], v4
	v_mov_b32_e32 v4, 0x260
	v_cmp_class_f64_e32 vcc, v[11:12], v4
	v_cndmask_b32_e32 v12, v14, v12, vcc
	v_cndmask_b32_e32 v11, v13, v11, vcc
	v_div_scale_f64 v[13:14], s[0:1], v[11:12], v[11:12], v[9:10]
	v_rcp_f64_e32 v[15:16], v[13:14]
	v_fma_f64 v[17:18], -v[13:14], v[15:16], 1.0
	v_fma_f64 v[15:16], v[15:16], v[17:18], v[15:16]
	v_fma_f64 v[17:18], -v[13:14], v[15:16], 1.0
	v_fma_f64 v[15:16], v[15:16], v[17:18], v[15:16]
	v_div_scale_f64 v[17:18], vcc, v[9:10], v[11:12], v[9:10]
	v_mul_f64 v[19:20], v[17:18], v[15:16]
	v_fma_f64 v[13:14], -v[13:14], v[19:20], v[17:18]
	s_nop 1
	v_div_fmas_f64 v[13:14], v[13:14], v[15:16], v[19:20]
	v_div_fixup_f64 v[9:10], v[13:14], v[11:12], v[9:10]
.LBB7_104:
	s_or_b64 exec, exec, s[2:3]
	global_load_dwordx2 v[13:14], v8, s[6:7]
	s_mov_b32 s0, 0
	s_mov_b32 s1, 0x40140000
                                        ; implicit-def: $vgpr11_vgpr12
	s_waitcnt vmcnt(0)
	v_cmp_gt_f64_e32 vcc, 0, v[13:14]
	v_xor_b32_e32 v4, 0x80000000, v14
	v_cndmask_b32_e32 v14, v14, v4, vcc
	v_cmp_ge_f64_e32 vcc, s[0:1], v[13:14]
	s_and_saveexec_b64 s[0:1], vcc
	s_xor_b64 s[0:1], exec, s[0:1]
	s_cbranch_execz .LBB7_110
; %bb.105:
	s_mov_b32 s2, 0x88e368f1
	s_mov_b32 s3, 0x3ee4f8b5
	v_cmp_ngt_f64_e32 vcc, s[2:3], v[13:14]
	v_mul_f64 v[13:14], v[13:14], v[13:14]
                                        ; implicit-def: $vgpr11_vgpr12
	s_and_saveexec_b64 s[2:3], vcc
	s_xor_b64 s[2:3], exec, s[2:3]
	s_cbranch_execz .LBB7_107
; %bb.106:
	v_mov_b32_e32 v11, 0xa696b78c
	v_mov_b32_e32 v12, 0x407f3902
	v_fma_f64 v[11:12], v[13:14], 0, v[11:12]
	s_mov_b32 s8, 0x36a21a67
	s_mov_b32 s9, 0x410536cb
	;; [unrolled: 1-line block ×3, first 2 shown]
	v_mov_b32_e32 v15, 0xad1c8325
	v_mov_b32_e32 v16, 0xc1f1dc53
	s_mov_b32 s11, 0x4204d5b0
	v_fma_f64 v[15:16], v[13:14], 0, v[15:16]
	v_fma_f64 v[11:12], v[13:14], v[11:12], s[8:9]
	s_mov_b32 s8, 0x2eac0634
	s_mov_b32 s9, 0x41871934
	;; [unrolled: 1-line block ×6, first 2 shown]
	v_fma_f64 v[11:12], v[13:14], v[11:12], s[8:9]
	s_mov_b32 s8, 0xc772990d
	s_mov_b32 s9, 0x427c7751
	v_fma_f64 v[15:16], v[13:14], v[15:16], s[8:9]
	s_mov_b32 s8, 0x80462bbb
	s_mov_b32 s9, 0xc01721fb
	v_add_f64 v[17:18], v[13:14], s[8:9]
	s_mov_b32 s8, 0x7e7b2e9c
	v_fma_f64 v[11:12], v[13:14], v[11:12], s[10:11]
	s_mov_b32 s10, 0xe0d900f7
	s_mov_b32 s11, 0xc2ec5614
	v_fma_f64 v[15:16], v[13:14], v[15:16], s[10:11]
	s_mov_b32 s10, 0x69ff5fb4
	s_mov_b32 s9, 0x435c4141
	;; [unrolled: 1-line block ×3, first 2 shown]
	v_fma_f64 v[11:12], v[13:14], v[11:12], s[12:13]
	s_mov_b32 s12, 0xa621dd6f
	s_mov_b32 s13, 0xc03e78a4
	v_add_f64 v[19:20], v[13:14], s[12:13]
	v_fma_f64 v[15:16], v[13:14], v[15:16], s[10:11]
	v_fma_f64 v[11:12], v[13:14], v[11:12], s[14:15]
	v_mul_f64 v[17:18], v[17:18], v[19:20]
	v_fma_f64 v[11:12], v[13:14], v[11:12], s[8:9]
	s_mov_b32 s8, 0xc7b662cc
	s_mov_b32 s9, 0x43b7be34
	v_mul_f64 v[15:16], v[17:18], v[15:16]
	v_fma_f64 v[11:12], v[13:14], v[11:12], s[8:9]
	v_div_scale_f64 v[13:14], s[8:9], v[11:12], v[11:12], v[15:16]
	v_div_scale_f64 v[21:22], vcc, v[15:16], v[11:12], v[15:16]
	v_rcp_f64_e32 v[17:18], v[13:14]
	v_fma_f64 v[19:20], -v[13:14], v[17:18], 1.0
	v_fma_f64 v[17:18], v[17:18], v[19:20], v[17:18]
	v_fma_f64 v[19:20], -v[13:14], v[17:18], 1.0
	v_fma_f64 v[17:18], v[17:18], v[19:20], v[17:18]
	v_mul_f64 v[19:20], v[21:22], v[17:18]
	v_fma_f64 v[13:14], -v[13:14], v[19:20], v[21:22]
	v_div_fmas_f64 v[13:14], v[13:14], v[17:18], v[19:20]
	v_div_fixup_f64 v[11:12], v[13:14], v[11:12], v[15:16]
                                        ; implicit-def: $vgpr13_vgpr14
.LBB7_107:
	s_andn2_saveexec_b64 s[2:3], s[2:3]
	s_cbranch_execz .LBB7_109
; %bb.108:
	s_mov_b32 s8, 0
	s_mov_b32 s9, 0xbfd00000
	v_fma_f64 v[11:12], v[13:14], s[8:9], 1.0
.LBB7_109:
	s_or_b64 exec, exec, s[2:3]
                                        ; implicit-def: $vgpr13_vgpr14
.LBB7_110:
	s_andn2_saveexec_b64 s[2:3], s[0:1]
	s_cbranch_execz .LBB7_120
; %bb.111:
	s_mov_b32 s11, 0xbfe921fb
	s_mov_b32 s10, 0x54442d18
	v_add_f64 v[11:12], v[13:14], s[10:11]
	s_mov_b32 s0, 0
	s_mov_b32 s1, 0x41d00000
                                        ; implicit-def: $vgpr8
                                        ; implicit-def: $vgpr19_vgpr20
                                        ; implicit-def: $vgpr21_vgpr22
	v_trig_preop_f64 v[27:28], |v[11:12]|, 0
	v_trig_preop_f64 v[25:26], |v[11:12]|, 1
	;; [unrolled: 1-line block ×3, first 2 shown]
	v_cmp_nlt_f64_e64 s[8:9], |v[11:12]|, s[0:1]
	s_and_saveexec_b64 s[0:1], s[8:9]
	s_xor_b64 s[12:13], exec, s[0:1]
	s_cbranch_execz .LBB7_113
; %bb.112:
	s_mov_b32 s0, 0
	s_mov_b32 s1, 0x7b000000
	s_movk_i32 s11, 0xff80
	v_ldexp_f64 v[15:16], |v[11:12]|, s11
	v_cmp_ge_f64_e64 vcc, |v[11:12]|, s[0:1]
	v_and_b32_e32 v4, 0x7fffffff, v12
	s_mov_b32 s0, 0
	s_mov_b32 s1, 0x7ff00000
	v_mov_b32_e32 v41, 0
	s_mov_b32 s11, 0x3ff921fb
	v_cndmask_b32_e32 v16, v4, v16, vcc
	v_cndmask_b32_e32 v15, v11, v15, vcc
	v_mul_f64 v[17:18], v[27:28], v[15:16]
	v_mul_f64 v[19:20], v[25:26], v[15:16]
	;; [unrolled: 1-line block ×3, first 2 shown]
	v_mov_b32_e32 v4, 0x40100000
	v_fma_f64 v[21:22], v[27:28], v[15:16], -v[17:18]
	v_fma_f64 v[37:38], v[25:26], v[15:16], -v[19:20]
	;; [unrolled: 1-line block ×3, first 2 shown]
	v_add_f64 v[29:30], v[19:20], v[21:22]
	v_add_f64 v[31:32], v[29:30], -v[19:20]
	v_add_f64 v[39:40], v[17:18], v[29:30]
	v_add_f64 v[33:34], v[29:30], -v[31:32]
	v_add_f64 v[21:22], v[21:22], -v[31:32]
	v_add_f64 v[31:32], v[35:36], v[37:38]
	v_add_f64 v[17:18], v[39:40], -v[17:18]
	v_add_f64 v[19:20], v[19:20], -v[33:34]
	v_ldexp_f64 v[33:34], v[39:40], -2
	v_add_f64 v[43:44], v[31:32], -v[35:36]
	v_add_f64 v[17:18], v[29:30], -v[17:18]
	v_add_f64 v[19:20], v[21:22], v[19:20]
	v_fract_f64_e32 v[21:22], v[33:34]
	v_cmp_neq_f64_e64 vcc, |v[33:34]|, s[0:1]
	v_add_f64 v[37:38], v[37:38], -v[43:44]
	v_add_f64 v[29:30], v[31:32], v[19:20]
	v_ldexp_f64 v[21:22], v[21:22], 2
	v_add_f64 v[33:34], v[17:18], v[29:30]
	v_cndmask_b32_e32 v22, 0, v22, vcc
	v_cndmask_b32_e32 v21, 0, v21, vcc
	v_add_f64 v[45:46], v[29:30], -v[31:32]
	v_add_f64 v[39:40], v[33:34], v[21:22]
	v_add_f64 v[17:18], v[33:34], -v[17:18]
	v_add_f64 v[47:48], v[29:30], -v[45:46]
	;; [unrolled: 1-line block ×3, first 2 shown]
	v_cmp_gt_f64_e32 vcc, 0, v[39:40]
	v_add_f64 v[39:40], v[31:32], -v[43:44]
	v_add_f64 v[17:18], v[29:30], -v[17:18]
	;; [unrolled: 1-line block ×3, first 2 shown]
	v_cndmask_b32_e32 v42, 0, v4, vcc
	v_add_f64 v[21:22], v[21:22], v[41:42]
	v_add_f64 v[39:40], v[35:36], -v[39:40]
	v_add_f64 v[19:20], v[19:20], v[31:32]
	v_add_f64 v[49:50], v[33:34], v[21:22]
	;; [unrolled: 1-line block ×3, first 2 shown]
	v_cvt_i32_f64_e32 v4, v[49:50]
	v_add_f64 v[19:20], v[37:38], v[19:20]
	v_cvt_f64_i32_e32 v[42:43], v4
	v_add_f64 v[21:22], v[21:22], -v[42:43]
	v_add_f64 v[15:16], v[15:16], v[19:20]
	v_add_f64 v[31:32], v[33:34], v[21:22]
	v_add_f64 v[15:16], v[17:18], v[15:16]
	v_add_f64 v[19:20], v[31:32], -v[21:22]
	v_cmp_le_f64_e32 vcc, 0.5, v[31:32]
	v_add_f64 v[17:18], v[33:34], -v[19:20]
	v_mov_b32_e32 v19, 0x3ff00000
	v_cndmask_b32_e32 v42, 0, v19, vcc
	v_addc_co_u32_e64 v8, s[0:1], 0, v4, vcc
	s_mov_b32 s0, 0x33145c07
	s_mov_b32 s1, 0x3c91a626
	v_add_f64 v[15:16], v[15:16], v[17:18]
	v_add_f64 v[17:18], v[31:32], -v[41:42]
	v_add_f64 v[19:20], v[17:18], v[15:16]
	v_mul_f64 v[21:22], v[19:20], s[10:11]
	v_add_f64 v[17:18], v[19:20], -v[17:18]
	v_fma_f64 v[29:30], v[19:20], s[10:11], -v[21:22]
	v_add_f64 v[15:16], v[15:16], -v[17:18]
	v_fma_f64 v[17:18], v[19:20], s[0:1], v[29:30]
	v_fma_f64 v[15:16], v[15:16], s[10:11], v[17:18]
	v_add_f64 v[19:20], v[21:22], v[15:16]
	v_add_f64 v[17:18], v[19:20], -v[21:22]
	v_add_f64 v[21:22], v[15:16], -v[17:18]
	s_andn2_saveexec_b64 s[0:1], s[12:13]
	s_cbranch_execz .LBB7_115
	s_branch .LBB7_114
.LBB7_113:
	s_andn2_saveexec_b64 s[0:1], s[12:13]
	s_cbranch_execz .LBB7_115
.LBB7_114:
	s_mov_b32 s10, 0x6dc9c883
	s_mov_b32 s11, 0x3fe45f30
	v_mul_f64 v[15:16], |v[11:12]|, s[10:11]
	s_mov_b32 s10, 0x54442d18
	s_mov_b32 s11, 0xbff921fb
	;; [unrolled: 1-line block ×4, first 2 shown]
	v_rndne_f64_e32 v[15:16], v[15:16]
	v_fma_f64 v[17:18], v[15:16], s[10:11], |v[11:12]|
	v_mul_f64 v[19:20], v[15:16], s[12:13]
	s_mov_b32 s10, 0x252049c0
	s_mov_b32 s11, 0xb97b839a
	v_cvt_i32_f64_e32 v8, v[15:16]
	v_add_f64 v[21:22], v[17:18], v[19:20]
	v_add_f64 v[29:30], v[17:18], -v[21:22]
	v_fma_f64 v[17:18], v[15:16], s[12:13], v[17:18]
	s_mov_b32 s13, 0x3c91a626
	v_add_f64 v[29:30], v[29:30], v[19:20]
	v_add_f64 v[21:22], v[21:22], -v[17:18]
	v_fma_f64 v[19:20], v[15:16], s[12:13], v[19:20]
	v_add_f64 v[21:22], v[21:22], v[29:30]
	v_add_f64 v[19:20], v[21:22], -v[19:20]
	v_fma_f64 v[21:22], v[15:16], s[10:11], v[19:20]
	v_add_f64 v[19:20], v[17:18], v[21:22]
	v_add_f64 v[17:18], v[19:20], -v[17:18]
	v_add_f64 v[21:22], v[21:22], -v[17:18]
.LBB7_115:
	s_or_b64 exec, exec, s[0:1]
                                        ; implicit-def: $vgpr4
                                        ; implicit-def: $vgpr15_vgpr16
                                        ; implicit-def: $vgpr17_vgpr18
	s_and_saveexec_b64 s[0:1], s[8:9]
	s_xor_b64 s[8:9], exec, s[0:1]
	s_cbranch_execz .LBB7_117
; %bb.116:
	s_mov_b32 s0, 0
	s_mov_b32 s1, 0x7b000000
	s_movk_i32 s10, 0xff80
	v_ldexp_f64 v[15:16], |v[11:12]|, s10
	v_cmp_ge_f64_e64 vcc, |v[11:12]|, s[0:1]
	v_and_b32_e32 v4, 0x7fffffff, v12
	s_mov_b32 s0, 0
	s_mov_b32 s1, 0x7ff00000
	v_mov_b32_e32 v41, 0
	s_mov_b32 s10, 0x33145c07
	s_mov_b32 s11, 0x3c91a626
	v_cndmask_b32_e32 v16, v4, v16, vcc
	v_cndmask_b32_e32 v15, v11, v15, vcc
	v_mul_f64 v[17:18], v[27:28], v[15:16]
	v_mul_f64 v[29:30], v[25:26], v[15:16]
	;; [unrolled: 1-line block ×3, first 2 shown]
	v_mov_b32_e32 v4, 0x40100000
	v_fma_f64 v[27:28], v[27:28], v[15:16], -v[17:18]
	v_fma_f64 v[25:26], v[25:26], v[15:16], -v[29:30]
	;; [unrolled: 1-line block ×3, first 2 shown]
	v_add_f64 v[31:32], v[29:30], v[27:28]
	v_add_f64 v[33:34], v[31:32], -v[29:30]
	v_add_f64 v[39:40], v[17:18], v[31:32]
	v_add_f64 v[35:36], v[31:32], -v[33:34]
	v_add_f64 v[27:28], v[27:28], -v[33:34]
	v_add_f64 v[33:34], v[37:38], v[25:26]
	v_add_f64 v[17:18], v[39:40], -v[17:18]
	v_add_f64 v[29:30], v[29:30], -v[35:36]
	v_ldexp_f64 v[35:36], v[39:40], -2
	v_add_f64 v[43:44], v[33:34], -v[37:38]
	v_add_f64 v[17:18], v[31:32], -v[17:18]
	v_add_f64 v[27:28], v[27:28], v[29:30]
	v_fract_f64_e32 v[29:30], v[35:36]
	v_cmp_neq_f64_e64 vcc, |v[35:36]|, s[0:1]
	v_add_f64 v[25:26], v[25:26], -v[43:44]
	v_add_f64 v[31:32], v[33:34], v[27:28]
	v_ldexp_f64 v[29:30], v[29:30], 2
	v_add_f64 v[35:36], v[17:18], v[31:32]
	v_cndmask_b32_e32 v30, 0, v30, vcc
	v_cndmask_b32_e32 v29, 0, v29, vcc
	v_add_f64 v[45:46], v[31:32], -v[33:34]
	v_add_f64 v[39:40], v[35:36], v[29:30]
	v_add_f64 v[17:18], v[35:36], -v[17:18]
	v_add_f64 v[47:48], v[31:32], -v[45:46]
	v_add_f64 v[27:28], v[27:28], -v[45:46]
	v_cmp_gt_f64_e32 vcc, 0, v[39:40]
	v_add_f64 v[39:40], v[33:34], -v[43:44]
	v_add_f64 v[17:18], v[31:32], -v[17:18]
	;; [unrolled: 1-line block ×3, first 2 shown]
	v_cndmask_b32_e32 v42, 0, v4, vcc
	v_add_f64 v[29:30], v[29:30], v[41:42]
	v_add_f64 v[39:40], v[37:38], -v[39:40]
	v_add_f64 v[27:28], v[27:28], v[33:34]
	v_add_f64 v[49:50], v[35:36], v[29:30]
	;; [unrolled: 1-line block ×3, first 2 shown]
	v_cvt_i32_f64_e32 v4, v[49:50]
	v_add_f64 v[23:24], v[25:26], v[27:28]
	v_cvt_f64_i32_e32 v[42:43], v4
	v_add_f64 v[29:30], v[29:30], -v[42:43]
	v_add_f64 v[15:16], v[15:16], v[23:24]
	v_add_f64 v[25:26], v[35:36], v[29:30]
	;; [unrolled: 1-line block ×3, first 2 shown]
	v_add_f64 v[23:24], v[25:26], -v[29:30]
	v_cmp_le_f64_e32 vcc, 0.5, v[25:26]
	v_add_f64 v[17:18], v[35:36], -v[23:24]
	v_mov_b32_e32 v23, 0x3ff00000
	v_cndmask_b32_e32 v42, 0, v23, vcc
	v_addc_co_u32_e64 v4, s[0:1], 0, v4, vcc
	s_mov_b32 s0, 0x54442d18
	s_mov_b32 s1, 0x3ff921fb
	v_add_f64 v[15:16], v[15:16], v[17:18]
	v_add_f64 v[17:18], v[25:26], -v[41:42]
	v_add_f64 v[23:24], v[17:18], v[15:16]
	v_mul_f64 v[25:26], v[23:24], s[0:1]
	v_add_f64 v[17:18], v[23:24], -v[17:18]
	v_fma_f64 v[27:28], v[23:24], s[0:1], -v[25:26]
	v_add_f64 v[15:16], v[15:16], -v[17:18]
	v_fma_f64 v[17:18], v[23:24], s[10:11], v[27:28]
	v_fma_f64 v[17:18], v[15:16], s[0:1], v[17:18]
	v_add_f64 v[15:16], v[25:26], v[17:18]
	v_add_f64 v[23:24], v[15:16], -v[25:26]
	v_add_f64 v[17:18], v[17:18], -v[23:24]
	s_andn2_saveexec_b64 s[0:1], s[8:9]
	s_cbranch_execnz .LBB7_118
	s_branch .LBB7_119
.LBB7_117:
	s_andn2_saveexec_b64 s[0:1], s[8:9]
	s_cbranch_execz .LBB7_119
.LBB7_118:
	s_mov_b32 s8, 0x6dc9c883
	s_mov_b32 s9, 0x3fe45f30
	v_mul_f64 v[15:16], |v[11:12]|, s[8:9]
	s_mov_b32 s8, 0x54442d18
	s_mov_b32 s9, 0xbff921fb
	s_mov_b32 s11, 0xbc91a626
	s_mov_b32 s10, 0x33145c00
	v_rndne_f64_e32 v[23:24], v[15:16]
	v_fma_f64 v[15:16], v[23:24], s[8:9], |v[11:12]|
	v_mul_f64 v[17:18], v[23:24], s[10:11]
	s_mov_b32 s8, 0x252049c0
	s_mov_b32 s9, 0xb97b839a
	v_cvt_i32_f64_e32 v4, v[23:24]
	v_fma_f64 v[29:30], v[23:24], s[10:11], v[15:16]
	v_add_f64 v[25:26], v[15:16], v[17:18]
	s_mov_b32 s11, 0x3c91a626
	v_add_f64 v[27:28], v[15:16], -v[25:26]
	v_add_f64 v[25:26], v[25:26], -v[29:30]
	v_add_f64 v[15:16], v[27:28], v[17:18]
	v_fma_f64 v[17:18], v[23:24], s[10:11], v[17:18]
	v_add_f64 v[15:16], v[25:26], v[15:16]
	v_add_f64 v[15:16], v[15:16], -v[17:18]
	v_fma_f64 v[17:18], v[23:24], s[8:9], v[15:16]
	v_add_f64 v[15:16], v[29:30], v[17:18]
	v_add_f64 v[25:26], v[15:16], -v[29:30]
	v_add_f64 v[17:18], v[17:18], -v[25:26]
.LBB7_119:
	s_or_b64 exec, exec, s[0:1]
	v_mul_f64 v[23:24], v[13:14], v[13:14]
	s_mov_b32 s0, 0
	s_mov_b32 s1, 0x40390000
	;; [unrolled: 1-line block ×7, first 2 shown]
	v_div_scale_f64 v[25:26], s[8:9], v[23:24], v[23:24], s[0:1]
	s_mov_b32 s8, 0x46cc5e42
	s_mov_b32 s9, 0xbda907db
	;; [unrolled: 1-line block ×13, first 2 shown]
	v_mul_f64 v[41:42], v[21:22], 0.5
	v_rcp_f64_e32 v[27:28], v[25:26]
	s_mov_b32 s27, 0xbfc55555
	s_mov_b32 s26, s16
	;; [unrolled: 1-line block ×4, first 2 shown]
	v_fma_f64 v[29:30], -v[25:26], v[27:28], 1.0
	v_fma_f64 v[27:28], v[27:28], v[29:30], v[27:28]
	v_fma_f64 v[29:30], -v[25:26], v[27:28], 1.0
	v_fma_f64 v[27:28], v[27:28], v[29:30], v[27:28]
	v_div_scale_f64 v[29:30], vcc, s[0:1], v[23:24], s[0:1]
	v_mul_f64 v[31:32], v[29:30], v[27:28]
	v_fma_f64 v[25:26], -v[25:26], v[31:32], v[29:30]
	s_nop 1
	v_div_fmas_f64 v[25:26], v[25:26], v[27:28], v[31:32]
	v_mov_b32_e32 v31, 0x413c25ac
	v_mov_b32_e32 v32, 0x40501457
	v_div_fixup_f64 v[25:26], v[25:26], v[23:24], s[0:1]
	v_mov_b32_e32 v23, 0x983b6b27
	v_mov_b32_e32 v24, 0x3f4a1d30
	s_mov_b32 s0, 0xb35dd1cf
	s_mov_b32 s1, 0x3fb534b0
	v_fma_f64 v[23:24], v[25:26], 0, v[23:24]
	v_fma_f64 v[31:32], v[25:26], 0, v[31:32]
	;; [unrolled: 1-line block ×3, first 2 shown]
	s_mov_b32 s0, 0x4e680b98
	s_mov_b32 s1, 0x3ff3d521
	v_fma_f64 v[23:24], v[25:26], v[23:24], s[0:1]
	s_mov_b32 s0, 0xe97a0956
	s_mov_b32 s1, 0x4015c9fb
	v_fma_f64 v[23:24], v[25:26], v[23:24], s[0:1]
	s_mov_b32 s0, 0x69409888
	s_mov_b32 s1, 0x40217e8c
	v_fma_f64 v[23:24], v[25:26], v[23:24], s[0:1]
	s_mov_b32 s0, 0xa59425a1
	s_mov_b32 s1, 0x40153684
	v_fma_f64 v[27:28], v[25:26], v[23:24], s[0:1]
	v_mov_b32_e32 v23, 0xce039737
	v_mov_b32_e32 v24, 0x3f4e4a80
	v_fma_f64 v[23:24], v[25:26], 0, v[23:24]
	s_mov_b32 s0, 0xab5454e3
	s_mov_b32 s1, 0x3fb5ebc5
	v_fma_f64 v[23:24], v[25:26], v[23:24], s[0:1]
	s_mov_b32 s0, 0xc9b3069f
	s_mov_b32 s1, 0x3ff40e72
	;; [unrolled: 3-line block ×6, first 2 shown]
	v_fma_f64 v[29:30], v[25:26], v[23:24], 1.0
	v_mov_b32_e32 v23, 0x38a5384a
	v_mov_b32_e32 v24, 0xbf874742
	v_fma_f64 v[23:24], v[25:26], 0, v[23:24]
	v_fma_f64 v[23:24], v[25:26], v[23:24], s[0:1]
	s_mov_b32 s0, 0xf50e2c0c
	s_mov_b32 s1, 0xc0338dcf
	v_fma_f64 v[23:24], v[25:26], v[23:24], s[0:1]
	s_mov_b32 s0, 0x5a6de8c4
	s_mov_b32 s1, 0xc0574d2f
	;; [unrolled: 3-line block ×12, first 2 shown]
	v_fma_f64 v[31:32], v[25:26], v[31:32], s[0:1]
	v_fma_f64 v[25:26], v[25:26], v[27:28], 1.0
	v_div_scale_f64 v[27:28], s[0:1], v[29:30], v[29:30], v[25:26]
	s_mov_b32 s0, 0x9037ab78
	s_mov_b32 s1, 0x3e21eeb6
	v_rcp_f64_e32 v[33:34], v[27:28]
	v_fma_f64 v[35:36], -v[27:28], v[33:34], 1.0
	v_fma_f64 v[33:34], v[33:34], v[35:36], v[33:34]
	v_fma_f64 v[35:36], -v[27:28], v[33:34], 1.0
	v_fma_f64 v[33:34], v[33:34], v[35:36], v[33:34]
	v_div_scale_f64 v[35:36], vcc, v[25:26], v[29:30], v[25:26]
	v_mul_f64 v[37:38], v[35:36], v[33:34]
	v_fma_f64 v[27:28], -v[27:28], v[37:38], v[35:36]
	s_nop 1
	v_div_fmas_f64 v[27:28], v[27:28], v[33:34], v[37:38]
	v_mul_f64 v[33:34], v[19:20], v[19:20]
	v_mul_f64 v[37:38], v[33:34], v[33:34]
	v_div_fixup_f64 v[25:26], v[27:28], v[29:30], v[25:26]
	v_mul_f64 v[27:28], v[33:34], 0.5
	v_add_f64 v[29:30], -v[27:28], 1.0
	v_add_f64 v[35:36], -v[29:30], 1.0
	v_add_f64 v[35:36], v[35:36], -v[27:28]
	v_mov_b32_e32 v28, s1
	v_mov_b32_e32 v27, s0
	v_fma_f64 v[39:40], v[33:34], s[8:9], v[27:28]
	s_mov_b32 s0, 0xb42fdfa7
	s_mov_b32 s1, 0xbe5ae600
	v_fma_f64 v[35:36], v[19:20], -v[21:22], v[35:36]
	v_fma_f64 v[39:40], v[33:34], v[39:40], s[10:11]
	v_fma_f64 v[39:40], v[33:34], v[39:40], s[12:13]
	;; [unrolled: 1-line block ×5, first 2 shown]
	v_mul_f64 v[39:40], v[19:20], -v[33:34]
	v_add_f64 v[35:36], v[29:30], v[35:36]
	v_mov_b32_e32 v30, s1
	v_mov_b32_e32 v29, s0
	v_fma_f64 v[37:38], v[33:34], s[18:19], v[29:30]
	s_movk_i32 s0, 0x1f8
	v_cmp_class_f64_e64 s[0:1], v[11:12], s0
	v_and_b32_e32 v11, 1, v4
	v_lshlrev_b32_e32 v4, 30, v4
	v_xor_b32_e32 v4, v4, v12
	v_and_b32_e32 v4, 0x80000000, v4
	v_fma_f64 v[37:38], v[33:34], v[37:38], s[20:21]
	v_fma_f64 v[37:38], v[33:34], v[37:38], s[22:23]
	;; [unrolled: 1-line block ×4, first 2 shown]
	v_fma_f64 v[21:22], v[33:34], v[37:38], -v[21:22]
	v_fma_f64 v[21:22], v[39:40], s[26:27], v[21:22]
	v_add_f64 v[19:20], v[19:20], -v[21:22]
	v_and_b32_e32 v21, 1, v8
	v_cmp_eq_u32_e32 vcc, 0, v21
	v_div_scale_f64 v[21:22], s[30:31], v[13:14], v[13:14], s[28:29]
	v_lshlrev_b32_e32 v8, 30, v8
	v_and_b32_e32 v8, 0x80000000, v8
	v_xor_b32_e32 v20, 0x80000000, v20
	v_cndmask_b32_e32 v19, v19, v35, vcc
	v_cndmask_b32_e32 v20, v20, v36, vcc
	v_xor_b32_e32 v20, v20, v8
	v_mov_b32_e32 v8, 0x7ff80000
	v_cndmask_b32_e64 v19, 0, v19, s[0:1]
	v_cndmask_b32_e64 v20, v8, v20, s[0:1]
	v_rcp_f64_e32 v[33:34], v[21:22]
	v_fma_f64 v[35:36], -v[21:22], v[33:34], 1.0
	v_fma_f64 v[33:34], v[33:34], v[35:36], v[33:34]
	v_fma_f64 v[35:36], -v[21:22], v[33:34], 1.0
	v_fma_f64 v[33:34], v[33:34], v[35:36], v[33:34]
	v_div_scale_f64 v[35:36], vcc, s[28:29], v[13:14], s[28:29]
	v_mul_f64 v[37:38], v[35:36], v[33:34]
	v_fma_f64 v[21:22], -v[21:22], v[37:38], v[35:36]
	s_nop 1
	v_div_fmas_f64 v[21:22], v[21:22], v[33:34], v[37:38]
	v_div_fixup_f64 v[21:22], v[21:22], v[13:14], s[28:29]
	v_div_scale_f64 v[33:34], s[28:29], v[31:32], v[31:32], v[23:24]
	v_rcp_f64_e32 v[35:36], v[33:34]
	v_fma_f64 v[37:38], -v[33:34], v[35:36], 1.0
	v_fma_f64 v[35:36], v[35:36], v[37:38], v[35:36]
	v_fma_f64 v[37:38], -v[33:34], v[35:36], 1.0
	v_fma_f64 v[35:36], v[35:36], v[37:38], v[35:36]
	v_div_scale_f64 v[37:38], vcc, v[23:24], v[31:32], v[23:24]
	v_mul_f64 v[39:40], v[37:38], v[35:36]
	v_fma_f64 v[33:34], -v[33:34], v[39:40], v[37:38]
	s_nop 1
	v_div_fmas_f64 v[33:34], v[33:34], v[35:36], v[39:40]
	v_cmp_eq_u32_e32 vcc, 0, v11
	v_div_fixup_f64 v[23:24], v[33:34], v[31:32], v[23:24]
	v_mul_f64 v[21:22], v[21:22], v[23:24]
	v_mul_f64 v[23:24], v[15:16], v[15:16]
	v_mul_f64 v[31:32], v[23:24], 0.5
	v_fma_f64 v[27:28], v[23:24], s[8:9], v[27:28]
	v_fma_f64 v[29:30], v[23:24], s[18:19], v[29:30]
	v_add_f64 v[33:34], -v[31:32], 1.0
	v_fma_f64 v[27:28], v[23:24], v[27:28], s[10:11]
	v_fma_f64 v[29:30], v[23:24], v[29:30], s[20:21]
	v_add_f64 v[35:36], -v[33:34], 1.0
	v_fma_f64 v[27:28], v[23:24], v[27:28], s[12:13]
	v_fma_f64 v[29:30], v[23:24], v[29:30], s[22:23]
	v_add_f64 v[31:32], v[35:36], -v[31:32]
	v_fma_f64 v[27:28], v[23:24], v[27:28], s[14:15]
	v_mul_f64 v[35:36], v[23:24], v[23:24]
	v_fma_f64 v[29:30], v[23:24], v[29:30], s[24:25]
	v_fma_f64 v[31:32], v[15:16], -v[17:18], v[31:32]
	v_fma_f64 v[27:28], v[23:24], v[27:28], s[16:17]
	v_fma_f64 v[27:28], v[35:36], v[27:28], v[31:32]
	v_mul_f64 v[31:32], v[15:16], -v[23:24]
	v_add_f64 v[27:28], v[33:34], v[27:28]
	v_mul_f64 v[33:34], v[17:18], 0.5
	v_fma_f64 v[29:30], v[31:32], v[29:30], v[33:34]
	v_fma_f64 v[17:18], v[23:24], v[29:30], -v[17:18]
	v_fma_f64 v[17:18], v[31:32], s[26:27], v[17:18]
	v_add_f64 v[15:16], v[15:16], -v[17:18]
	v_cndmask_b32_e32 v11, v27, v15, vcc
	v_cndmask_b32_e32 v15, v28, v16, vcc
	v_xor_b32_e32 v4, v15, v4
	v_cndmask_b32_e64 v11, 0, v11, s[0:1]
	v_cndmask_b32_e64 v12, v8, v4, s[0:1]
	v_mul_f64 v[11:12], v[21:22], v[11:12]
	s_mov_b32 s0, 0x33d43651
	s_mov_b32 s1, 0x3fe98845
	v_mov_b32_e32 v4, 0x100
	v_fma_f64 v[11:12], v[25:26], v[19:20], v[11:12]
	v_mul_f64 v[11:12], v[11:12], s[0:1]
	s_mov_b32 s0, 0
	s_brev_b32 s1, 8
	v_cmp_gt_f64_e32 vcc, s[0:1], v[13:14]
	v_cndmask_b32_e32 v4, 0, v4, vcc
	v_ldexp_f64 v[13:14], v[13:14], v4
	v_mov_b32_e32 v4, 0xffffff80
	v_cndmask_b32_e32 v4, 0, v4, vcc
	v_rsq_f64_e32 v[15:16], v[13:14]
	v_mul_f64 v[17:18], v[13:14], v[15:16]
	v_mul_f64 v[15:16], v[15:16], 0.5
	v_fma_f64 v[19:20], -v[15:16], v[17:18], 0.5
	v_fma_f64 v[17:18], v[17:18], v[19:20], v[17:18]
	v_fma_f64 v[15:16], v[15:16], v[19:20], v[15:16]
	v_fma_f64 v[21:22], -v[17:18], v[17:18], v[13:14]
	v_fma_f64 v[17:18], v[21:22], v[15:16], v[17:18]
	v_fma_f64 v[19:20], -v[17:18], v[17:18], v[13:14]
	v_fma_f64 v[15:16], v[19:20], v[15:16], v[17:18]
	v_ldexp_f64 v[15:16], v[15:16], v4
	v_mov_b32_e32 v4, 0x260
	v_cmp_class_f64_e32 vcc, v[13:14], v4
	v_cndmask_b32_e32 v14, v16, v14, vcc
	v_cndmask_b32_e32 v13, v15, v13, vcc
	v_div_scale_f64 v[15:16], s[0:1], v[13:14], v[13:14], v[11:12]
	v_rcp_f64_e32 v[17:18], v[15:16]
	v_fma_f64 v[19:20], -v[15:16], v[17:18], 1.0
	v_fma_f64 v[17:18], v[17:18], v[19:20], v[17:18]
	v_fma_f64 v[19:20], -v[15:16], v[17:18], 1.0
	v_fma_f64 v[17:18], v[17:18], v[19:20], v[17:18]
	v_div_scale_f64 v[19:20], vcc, v[11:12], v[13:14], v[11:12]
	v_mul_f64 v[21:22], v[19:20], v[17:18]
	v_fma_f64 v[15:16], -v[15:16], v[21:22], v[19:20]
	s_nop 1
	v_div_fmas_f64 v[15:16], v[15:16], v[17:18], v[21:22]
	v_div_fixup_f64 v[11:12], v[15:16], v[13:14], v[11:12]
.LBB7_120:
	s_or_b64 exec, exec, s[2:3]
	global_load_dwordx2 v[4:5], v5, s[6:7]
	s_mov_b32 s0, 0
	s_mov_b32 s1, 0x40140000
                                        ; implicit-def: $vgpr13_vgpr14
	s_waitcnt vmcnt(0)
	v_cmp_gt_f64_e32 vcc, 0, v[4:5]
	v_xor_b32_e32 v8, 0x80000000, v5
	v_cndmask_b32_e32 v5, v5, v8, vcc
	v_cmp_ge_f64_e32 vcc, s[0:1], v[4:5]
	s_and_saveexec_b64 s[0:1], vcc
	s_xor_b64 s[0:1], exec, s[0:1]
	s_cbranch_execz .LBB7_126
; %bb.121:
	s_mov_b32 s2, 0x88e368f1
	s_mov_b32 s3, 0x3ee4f8b5
	v_cmp_ngt_f64_e32 vcc, s[2:3], v[4:5]
	v_mul_f64 v[4:5], v[4:5], v[4:5]
                                        ; implicit-def: $vgpr13_vgpr14
	s_and_saveexec_b64 s[2:3], vcc
	s_xor_b64 s[2:3], exec, s[2:3]
	s_cbranch_execz .LBB7_123
; %bb.122:
	v_mov_b32_e32 v13, 0xa696b78c
	v_mov_b32_e32 v14, 0x407f3902
	v_fma_f64 v[13:14], v[4:5], 0, v[13:14]
	s_mov_b32 s6, 0x36a21a67
	s_mov_b32 s7, 0x410536cb
	;; [unrolled: 1-line block ×3, first 2 shown]
	v_mov_b32_e32 v15, 0xad1c8325
	v_mov_b32_e32 v16, 0xc1f1dc53
	s_mov_b32 s9, 0x4204d5b0
	v_fma_f64 v[15:16], v[4:5], 0, v[15:16]
	v_fma_f64 v[13:14], v[4:5], v[13:14], s[6:7]
	s_mov_b32 s6, 0x2eac0634
	s_mov_b32 s7, 0x41871934
	;; [unrolled: 1-line block ×6, first 2 shown]
	v_fma_f64 v[13:14], v[4:5], v[13:14], s[6:7]
	s_mov_b32 s6, 0xc772990d
	s_mov_b32 s7, 0x427c7751
	v_fma_f64 v[15:16], v[4:5], v[15:16], s[6:7]
	s_mov_b32 s6, 0x80462bbb
	s_mov_b32 s7, 0xc01721fb
	v_add_f64 v[17:18], v[4:5], s[6:7]
	s_mov_b32 s6, 0x7e7b2e9c
	v_fma_f64 v[13:14], v[4:5], v[13:14], s[8:9]
	s_mov_b32 s8, 0xe0d900f7
	s_mov_b32 s9, 0xc2ec5614
	v_fma_f64 v[15:16], v[4:5], v[15:16], s[8:9]
	s_mov_b32 s8, 0x69ff5fb4
	s_mov_b32 s7, 0x435c4141
	;; [unrolled: 1-line block ×3, first 2 shown]
	v_fma_f64 v[13:14], v[4:5], v[13:14], s[10:11]
	s_mov_b32 s10, 0xa621dd6f
	s_mov_b32 s11, 0xc03e78a4
	v_add_f64 v[19:20], v[4:5], s[10:11]
	v_fma_f64 v[15:16], v[4:5], v[15:16], s[8:9]
	v_fma_f64 v[13:14], v[4:5], v[13:14], s[12:13]
	v_mul_f64 v[17:18], v[17:18], v[19:20]
	v_fma_f64 v[13:14], v[4:5], v[13:14], s[6:7]
	s_mov_b32 s6, 0xc7b662cc
	s_mov_b32 s7, 0x43b7be34
	v_mul_f64 v[15:16], v[17:18], v[15:16]
	v_fma_f64 v[4:5], v[4:5], v[13:14], s[6:7]
	v_div_scale_f64 v[13:14], s[6:7], v[4:5], v[4:5], v[15:16]
	v_div_scale_f64 v[21:22], vcc, v[15:16], v[4:5], v[15:16]
	v_rcp_f64_e32 v[17:18], v[13:14]
	v_fma_f64 v[19:20], -v[13:14], v[17:18], 1.0
	v_fma_f64 v[17:18], v[17:18], v[19:20], v[17:18]
	v_fma_f64 v[19:20], -v[13:14], v[17:18], 1.0
	v_fma_f64 v[17:18], v[17:18], v[19:20], v[17:18]
	v_mul_f64 v[19:20], v[21:22], v[17:18]
	v_fma_f64 v[13:14], -v[13:14], v[19:20], v[21:22]
	v_div_fmas_f64 v[13:14], v[13:14], v[17:18], v[19:20]
	v_div_fixup_f64 v[13:14], v[13:14], v[4:5], v[15:16]
                                        ; implicit-def: $vgpr4_vgpr5
.LBB7_123:
	s_andn2_saveexec_b64 s[2:3], s[2:3]
	s_cbranch_execz .LBB7_125
; %bb.124:
	s_mov_b32 s6, 0
	s_mov_b32 s7, 0xbfd00000
	v_fma_f64 v[13:14], v[4:5], s[6:7], 1.0
.LBB7_125:
	s_or_b64 exec, exec, s[2:3]
                                        ; implicit-def: $vgpr4_vgpr5
.LBB7_126:
	s_andn2_saveexec_b64 s[2:3], s[0:1]
	s_cbranch_execz .LBB7_136
; %bb.127:
	s_mov_b32 s9, 0xbfe921fb
	s_mov_b32 s8, 0x54442d18
	v_add_f64 v[13:14], v[4:5], s[8:9]
	s_mov_b32 s0, 0
	s_mov_b32 s1, 0x41d00000
                                        ; implicit-def: $vgpr33
                                        ; implicit-def: $vgpr19_vgpr20
                                        ; implicit-def: $vgpr21_vgpr22
	v_trig_preop_f64 v[27:28], |v[13:14]|, 0
	v_trig_preop_f64 v[25:26], |v[13:14]|, 1
	;; [unrolled: 1-line block ×3, first 2 shown]
	v_cmp_nlt_f64_e64 s[6:7], |v[13:14]|, s[0:1]
	s_and_saveexec_b64 s[0:1], s[6:7]
	s_xor_b64 s[10:11], exec, s[0:1]
	s_cbranch_execz .LBB7_129
; %bb.128:
	s_mov_b32 s0, 0
	s_mov_b32 s1, 0x7b000000
	s_movk_i32 s9, 0xff80
	v_ldexp_f64 v[15:16], |v[13:14]|, s9
	v_cmp_ge_f64_e64 vcc, |v[13:14]|, s[0:1]
	v_and_b32_e32 v8, 0x7fffffff, v14
	s_mov_b32 s0, 0
	s_mov_b32 s1, 0x7ff00000
	v_mov_b32_e32 v41, 0
	s_mov_b32 s9, 0x3ff921fb
	v_cndmask_b32_e32 v16, v8, v16, vcc
	v_cndmask_b32_e32 v15, v13, v15, vcc
	v_mul_f64 v[17:18], v[27:28], v[15:16]
	v_mul_f64 v[19:20], v[25:26], v[15:16]
	;; [unrolled: 1-line block ×3, first 2 shown]
	v_mov_b32_e32 v8, 0x40100000
	v_fma_f64 v[21:22], v[27:28], v[15:16], -v[17:18]
	v_fma_f64 v[37:38], v[25:26], v[15:16], -v[19:20]
	;; [unrolled: 1-line block ×3, first 2 shown]
	v_add_f64 v[29:30], v[19:20], v[21:22]
	v_add_f64 v[31:32], v[29:30], -v[19:20]
	v_add_f64 v[39:40], v[17:18], v[29:30]
	v_add_f64 v[33:34], v[29:30], -v[31:32]
	v_add_f64 v[21:22], v[21:22], -v[31:32]
	v_add_f64 v[31:32], v[35:36], v[37:38]
	v_add_f64 v[17:18], v[39:40], -v[17:18]
	v_add_f64 v[19:20], v[19:20], -v[33:34]
	v_ldexp_f64 v[33:34], v[39:40], -2
	v_add_f64 v[43:44], v[31:32], -v[35:36]
	v_add_f64 v[17:18], v[29:30], -v[17:18]
	v_add_f64 v[19:20], v[21:22], v[19:20]
	v_fract_f64_e32 v[21:22], v[33:34]
	v_cmp_neq_f64_e64 vcc, |v[33:34]|, s[0:1]
	v_add_f64 v[37:38], v[37:38], -v[43:44]
	v_add_f64 v[29:30], v[31:32], v[19:20]
	v_ldexp_f64 v[21:22], v[21:22], 2
	v_add_f64 v[33:34], v[17:18], v[29:30]
	v_cndmask_b32_e32 v22, 0, v22, vcc
	v_cndmask_b32_e32 v21, 0, v21, vcc
	v_add_f64 v[45:46], v[29:30], -v[31:32]
	v_add_f64 v[39:40], v[33:34], v[21:22]
	v_add_f64 v[17:18], v[33:34], -v[17:18]
	v_add_f64 v[47:48], v[29:30], -v[45:46]
	;; [unrolled: 1-line block ×3, first 2 shown]
	v_cmp_gt_f64_e32 vcc, 0, v[39:40]
	v_add_f64 v[39:40], v[31:32], -v[43:44]
	v_add_f64 v[17:18], v[29:30], -v[17:18]
	;; [unrolled: 1-line block ×3, first 2 shown]
	v_cndmask_b32_e32 v42, 0, v8, vcc
	v_add_f64 v[21:22], v[21:22], v[41:42]
	v_add_f64 v[39:40], v[35:36], -v[39:40]
	v_add_f64 v[19:20], v[19:20], v[31:32]
	v_add_f64 v[49:50], v[33:34], v[21:22]
	;; [unrolled: 1-line block ×3, first 2 shown]
	v_cvt_i32_f64_e32 v8, v[49:50]
	v_add_f64 v[19:20], v[37:38], v[19:20]
	v_cvt_f64_i32_e32 v[42:43], v8
	v_add_f64 v[21:22], v[21:22], -v[42:43]
	v_add_f64 v[15:16], v[15:16], v[19:20]
	v_add_f64 v[31:32], v[33:34], v[21:22]
	;; [unrolled: 1-line block ×3, first 2 shown]
	v_add_f64 v[19:20], v[31:32], -v[21:22]
	v_cmp_le_f64_e32 vcc, 0.5, v[31:32]
	v_add_f64 v[17:18], v[33:34], -v[19:20]
	v_mov_b32_e32 v19, 0x3ff00000
	v_cndmask_b32_e32 v42, 0, v19, vcc
	v_addc_co_u32_e64 v33, s[0:1], 0, v8, vcc
	s_mov_b32 s0, 0x33145c07
	s_mov_b32 s1, 0x3c91a626
	v_add_f64 v[15:16], v[15:16], v[17:18]
	v_add_f64 v[17:18], v[31:32], -v[41:42]
	v_add_f64 v[19:20], v[17:18], v[15:16]
	v_mul_f64 v[21:22], v[19:20], s[8:9]
	v_add_f64 v[17:18], v[19:20], -v[17:18]
	v_fma_f64 v[29:30], v[19:20], s[8:9], -v[21:22]
	v_add_f64 v[15:16], v[15:16], -v[17:18]
	v_fma_f64 v[17:18], v[19:20], s[0:1], v[29:30]
	v_fma_f64 v[15:16], v[15:16], s[8:9], v[17:18]
	v_add_f64 v[19:20], v[21:22], v[15:16]
	v_add_f64 v[17:18], v[19:20], -v[21:22]
	v_add_f64 v[21:22], v[15:16], -v[17:18]
	s_andn2_saveexec_b64 s[0:1], s[10:11]
	s_cbranch_execz .LBB7_131
	s_branch .LBB7_130
.LBB7_129:
	s_andn2_saveexec_b64 s[0:1], s[10:11]
	s_cbranch_execz .LBB7_131
.LBB7_130:
	s_mov_b32 s8, 0x6dc9c883
	s_mov_b32 s9, 0x3fe45f30
	v_mul_f64 v[15:16], |v[13:14]|, s[8:9]
	s_mov_b32 s8, 0x54442d18
	s_mov_b32 s9, 0xbff921fb
	;; [unrolled: 1-line block ×4, first 2 shown]
	v_rndne_f64_e32 v[15:16], v[15:16]
	v_fma_f64 v[17:18], v[15:16], s[8:9], |v[13:14]|
	v_mul_f64 v[19:20], v[15:16], s[10:11]
	s_mov_b32 s8, 0x252049c0
	s_mov_b32 s9, 0xb97b839a
	v_cvt_i32_f64_e32 v33, v[15:16]
	v_add_f64 v[21:22], v[17:18], v[19:20]
	v_add_f64 v[29:30], v[17:18], -v[21:22]
	v_fma_f64 v[17:18], v[15:16], s[10:11], v[17:18]
	s_mov_b32 s11, 0x3c91a626
	v_add_f64 v[29:30], v[29:30], v[19:20]
	v_add_f64 v[21:22], v[21:22], -v[17:18]
	v_fma_f64 v[19:20], v[15:16], s[10:11], v[19:20]
	v_add_f64 v[21:22], v[21:22], v[29:30]
	v_add_f64 v[19:20], v[21:22], -v[19:20]
	v_fma_f64 v[21:22], v[15:16], s[8:9], v[19:20]
	v_add_f64 v[19:20], v[17:18], v[21:22]
	v_add_f64 v[17:18], v[19:20], -v[17:18]
	v_add_f64 v[21:22], v[21:22], -v[17:18]
.LBB7_131:
	s_or_b64 exec, exec, s[0:1]
                                        ; implicit-def: $vgpr8
                                        ; implicit-def: $vgpr15_vgpr16
                                        ; implicit-def: $vgpr17_vgpr18
	s_and_saveexec_b64 s[0:1], s[6:7]
	s_xor_b64 s[6:7], exec, s[0:1]
	s_cbranch_execz .LBB7_133
; %bb.132:
	s_mov_b32 s0, 0
	s_mov_b32 s1, 0x7b000000
	s_movk_i32 s8, 0xff80
	v_ldexp_f64 v[15:16], |v[13:14]|, s8
	v_cmp_ge_f64_e64 vcc, |v[13:14]|, s[0:1]
	v_and_b32_e32 v8, 0x7fffffff, v14
	s_mov_b32 s0, 0
	s_mov_b32 s1, 0x7ff00000
	v_mov_b32_e32 v42, 0
	s_mov_b32 s8, 0x33145c07
	s_mov_b32 s9, 0x3c91a626
	v_cndmask_b32_e32 v16, v8, v16, vcc
	v_cndmask_b32_e32 v15, v13, v15, vcc
	v_mul_f64 v[17:18], v[27:28], v[15:16]
	v_mul_f64 v[29:30], v[25:26], v[15:16]
	;; [unrolled: 1-line block ×3, first 2 shown]
	v_mov_b32_e32 v8, 0x40100000
	v_fma_f64 v[27:28], v[27:28], v[15:16], -v[17:18]
	v_fma_f64 v[25:26], v[25:26], v[15:16], -v[29:30]
	;; [unrolled: 1-line block ×3, first 2 shown]
	v_add_f64 v[31:32], v[29:30], v[27:28]
	v_add_f64 v[34:35], v[31:32], -v[29:30]
	v_add_f64 v[40:41], v[17:18], v[31:32]
	v_add_f64 v[36:37], v[31:32], -v[34:35]
	v_add_f64 v[27:28], v[27:28], -v[34:35]
	v_add_f64 v[34:35], v[38:39], v[25:26]
	v_add_f64 v[17:18], v[40:41], -v[17:18]
	v_add_f64 v[29:30], v[29:30], -v[36:37]
	v_ldexp_f64 v[36:37], v[40:41], -2
	v_add_f64 v[44:45], v[34:35], -v[38:39]
	v_add_f64 v[17:18], v[31:32], -v[17:18]
	v_add_f64 v[27:28], v[27:28], v[29:30]
	v_fract_f64_e32 v[29:30], v[36:37]
	v_cmp_neq_f64_e64 vcc, |v[36:37]|, s[0:1]
	v_add_f64 v[25:26], v[25:26], -v[44:45]
	v_add_f64 v[31:32], v[34:35], v[27:28]
	v_ldexp_f64 v[29:30], v[29:30], 2
	v_add_f64 v[36:37], v[17:18], v[31:32]
	v_cndmask_b32_e32 v30, 0, v30, vcc
	v_cndmask_b32_e32 v29, 0, v29, vcc
	v_add_f64 v[46:47], v[31:32], -v[34:35]
	v_add_f64 v[40:41], v[36:37], v[29:30]
	v_add_f64 v[17:18], v[36:37], -v[17:18]
	v_add_f64 v[48:49], v[31:32], -v[46:47]
	v_add_f64 v[27:28], v[27:28], -v[46:47]
	v_cmp_gt_f64_e32 vcc, 0, v[40:41]
	v_add_f64 v[40:41], v[34:35], -v[44:45]
	v_add_f64 v[17:18], v[31:32], -v[17:18]
	;; [unrolled: 1-line block ×3, first 2 shown]
	v_cndmask_b32_e32 v43, 0, v8, vcc
	v_add_f64 v[29:30], v[29:30], v[42:43]
	v_add_f64 v[40:41], v[38:39], -v[40:41]
	v_add_f64 v[27:28], v[27:28], v[34:35]
	v_add_f64 v[50:51], v[36:37], v[29:30]
	v_add_f64 v[25:26], v[25:26], v[40:41]
	v_cvt_i32_f64_e32 v8, v[50:51]
	v_add_f64 v[23:24], v[25:26], v[27:28]
	v_cvt_f64_i32_e32 v[43:44], v8
	v_add_f64 v[29:30], v[29:30], -v[43:44]
	v_add_f64 v[15:16], v[15:16], v[23:24]
	v_add_f64 v[25:26], v[36:37], v[29:30]
	;; [unrolled: 1-line block ×3, first 2 shown]
	v_add_f64 v[23:24], v[25:26], -v[29:30]
	v_cmp_le_f64_e32 vcc, 0.5, v[25:26]
	v_add_f64 v[17:18], v[36:37], -v[23:24]
	v_mov_b32_e32 v23, 0x3ff00000
	v_cndmask_b32_e32 v43, 0, v23, vcc
	v_addc_co_u32_e64 v8, s[0:1], 0, v8, vcc
	s_mov_b32 s0, 0x54442d18
	s_mov_b32 s1, 0x3ff921fb
	v_add_f64 v[15:16], v[15:16], v[17:18]
	v_add_f64 v[17:18], v[25:26], -v[42:43]
	v_add_f64 v[23:24], v[17:18], v[15:16]
	v_mul_f64 v[25:26], v[23:24], s[0:1]
	v_add_f64 v[17:18], v[23:24], -v[17:18]
	v_fma_f64 v[27:28], v[23:24], s[0:1], -v[25:26]
	v_add_f64 v[15:16], v[15:16], -v[17:18]
	v_fma_f64 v[17:18], v[23:24], s[8:9], v[27:28]
	v_fma_f64 v[17:18], v[15:16], s[0:1], v[17:18]
	v_add_f64 v[15:16], v[25:26], v[17:18]
	v_add_f64 v[23:24], v[15:16], -v[25:26]
	v_add_f64 v[17:18], v[17:18], -v[23:24]
	s_andn2_saveexec_b64 s[0:1], s[6:7]
	s_cbranch_execnz .LBB7_134
	s_branch .LBB7_135
.LBB7_133:
	s_andn2_saveexec_b64 s[0:1], s[6:7]
	s_cbranch_execz .LBB7_135
.LBB7_134:
	s_mov_b32 s6, 0x6dc9c883
	s_mov_b32 s7, 0x3fe45f30
	v_mul_f64 v[15:16], |v[13:14]|, s[6:7]
	s_mov_b32 s6, 0x54442d18
	s_mov_b32 s7, 0xbff921fb
	;; [unrolled: 1-line block ×4, first 2 shown]
	v_rndne_f64_e32 v[23:24], v[15:16]
	v_fma_f64 v[15:16], v[23:24], s[6:7], |v[13:14]|
	v_mul_f64 v[17:18], v[23:24], s[8:9]
	s_mov_b32 s6, 0x252049c0
	s_mov_b32 s7, 0xb97b839a
	v_cvt_i32_f64_e32 v8, v[23:24]
	v_fma_f64 v[29:30], v[23:24], s[8:9], v[15:16]
	v_add_f64 v[25:26], v[15:16], v[17:18]
	s_mov_b32 s9, 0x3c91a626
	v_add_f64 v[27:28], v[15:16], -v[25:26]
	v_add_f64 v[25:26], v[25:26], -v[29:30]
	v_add_f64 v[15:16], v[27:28], v[17:18]
	v_fma_f64 v[17:18], v[23:24], s[8:9], v[17:18]
	v_add_f64 v[15:16], v[25:26], v[15:16]
	v_add_f64 v[15:16], v[15:16], -v[17:18]
	v_fma_f64 v[17:18], v[23:24], s[6:7], v[15:16]
	v_add_f64 v[15:16], v[29:30], v[17:18]
	v_add_f64 v[25:26], v[15:16], -v[29:30]
	v_add_f64 v[17:18], v[17:18], -v[25:26]
.LBB7_135:
	s_or_b64 exec, exec, s[0:1]
	v_mul_f64 v[23:24], v[4:5], v[4:5]
	s_mov_b32 s0, 0
	s_mov_b32 s1, 0x40390000
	s_mov_b32 s8, 0xa17f65f6
	s_mov_b32 s9, 0xbe927e4f
	s_mov_b32 s10, 0x19f4ec90
	s_mov_b32 s11, 0x3efa01a0
	s_mov_b32 s12, 0x16c16967
	v_div_scale_f64 v[25:26], s[6:7], v[23:24], v[23:24], s[0:1]
	s_mov_b32 s6, 0x46cc5e42
	s_mov_b32 s7, 0xbda907db
	;; [unrolled: 1-line block ×13, first 2 shown]
	v_mul_f64 v[42:43], v[21:22], 0.5
	v_rcp_f64_e32 v[27:28], v[25:26]
	s_mov_b32 s25, 0xbfc55555
	s_mov_b32 s24, s14
	;; [unrolled: 1-line block ×4, first 2 shown]
	v_fma_f64 v[29:30], -v[25:26], v[27:28], 1.0
	v_fma_f64 v[27:28], v[27:28], v[29:30], v[27:28]
	v_fma_f64 v[29:30], -v[25:26], v[27:28], 1.0
	v_fma_f64 v[27:28], v[27:28], v[29:30], v[27:28]
	v_div_scale_f64 v[29:30], vcc, s[0:1], v[23:24], s[0:1]
	v_mul_f64 v[31:32], v[29:30], v[27:28]
	v_fma_f64 v[25:26], -v[25:26], v[31:32], v[29:30]
	s_nop 1
	v_div_fmas_f64 v[25:26], v[25:26], v[27:28], v[31:32]
	v_mov_b32_e32 v31, 0x413c25ac
	v_mov_b32_e32 v32, 0x40501457
	v_div_fixup_f64 v[25:26], v[25:26], v[23:24], s[0:1]
	v_mov_b32_e32 v23, 0x983b6b27
	v_mov_b32_e32 v24, 0x3f4a1d30
	s_mov_b32 s0, 0xb35dd1cf
	s_mov_b32 s1, 0x3fb534b0
	v_fma_f64 v[23:24], v[25:26], 0, v[23:24]
	v_fma_f64 v[31:32], v[25:26], 0, v[31:32]
	;; [unrolled: 1-line block ×3, first 2 shown]
	s_mov_b32 s0, 0x4e680b98
	s_mov_b32 s1, 0x3ff3d521
	v_fma_f64 v[23:24], v[25:26], v[23:24], s[0:1]
	s_mov_b32 s0, 0xe97a0956
	s_mov_b32 s1, 0x4015c9fb
	v_fma_f64 v[23:24], v[25:26], v[23:24], s[0:1]
	;; [unrolled: 3-line block ×4, first 2 shown]
	v_mov_b32_e32 v23, 0xce039737
	v_mov_b32_e32 v24, 0x3f4e4a80
	v_fma_f64 v[23:24], v[25:26], 0, v[23:24]
	s_mov_b32 s0, 0xab5454e3
	s_mov_b32 s1, 0x3fb5ebc5
	v_fma_f64 v[23:24], v[25:26], v[23:24], s[0:1]
	s_mov_b32 s0, 0xc9b3069f
	s_mov_b32 s1, 0x3ff40e72
	;; [unrolled: 3-line block ×6, first 2 shown]
	v_fma_f64 v[29:30], v[25:26], v[23:24], 1.0
	v_mov_b32_e32 v23, 0x38a5384a
	v_mov_b32_e32 v24, 0xbf874742
	v_fma_f64 v[23:24], v[25:26], 0, v[23:24]
	v_fma_f64 v[23:24], v[25:26], v[23:24], s[0:1]
	s_mov_b32 s0, 0xf50e2c0c
	s_mov_b32 s1, 0xc0338dcf
	v_fma_f64 v[23:24], v[25:26], v[23:24], s[0:1]
	s_mov_b32 s0, 0x5a6de8c4
	s_mov_b32 s1, 0xc0574d2f
	;; [unrolled: 3-line block ×12, first 2 shown]
	v_fma_f64 v[31:32], v[25:26], v[31:32], s[0:1]
	v_fma_f64 v[25:26], v[25:26], v[27:28], 1.0
	v_div_scale_f64 v[27:28], s[0:1], v[29:30], v[29:30], v[25:26]
	s_mov_b32 s0, 0x9037ab78
	s_mov_b32 s1, 0x3e21eeb6
	v_rcp_f64_e32 v[34:35], v[27:28]
	v_fma_f64 v[36:37], -v[27:28], v[34:35], 1.0
	v_fma_f64 v[34:35], v[34:35], v[36:37], v[34:35]
	v_fma_f64 v[36:37], -v[27:28], v[34:35], 1.0
	v_fma_f64 v[34:35], v[34:35], v[36:37], v[34:35]
	v_div_scale_f64 v[36:37], vcc, v[25:26], v[29:30], v[25:26]
	v_mul_f64 v[38:39], v[36:37], v[34:35]
	v_fma_f64 v[27:28], -v[27:28], v[38:39], v[36:37]
	s_nop 1
	v_div_fmas_f64 v[27:28], v[27:28], v[34:35], v[38:39]
	v_mul_f64 v[34:35], v[19:20], v[19:20]
	v_mul_f64 v[38:39], v[34:35], v[34:35]
	v_div_fixup_f64 v[25:26], v[27:28], v[29:30], v[25:26]
	v_mul_f64 v[27:28], v[34:35], 0.5
	v_add_f64 v[29:30], -v[27:28], 1.0
	v_add_f64 v[36:37], -v[29:30], 1.0
	v_add_f64 v[36:37], v[36:37], -v[27:28]
	v_mov_b32_e32 v28, s1
	v_mov_b32_e32 v27, s0
	v_fma_f64 v[40:41], v[34:35], s[6:7], v[27:28]
	s_mov_b32 s0, 0xb42fdfa7
	s_mov_b32 s1, 0xbe5ae600
	v_fma_f64 v[36:37], v[19:20], -v[21:22], v[36:37]
	v_fma_f64 v[40:41], v[34:35], v[40:41], s[8:9]
	v_fma_f64 v[40:41], v[34:35], v[40:41], s[10:11]
	;; [unrolled: 1-line block ×5, first 2 shown]
	v_mul_f64 v[40:41], v[19:20], -v[34:35]
	v_add_f64 v[36:37], v[29:30], v[36:37]
	v_mov_b32_e32 v30, s1
	v_mov_b32_e32 v29, s0
	v_fma_f64 v[38:39], v[34:35], s[16:17], v[29:30]
	s_movk_i32 s0, 0x1f8
	v_cmp_class_f64_e64 s[0:1], v[13:14], s0
	v_mov_b32_e32 v13, 0x7ff80000
	v_fma_f64 v[38:39], v[34:35], v[38:39], s[18:19]
	v_fma_f64 v[38:39], v[34:35], v[38:39], s[20:21]
	v_fma_f64 v[38:39], v[34:35], v[38:39], s[22:23]
	v_fma_f64 v[38:39], v[40:41], v[38:39], v[42:43]
	v_fma_f64 v[21:22], v[34:35], v[38:39], -v[21:22]
	v_fma_f64 v[21:22], v[40:41], s[24:25], v[21:22]
	v_add_f64 v[19:20], v[19:20], -v[21:22]
	v_and_b32_e32 v21, 1, v33
	v_cmp_eq_u32_e32 vcc, 0, v21
	v_lshlrev_b32_e32 v21, 30, v33
	v_and_b32_e32 v21, 0x80000000, v21
	v_xor_b32_e32 v20, 0x80000000, v20
	v_cndmask_b32_e32 v20, v20, v37, vcc
	v_xor_b32_e32 v20, v20, v21
	v_div_scale_f64 v[21:22], s[28:29], v[4:5], v[4:5], s[26:27]
	v_cndmask_b32_e32 v19, v19, v36, vcc
	v_cndmask_b32_e64 v20, v13, v20, s[0:1]
	v_cndmask_b32_e64 v19, 0, v19, s[0:1]
	v_rcp_f64_e32 v[33:34], v[21:22]
	v_fma_f64 v[35:36], -v[21:22], v[33:34], 1.0
	v_fma_f64 v[33:34], v[33:34], v[35:36], v[33:34]
	v_fma_f64 v[35:36], -v[21:22], v[33:34], 1.0
	v_fma_f64 v[33:34], v[33:34], v[35:36], v[33:34]
	v_div_scale_f64 v[35:36], vcc, s[26:27], v[4:5], s[26:27]
	v_mul_f64 v[37:38], v[35:36], v[33:34]
	v_fma_f64 v[21:22], -v[21:22], v[37:38], v[35:36]
	s_nop 1
	v_div_fmas_f64 v[21:22], v[21:22], v[33:34], v[37:38]
	v_div_fixup_f64 v[21:22], v[21:22], v[4:5], s[26:27]
	v_div_scale_f64 v[33:34], s[26:27], v[31:32], v[31:32], v[23:24]
	v_rcp_f64_e32 v[35:36], v[33:34]
	v_fma_f64 v[37:38], -v[33:34], v[35:36], 1.0
	v_fma_f64 v[35:36], v[35:36], v[37:38], v[35:36]
	v_fma_f64 v[37:38], -v[33:34], v[35:36], 1.0
	v_fma_f64 v[35:36], v[35:36], v[37:38], v[35:36]
	v_div_scale_f64 v[37:38], vcc, v[23:24], v[31:32], v[23:24]
	v_mul_f64 v[39:40], v[37:38], v[35:36]
	v_fma_f64 v[33:34], -v[33:34], v[39:40], v[37:38]
	s_nop 1
	v_div_fmas_f64 v[33:34], v[33:34], v[35:36], v[39:40]
	v_div_fixup_f64 v[23:24], v[33:34], v[31:32], v[23:24]
	v_mul_f64 v[21:22], v[21:22], v[23:24]
	v_mul_f64 v[23:24], v[15:16], v[15:16]
	v_mul_f64 v[31:32], v[23:24], 0.5
	v_fma_f64 v[27:28], v[23:24], s[6:7], v[27:28]
	v_fma_f64 v[29:30], v[23:24], s[16:17], v[29:30]
	v_add_f64 v[33:34], -v[31:32], 1.0
	v_fma_f64 v[27:28], v[23:24], v[27:28], s[8:9]
	v_fma_f64 v[29:30], v[23:24], v[29:30], s[18:19]
	v_add_f64 v[35:36], -v[33:34], 1.0
	v_fma_f64 v[27:28], v[23:24], v[27:28], s[10:11]
	v_fma_f64 v[29:30], v[23:24], v[29:30], s[20:21]
	v_add_f64 v[31:32], v[35:36], -v[31:32]
	v_fma_f64 v[27:28], v[23:24], v[27:28], s[12:13]
	v_mul_f64 v[35:36], v[23:24], v[23:24]
	v_fma_f64 v[29:30], v[23:24], v[29:30], s[22:23]
	v_fma_f64 v[31:32], v[15:16], -v[17:18], v[31:32]
	v_fma_f64 v[27:28], v[23:24], v[27:28], s[14:15]
	v_fma_f64 v[27:28], v[35:36], v[27:28], v[31:32]
	v_mul_f64 v[31:32], v[15:16], -v[23:24]
	v_add_f64 v[27:28], v[33:34], v[27:28]
	v_mul_f64 v[33:34], v[17:18], 0.5
	v_fma_f64 v[29:30], v[31:32], v[29:30], v[33:34]
	v_fma_f64 v[17:18], v[23:24], v[29:30], -v[17:18]
	v_fma_f64 v[17:18], v[31:32], s[24:25], v[17:18]
	v_add_f64 v[15:16], v[15:16], -v[17:18]
	v_and_b32_e32 v17, 1, v8
	v_lshlrev_b32_e32 v8, 30, v8
	v_cmp_eq_u32_e32 vcc, 0, v17
	v_xor_b32_e32 v8, v8, v14
	v_and_b32_e32 v8, 0x80000000, v8
	v_cndmask_b32_e32 v16, v28, v16, vcc
	v_cndmask_b32_e32 v15, v27, v15, vcc
	v_xor_b32_e32 v8, v16, v8
	v_cndmask_b32_e64 v14, 0, v15, s[0:1]
	v_cndmask_b32_e64 v15, v13, v8, s[0:1]
	v_mul_f64 v[13:14], v[21:22], v[14:15]
	s_mov_b32 s0, 0x33d43651
	s_mov_b32 s1, 0x3fe98845
	v_mov_b32_e32 v8, 0x100
	v_fma_f64 v[13:14], v[25:26], v[19:20], v[13:14]
	v_mul_f64 v[13:14], v[13:14], s[0:1]
	s_mov_b32 s0, 0
	s_brev_b32 s1, 8
	v_cmp_gt_f64_e32 vcc, s[0:1], v[4:5]
	v_cndmask_b32_e32 v8, 0, v8, vcc
	v_ldexp_f64 v[4:5], v[4:5], v8
	v_mov_b32_e32 v8, 0xffffff80
	v_cndmask_b32_e32 v8, 0, v8, vcc
	v_rsq_f64_e32 v[15:16], v[4:5]
	v_mul_f64 v[17:18], v[4:5], v[15:16]
	v_mul_f64 v[15:16], v[15:16], 0.5
	v_fma_f64 v[19:20], -v[15:16], v[17:18], 0.5
	v_fma_f64 v[17:18], v[17:18], v[19:20], v[17:18]
	v_fma_f64 v[15:16], v[15:16], v[19:20], v[15:16]
	v_fma_f64 v[21:22], -v[17:18], v[17:18], v[4:5]
	v_fma_f64 v[17:18], v[21:22], v[15:16], v[17:18]
	v_fma_f64 v[19:20], -v[17:18], v[17:18], v[4:5]
	v_fma_f64 v[15:16], v[19:20], v[15:16], v[17:18]
	v_ldexp_f64 v[15:16], v[15:16], v8
	v_mov_b32_e32 v8, 0x260
	v_cmp_class_f64_e32 vcc, v[4:5], v8
	v_cndmask_b32_e32 v5, v16, v5, vcc
	v_cndmask_b32_e32 v4, v15, v4, vcc
	v_div_scale_f64 v[15:16], s[0:1], v[4:5], v[4:5], v[13:14]
	v_rcp_f64_e32 v[17:18], v[15:16]
	v_fma_f64 v[19:20], -v[15:16], v[17:18], 1.0
	v_fma_f64 v[17:18], v[17:18], v[19:20], v[17:18]
	v_fma_f64 v[19:20], -v[15:16], v[17:18], 1.0
	v_fma_f64 v[17:18], v[17:18], v[19:20], v[17:18]
	v_div_scale_f64 v[19:20], vcc, v[13:14], v[4:5], v[13:14]
	v_mul_f64 v[21:22], v[19:20], v[17:18]
	v_fma_f64 v[15:16], -v[15:16], v[21:22], v[19:20]
	s_nop 1
	v_div_fmas_f64 v[15:16], v[15:16], v[17:18], v[21:22]
	v_div_fixup_f64 v[13:14], v[15:16], v[4:5], v[13:14]
.LBB7_136:
	s_or_b64 exec, exec, s[2:3]
	global_store_dwordx2 v0, v[6:7], s[4:5]
	global_store_dwordx2 v1, v[9:10], s[4:5]
	;; [unrolled: 1-line block ×4, first 2 shown]
	s_endpgm
.LBB7_137:
	v_mov_b32_e32 v0, 0
	v_mov_b32_e32 v2, 0
	s_branch .LBB7_143
.LBB7_138:
	v_mov_b32_e32 v0, 0
	v_mov_b32_e32 v2, 0
	s_branch .LBB7_175
.LBB7_139:
	s_mov_b32 s54, 0
	v_mov_b32_e32 v0, 0
	v_mov_b32_e32 v2, 0
	;; [unrolled: 1-line block ×3, first 2 shown]
.LBB7_140:
	s_and_b32 s4, s55, 3
	s_cmp_eq_u32 s4, 0
	s_cbranch_scc1 .LBB7_143
; %bb.141:
	s_lshl_b32 s0, s54, 3
	s_add_u32 s0, s34, s0
	s_addc_u32 s1, s35, 0
	s_add_u32 s0, s0, 0xc4
	s_addc_u32 s1, s1, 0
	s_mul_i32 s2, s54, 12
	s_add_u32 s2, s34, s2
	s_addc_u32 s3, s35, 0
.LBB7_142:                              ; =>This Inner Loop Header: Depth=1
	s_load_dwordx2 s[6:7], s[2:3], 0x4
	s_load_dword s5, s[2:3], 0xc
	s_load_dwordx2 s[8:9], s[0:1], 0x0
	s_add_u32 s2, s2, 12
	s_addc_u32 s3, s3, 0
	s_waitcnt lgkmcnt(0)
	v_mul_hi_u32 v3, s7, v1
	s_add_u32 s0, s0, 8
	s_addc_u32 s1, s1, 0
	s_add_i32 s4, s4, -1
	v_add_u32_e32 v3, v1, v3
	v_lshrrev_b32_e32 v4, s5, v3
	v_mul_lo_u32 v3, v4, s6
	s_cmp_lg_u32 s4, 0
	v_sub_u32_e32 v3, v1, v3
	v_mad_u64_u32 v[0:1], s[6:7], v3, s8, v[0:1]
	v_mad_u64_u32 v[2:3], s[6:7], v3, s9, v[2:3]
	v_mov_b32_e32 v1, v4
	s_cbranch_scc1 .LBB7_142
.LBB7_143:
	s_cbranch_execnz .LBB7_146
.LBB7_144:
	s_waitcnt lgkmcnt(0)
	v_mul_hi_u32 v0, s25, v27
	s_andn2_b64 vcc, exec, s[42:43]
	v_add_u32_e32 v0, v27, v0
	v_lshrrev_b32_e32 v1, s26, v0
	v_mul_lo_u32 v0, v1, s24
	v_sub_u32_e32 v2, v27, v0
	v_mul_lo_u32 v0, v2, s20
	v_mul_lo_u32 v2, v2, s21
	s_cbranch_vccnz .LBB7_146
; %bb.145:
	v_mul_hi_u32 v3, s40, v1
	v_add_u32_e32 v3, v1, v3
	v_lshrrev_b32_e32 v3, s41, v3
	v_mul_lo_u32 v3, v3, s27
	v_sub_u32_e32 v3, v1, v3
	v_mad_u64_u32 v[0:1], s[0:1], v3, s22, v[0:1]
	v_mad_u64_u32 v[2:3], s[0:1], v3, s23, v[2:3]
.LBB7_146:
	s_waitcnt lgkmcnt(0)
	global_load_dwordx2 v[1:2], v2, s[18:19]
	s_mov_b32 s0, 0
	s_mov_b32 s1, 0x40140000
	s_waitcnt vmcnt(0)
	v_cmp_gt_f64_e32 vcc, 0, v[1:2]
	v_xor_b32_e32 v3, 0x80000000, v2
	v_cndmask_b32_e32 v2, v2, v3, vcc
	v_cmp_ge_f64_e32 vcc, s[0:1], v[1:2]
	v_mul_f64 v[9:10], v[1:2], v[1:2]
                                        ; implicit-def: $vgpr3_vgpr4
	s_and_saveexec_b64 s[0:1], vcc
	s_xor_b64 s[0:1], exec, s[0:1]
	s_cbranch_execz .LBB7_152
; %bb.147:
	s_mov_b32 s2, 0x88e368f1
	s_mov_b32 s3, 0x3ee4f8b5
	v_cmp_ngt_f64_e32 vcc, s[2:3], v[1:2]
                                        ; implicit-def: $vgpr3_vgpr4
	s_and_saveexec_b64 s[2:3], vcc
	s_xor_b64 s[2:3], exec, s[2:3]
	s_cbranch_execz .LBB7_149
; %bb.148:
	v_mov_b32_e32 v1, 0xa696b78c
	v_mov_b32_e32 v2, 0x407f3902
	v_fma_f64 v[1:2], v[9:10], 0, v[1:2]
	s_mov_b32 s4, 0x36a21a67
	s_mov_b32 s5, 0x410536cb
	;; [unrolled: 1-line block ×3, first 2 shown]
	v_mov_b32_e32 v3, 0xad1c8325
	v_mov_b32_e32 v4, 0xc1f1dc53
	s_mov_b32 s7, 0x4204d5b0
	v_fma_f64 v[3:4], v[9:10], 0, v[3:4]
	v_fma_f64 v[1:2], v[9:10], v[1:2], s[4:5]
	s_mov_b32 s4, 0x2eac0634
	s_mov_b32 s5, 0x41871934
	;; [unrolled: 1-line block ×6, first 2 shown]
	v_fma_f64 v[1:2], v[9:10], v[1:2], s[4:5]
	s_mov_b32 s4, 0xc772990d
	s_mov_b32 s5, 0x427c7751
	v_fma_f64 v[3:4], v[9:10], v[3:4], s[4:5]
	s_mov_b32 s4, 0x80462bbb
	s_mov_b32 s5, 0xc01721fb
	v_add_f64 v[5:6], v[9:10], s[4:5]
	s_mov_b32 s4, 0x7e7b2e9c
	v_fma_f64 v[1:2], v[9:10], v[1:2], s[6:7]
	s_mov_b32 s6, 0xe0d900f7
	s_mov_b32 s7, 0xc2ec5614
	v_fma_f64 v[3:4], v[9:10], v[3:4], s[6:7]
	s_mov_b32 s6, 0x69ff5fb4
	s_mov_b32 s5, 0x435c4141
	;; [unrolled: 1-line block ×3, first 2 shown]
	v_fma_f64 v[1:2], v[9:10], v[1:2], s[8:9]
	s_mov_b32 s8, 0xa621dd6f
	s_mov_b32 s9, 0xc03e78a4
	v_add_f64 v[7:8], v[9:10], s[8:9]
	v_fma_f64 v[3:4], v[9:10], v[3:4], s[6:7]
	v_fma_f64 v[1:2], v[9:10], v[1:2], s[10:11]
	v_mul_f64 v[5:6], v[5:6], v[7:8]
	v_fma_f64 v[1:2], v[9:10], v[1:2], s[4:5]
	s_mov_b32 s4, 0xc7b662cc
	s_mov_b32 s5, 0x43b7be34
	v_mul_f64 v[3:4], v[5:6], v[3:4]
	v_fma_f64 v[1:2], v[9:10], v[1:2], s[4:5]
	v_div_scale_f64 v[5:6], s[4:5], v[1:2], v[1:2], v[3:4]
	v_div_scale_f64 v[11:12], vcc, v[3:4], v[1:2], v[3:4]
	v_rcp_f64_e32 v[7:8], v[5:6]
	v_fma_f64 v[9:10], -v[5:6], v[7:8], 1.0
	v_fma_f64 v[7:8], v[7:8], v[9:10], v[7:8]
	v_fma_f64 v[9:10], -v[5:6], v[7:8], 1.0
	v_fma_f64 v[7:8], v[7:8], v[9:10], v[7:8]
	v_mul_f64 v[9:10], v[11:12], v[7:8]
	v_fma_f64 v[5:6], -v[5:6], v[9:10], v[11:12]
	v_div_fmas_f64 v[5:6], v[5:6], v[7:8], v[9:10]
                                        ; implicit-def: $vgpr9_vgpr10
	v_div_fixup_f64 v[3:4], v[5:6], v[1:2], v[3:4]
.LBB7_149:
	s_andn2_saveexec_b64 s[2:3], s[2:3]
	s_cbranch_execz .LBB7_151
; %bb.150:
	s_mov_b32 s4, 0
	s_mov_b32 s5, 0xbfd00000
	v_fma_f64 v[3:4], v[9:10], s[4:5], 1.0
.LBB7_151:
	s_or_b64 exec, exec, s[2:3]
                                        ; implicit-def: $vgpr9_vgpr10
                                        ; implicit-def: $vgpr1_vgpr2
.LBB7_152:
	s_andn2_saveexec_b64 s[6:7], s[0:1]
	s_cbranch_execz .LBB7_162
; %bb.153:
	s_mov_b32 s5, 0xbfe921fb
	s_mov_b32 s4, 0x54442d18
	v_add_f64 v[3:4], v[1:2], s[4:5]
	s_mov_b32 s0, 0
	s_mov_b32 s1, 0x41d00000
                                        ; implicit-def: $vgpr28
                                        ; implicit-def: $vgpr5_vgpr6
                                        ; implicit-def: $vgpr7_vgpr8
	v_cmp_nlt_f64_e64 s[2:3], |v[3:4]|, s[0:1]
	s_and_saveexec_b64 s[0:1], s[2:3]
	s_xor_b64 s[8:9], exec, s[0:1]
	s_cbranch_execz .LBB7_155
; %bb.154:
	v_trig_preop_f64 v[5:6], |v[3:4]|, 0
	s_mov_b32 s0, 0
	s_mov_b32 s1, 0x7b000000
	s_movk_i32 s5, 0xff80
	v_ldexp_f64 v[11:12], |v[3:4]|, s5
	v_cmp_ge_f64_e64 vcc, |v[3:4]|, s[0:1]
	v_trig_preop_f64 v[7:8], |v[3:4]|, 1
	v_and_b32_e32 v13, 0x7fffffff, v4
	v_trig_preop_f64 v[19:20], |v[3:4]|, 2
	s_mov_b32 s0, 0
	s_mov_b32 s1, 0x7ff00000
	v_mov_b32_e32 v31, 0x40100000
	v_mov_b32_e32 v30, 0
	v_cndmask_b32_e32 v12, v13, v12, vcc
	v_cndmask_b32_e32 v11, v3, v11, vcc
	s_mov_b32 s5, 0x3ff921fb
	v_mul_f64 v[13:14], v[5:6], v[11:12]
	v_mul_f64 v[15:16], v[7:8], v[11:12]
	;; [unrolled: 1-line block ×3, first 2 shown]
	v_fma_f64 v[5:6], v[5:6], v[11:12], -v[13:14]
	v_fma_f64 v[7:8], v[7:8], v[11:12], -v[15:16]
	;; [unrolled: 1-line block ×3, first 2 shown]
	v_add_f64 v[17:18], v[15:16], v[5:6]
	v_add_f64 v[21:22], v[17:18], -v[15:16]
	v_add_f64 v[28:29], v[13:14], v[17:18]
	v_add_f64 v[23:24], v[17:18], -v[21:22]
	v_add_f64 v[5:6], v[5:6], -v[21:22]
	v_add_f64 v[21:22], v[25:26], v[7:8]
	v_add_f64 v[13:14], v[28:29], -v[13:14]
	v_add_f64 v[15:16], v[15:16], -v[23:24]
	v_ldexp_f64 v[23:24], v[28:29], -2
	v_add_f64 v[32:33], v[21:22], -v[25:26]
	v_add_f64 v[13:14], v[17:18], -v[13:14]
	v_add_f64 v[5:6], v[5:6], v[15:16]
	v_fract_f64_e32 v[15:16], v[23:24]
	v_cmp_neq_f64_e64 vcc, |v[23:24]|, s[0:1]
	v_add_f64 v[7:8], v[7:8], -v[32:33]
	v_add_f64 v[17:18], v[21:22], v[5:6]
	v_ldexp_f64 v[15:16], v[15:16], 2
	v_add_f64 v[23:24], v[13:14], v[17:18]
	v_cndmask_b32_e32 v16, 0, v16, vcc
	v_cndmask_b32_e32 v15, 0, v15, vcc
	v_add_f64 v[34:35], v[17:18], -v[21:22]
	v_add_f64 v[28:29], v[23:24], v[15:16]
	v_add_f64 v[13:14], v[23:24], -v[13:14]
	v_add_f64 v[36:37], v[17:18], -v[34:35]
	;; [unrolled: 1-line block ×3, first 2 shown]
	v_cmp_gt_f64_e32 vcc, 0, v[28:29]
	v_add_f64 v[28:29], v[21:22], -v[32:33]
	v_add_f64 v[13:14], v[17:18], -v[13:14]
	;; [unrolled: 1-line block ×3, first 2 shown]
	v_cndmask_b32_e32 v31, 0, v31, vcc
	v_add_f64 v[15:16], v[15:16], v[30:31]
	v_add_f64 v[28:29], v[25:26], -v[28:29]
	v_add_f64 v[5:6], v[5:6], v[21:22]
	v_add_f64 v[38:39], v[23:24], v[15:16]
	;; [unrolled: 1-line block ×3, first 2 shown]
	v_cvt_i32_f64_e32 v33, v[38:39]
	v_add_f64 v[5:6], v[7:8], v[5:6]
	v_cvt_f64_i32_e32 v[31:32], v33
	v_add_f64 v[15:16], v[15:16], -v[31:32]
	v_add_f64 v[5:6], v[11:12], v[5:6]
	v_add_f64 v[7:8], v[23:24], v[15:16]
	;; [unrolled: 1-line block ×3, first 2 shown]
	v_mov_b32_e32 v13, 0x3ff00000
	v_add_f64 v[11:12], v[7:8], -v[15:16]
	v_cmp_le_f64_e32 vcc, 0.5, v[7:8]
	v_add_f64 v[11:12], v[23:24], -v[11:12]
	v_cndmask_b32_e32 v31, 0, v13, vcc
	v_add_f64 v[7:8], v[7:8], -v[30:31]
	v_addc_co_u32_e64 v28, s[0:1], 0, v33, vcc
	s_mov_b32 s0, 0x33145c07
	s_mov_b32 s1, 0x3c91a626
	v_add_f64 v[5:6], v[5:6], v[11:12]
	v_add_f64 v[11:12], v[7:8], v[5:6]
	v_mul_f64 v[13:14], v[11:12], s[4:5]
	v_add_f64 v[7:8], v[11:12], -v[7:8]
	v_fma_f64 v[15:16], v[11:12], s[4:5], -v[13:14]
	v_add_f64 v[5:6], v[5:6], -v[7:8]
	v_fma_f64 v[7:8], v[11:12], s[0:1], v[15:16]
	v_fma_f64 v[7:8], v[5:6], s[4:5], v[7:8]
	v_add_f64 v[5:6], v[13:14], v[7:8]
	v_add_f64 v[11:12], v[5:6], -v[13:14]
	v_add_f64 v[7:8], v[7:8], -v[11:12]
	s_andn2_saveexec_b64 s[0:1], s[8:9]
	s_cbranch_execz .LBB7_157
	s_branch .LBB7_156
.LBB7_155:
	s_andn2_saveexec_b64 s[0:1], s[8:9]
	s_cbranch_execz .LBB7_157
.LBB7_156:
	s_mov_b32 s4, 0x6dc9c883
	s_mov_b32 s5, 0x3fe45f30
	v_mul_f64 v[5:6], |v[3:4]|, s[4:5]
	s_mov_b32 s4, 0x54442d18
	s_mov_b32 s5, 0xbff921fb
	;; [unrolled: 1-line block ×4, first 2 shown]
	v_rndne_f64_e32 v[11:12], v[5:6]
	v_fma_f64 v[5:6], v[11:12], s[4:5], |v[3:4]|
	v_mul_f64 v[7:8], v[11:12], s[8:9]
	s_mov_b32 s4, 0x252049c0
	s_mov_b32 s5, 0xb97b839a
	v_cvt_i32_f64_e32 v28, v[11:12]
	v_fma_f64 v[17:18], v[11:12], s[8:9], v[5:6]
	v_add_f64 v[13:14], v[5:6], v[7:8]
	s_mov_b32 s9, 0x3c91a626
	v_add_f64 v[15:16], v[5:6], -v[13:14]
	v_add_f64 v[13:14], v[13:14], -v[17:18]
	v_add_f64 v[5:6], v[15:16], v[7:8]
	v_fma_f64 v[7:8], v[11:12], s[8:9], v[7:8]
	v_add_f64 v[5:6], v[13:14], v[5:6]
	v_add_f64 v[5:6], v[5:6], -v[7:8]
	v_fma_f64 v[7:8], v[11:12], s[4:5], v[5:6]
	v_add_f64 v[5:6], v[17:18], v[7:8]
	v_add_f64 v[13:14], v[5:6], -v[17:18]
	v_add_f64 v[7:8], v[7:8], -v[13:14]
.LBB7_157:
	s_or_b64 exec, exec, s[0:1]
                                        ; implicit-def: $vgpr29
                                        ; implicit-def: $vgpr11_vgpr12
                                        ; implicit-def: $vgpr13_vgpr14
	s_and_saveexec_b64 s[0:1], s[2:3]
	s_xor_b64 s[2:3], exec, s[0:1]
	s_cbranch_execz .LBB7_159
; %bb.158:
	v_trig_preop_f64 v[11:12], |v[3:4]|, 0
	s_mov_b32 s0, 0
	s_mov_b32 s1, 0x7b000000
	s_movk_i32 s4, 0xff80
	v_ldexp_f64 v[15:16], |v[3:4]|, s4
	v_cmp_ge_f64_e64 vcc, |v[3:4]|, s[0:1]
	v_trig_preop_f64 v[13:14], |v[3:4]|, 1
	v_and_b32_e32 v17, 0x7fffffff, v4
	v_trig_preop_f64 v[23:24], |v[3:4]|, 2
	s_mov_b32 s0, 0
	s_mov_b32 s1, 0x7ff00000
	v_mov_b32_e32 v36, 0x40100000
	v_mov_b32_e32 v35, 0
	v_cndmask_b32_e32 v16, v17, v16, vcc
	v_cndmask_b32_e32 v15, v3, v15, vcc
	s_mov_b32 s4, 0x33145c07
	v_mul_f64 v[17:18], v[11:12], v[15:16]
	s_mov_b32 s5, 0x3c91a626
	v_mul_f64 v[19:20], v[13:14], v[15:16]
	v_mul_f64 v[31:32], v[23:24], v[15:16]
	v_fma_f64 v[11:12], v[11:12], v[15:16], -v[17:18]
	v_fma_f64 v[13:14], v[13:14], v[15:16], -v[19:20]
	;; [unrolled: 1-line block ×3, first 2 shown]
	v_add_f64 v[21:22], v[19:20], v[11:12]
	v_add_f64 v[25:26], v[21:22], -v[19:20]
	v_add_f64 v[33:34], v[17:18], v[21:22]
	v_add_f64 v[29:30], v[21:22], -v[25:26]
	v_add_f64 v[11:12], v[11:12], -v[25:26]
	v_add_f64 v[25:26], v[31:32], v[13:14]
	v_add_f64 v[17:18], v[33:34], -v[17:18]
	v_add_f64 v[19:20], v[19:20], -v[29:30]
	v_ldexp_f64 v[29:30], v[33:34], -2
	v_add_f64 v[37:38], v[25:26], -v[31:32]
	v_add_f64 v[17:18], v[21:22], -v[17:18]
	v_add_f64 v[11:12], v[11:12], v[19:20]
	v_fract_f64_e32 v[19:20], v[29:30]
	v_cmp_neq_f64_e64 vcc, |v[29:30]|, s[0:1]
	v_add_f64 v[13:14], v[13:14], -v[37:38]
	v_add_f64 v[21:22], v[25:26], v[11:12]
	v_ldexp_f64 v[19:20], v[19:20], 2
	v_add_f64 v[29:30], v[17:18], v[21:22]
	v_cndmask_b32_e32 v20, 0, v20, vcc
	v_cndmask_b32_e32 v19, 0, v19, vcc
	v_add_f64 v[39:40], v[21:22], -v[25:26]
	v_add_f64 v[33:34], v[29:30], v[19:20]
	v_add_f64 v[17:18], v[29:30], -v[17:18]
	v_add_f64 v[41:42], v[21:22], -v[39:40]
	;; [unrolled: 1-line block ×3, first 2 shown]
	v_cmp_gt_f64_e32 vcc, 0, v[33:34]
	v_add_f64 v[33:34], v[25:26], -v[37:38]
	v_add_f64 v[17:18], v[21:22], -v[17:18]
	v_add_f64 v[25:26], v[25:26], -v[41:42]
	v_cndmask_b32_e32 v36, 0, v36, vcc
	v_add_f64 v[19:20], v[19:20], v[35:36]
	v_add_f64 v[33:34], v[31:32], -v[33:34]
	v_add_f64 v[11:12], v[11:12], v[25:26]
	v_add_f64 v[43:44], v[29:30], v[19:20]
	;; [unrolled: 1-line block ×3, first 2 shown]
	v_cvt_i32_f64_e32 v38, v[43:44]
	v_add_f64 v[11:12], v[13:14], v[11:12]
	v_cvt_f64_i32_e32 v[36:37], v38
	v_add_f64 v[19:20], v[19:20], -v[36:37]
	v_add_f64 v[11:12], v[15:16], v[11:12]
	v_add_f64 v[13:14], v[29:30], v[19:20]
	;; [unrolled: 1-line block ×3, first 2 shown]
	v_mov_b32_e32 v17, 0x3ff00000
	v_add_f64 v[15:16], v[13:14], -v[19:20]
	v_cmp_le_f64_e32 vcc, 0.5, v[13:14]
	v_add_f64 v[15:16], v[29:30], -v[15:16]
	v_cndmask_b32_e32 v36, 0, v17, vcc
	v_add_f64 v[13:14], v[13:14], -v[35:36]
	v_addc_co_u32_e64 v29, s[0:1], 0, v38, vcc
	s_mov_b32 s0, 0x54442d18
	s_mov_b32 s1, 0x3ff921fb
	v_add_f64 v[11:12], v[11:12], v[15:16]
	v_add_f64 v[15:16], v[13:14], v[11:12]
	v_mul_f64 v[17:18], v[15:16], s[0:1]
	v_add_f64 v[13:14], v[15:16], -v[13:14]
	v_fma_f64 v[19:20], v[15:16], s[0:1], -v[17:18]
	v_add_f64 v[11:12], v[11:12], -v[13:14]
	v_fma_f64 v[13:14], v[15:16], s[4:5], v[19:20]
	v_fma_f64 v[13:14], v[11:12], s[0:1], v[13:14]
	v_add_f64 v[11:12], v[17:18], v[13:14]
	v_add_f64 v[15:16], v[11:12], -v[17:18]
	v_add_f64 v[13:14], v[13:14], -v[15:16]
	s_andn2_saveexec_b64 s[0:1], s[2:3]
	s_cbranch_execnz .LBB7_160
	s_branch .LBB7_161
.LBB7_159:
	s_andn2_saveexec_b64 s[0:1], s[2:3]
	s_cbranch_execz .LBB7_161
.LBB7_160:
	s_mov_b32 s2, 0x6dc9c883
	s_mov_b32 s3, 0x3fe45f30
	v_mul_f64 v[11:12], |v[3:4]|, s[2:3]
	s_mov_b32 s2, 0x54442d18
	s_mov_b32 s3, 0xbff921fb
	;; [unrolled: 1-line block ×4, first 2 shown]
	v_rndne_f64_e32 v[15:16], v[11:12]
	v_fma_f64 v[11:12], v[15:16], s[2:3], |v[3:4]|
	v_mul_f64 v[13:14], v[15:16], s[4:5]
	s_mov_b32 s2, 0x252049c0
	s_mov_b32 s3, 0xb97b839a
	v_cvt_i32_f64_e32 v29, v[15:16]
	v_fma_f64 v[21:22], v[15:16], s[4:5], v[11:12]
	v_add_f64 v[17:18], v[11:12], v[13:14]
	s_mov_b32 s5, 0x3c91a626
	v_add_f64 v[19:20], v[11:12], -v[17:18]
	v_add_f64 v[17:18], v[17:18], -v[21:22]
	v_add_f64 v[11:12], v[19:20], v[13:14]
	v_fma_f64 v[13:14], v[15:16], s[4:5], v[13:14]
	v_add_f64 v[11:12], v[17:18], v[11:12]
	v_add_f64 v[11:12], v[11:12], -v[13:14]
	v_fma_f64 v[13:14], v[15:16], s[2:3], v[11:12]
	v_add_f64 v[11:12], v[21:22], v[13:14]
	v_add_f64 v[17:18], v[11:12], -v[21:22]
	v_add_f64 v[13:14], v[13:14], -v[17:18]
.LBB7_161:
	s_or_b64 exec, exec, s[0:1]
	s_mov_b32 s10, 0
	s_mov_b32 s11, 0x40390000
	v_div_scale_f64 v[15:16], s[0:1], v[9:10], v[9:10], s[10:11]
	s_mov_b32 s12, 0xb35dd1cf
	s_mov_b32 s14, 0xab5454e3
	;; [unrolled: 1-line block ×14, first 2 shown]
	v_rcp_f64_e32 v[17:18], v[15:16]
	s_mov_b32 s0, 0xa59425a1
	s_mov_b32 s50, 0xed423a19
	s_mov_b32 s1, 0x40153684
	s_mov_b32 s51, 0x40153965
	s_mov_b32 s62, 0
	s_mov_b32 s60, 0xb42fdfa7
	s_brev_b32 s63, 8
	s_mov_b32 s61, 0xbe5ae600
	s_mov_b32 s52, 0xf9a43bb8
	v_mov_b32_e32 v54, s60
	s_mov_b32 s53, 0x3de5e0b2
	v_mov_b32_e32 v55, s61
	v_mov_b32_e32 v56, 0x100
	s_mov_b32 s54, 0x796cde01
	s_mov_b32 s55, 0x3ec71de3
	v_fma_f64 v[19:20], -v[15:16], v[17:18], 1.0
	v_mov_b32_e32 v63, 0x7ff80000
	v_and_b32_e32 v62, 1, v28
	v_fma_f64 v[17:18], v[17:18], v[19:20], v[17:18]
	v_div_scale_f64 v[19:20], vcc, s[10:11], v[9:10], s[10:11]
	v_fma_f64 v[21:22], -v[15:16], v[17:18], 1.0
	v_fma_f64 v[17:18], v[17:18], v[21:22], v[17:18]
	v_mul_f64 v[21:22], v[19:20], v[17:18]
	v_fma_f64 v[15:16], -v[15:16], v[21:22], v[19:20]
	v_div_fmas_f64 v[15:16], v[15:16], v[17:18], v[21:22]
	v_mov_b32_e32 v17, 0x983b6b27
	v_mov_b32_e32 v18, 0x3f4a1d30
	;; [unrolled: 1-line block ×4, first 2 shown]
	v_div_fixup_f64 v[19:20], v[15:16], v[9:10], s[10:11]
	s_mov_b32 s10, 0xea1b21a1
	s_mov_b32 s11, 0x40218618
	v_fma_f64 v[9:10], v[19:20], 0, v[21:22]
	v_fma_f64 v[15:16], v[19:20], 0, v[17:18]
	v_mov_b32_e32 v17, 0x38a5384a
	v_mov_b32_e32 v18, 0xbf874742
	v_fma_f64 v[17:18], v[19:20], 0, v[17:18]
	v_mov_b32_e32 v21, 0x413c25ac
	v_mov_b32_e32 v22, 0x40501457
	v_fma_f64 v[21:22], v[19:20], 0, v[21:22]
	v_fma_f64 v[9:10], v[19:20], v[9:10], s[14:15]
	v_fma_f64 v[15:16], v[19:20], v[15:16], s[12:13]
	s_mov_b32 s12, 0x3a321174
	s_mov_b32 s13, 0xbff4853b
	v_fma_f64 v[17:18], v[19:20], v[17:18], s[12:13]
	s_mov_b32 s12, 0xb1759c7f
	s_mov_b32 s13, 0x408ac370
	v_fma_f64 v[21:22], v[19:20], v[21:22], s[12:13]
	v_fma_f64 v[9:10], v[19:20], v[9:10], s[28:29]
	v_fma_f64 v[15:16], v[19:20], v[15:16], s[8:9]
	s_mov_b32 s8, 0xf50e2c0c
	s_mov_b32 s9, 0xc0338dcf
	v_fma_f64 v[17:18], v[19:20], v[17:18], s[8:9]
	s_mov_b32 s8, 0xbd748cb5
	s_mov_b32 s9, 0x40ae54cd
	;; [unrolled: 8-line block ×5, first 2 shown]
	s_mov_b32 s1, 0xc049b48c
	v_fma_f64 v[9:10], v[19:20], v[9:10], 1.0
	v_fma_f64 v[15:16], v[19:20], v[15:16], 1.0
	s_mov_b32 s3, 0x40a01c2f
	v_fma_f64 v[23:24], v[19:20], v[21:22], s[2:3]
	v_fma_f64 v[25:26], v[19:20], v[17:18], s[0:1]
	s_mov_b32 s2, 0x6280a54
	s_mov_b32 s8, 0
	;; [unrolled: 1-line block ×4, first 2 shown]
	v_div_scale_f64 v[21:22], s[0:1], v[9:10], v[9:10], v[15:16]
	s_mov_b32 s0, 0xd1b9a1dd
	s_mov_b32 s1, 0xc0183358
	v_fma_f64 v[17:18], v[19:20], v[23:24], s[2:3]
	v_fma_f64 v[19:20], v[19:20], v[25:26], s[0:1]
	v_div_scale_f64 v[25:26], s[0:1], v[1:2], v[1:2], s[8:9]
	v_div_scale_f64 v[40:41], vcc, v[15:16], v[9:10], v[15:16]
	v_mul_f64 v[23:24], v[5:6], v[5:6]
	s_mov_b32 s28, 0x46cc5e42
	s_mov_b32 s29, 0xbda907db
	v_div_scale_f64 v[30:31], s[0:1], v[17:18], v[17:18], v[19:20]
	v_div_scale_f64 v[48:49], s[4:5], v[19:20], v[17:18], v[19:20]
	v_rcp_f64_e32 v[32:33], v[21:22]
	s_mov_b32 s0, 0x9037ab78
	s_mov_b32 s1, 0x3e21eeb6
	v_fma_f64 v[58:59], v[23:24], s[52:53], v[54:55]
	s_mov_b32 s50, 0x19e83e5c
	v_rcp_f64_e32 v[34:35], v[25:26]
	s_mov_b32 s51, 0xbf2a01a0
	s_mov_b32 s14, 0xa17f65f6
	;; [unrolled: 1-line block ×6, first 2 shown]
	v_rcp_f64_e32 v[36:37], v[30:31]
	s_mov_b32 s13, 0x3efa01a0
	s_mov_b32 s10, 0x16c16967
	;; [unrolled: 1-line block ×3, first 2 shown]
	v_fma_f64 v[38:39], -v[21:22], v[32:33], 1.0
	v_fma_f64 v[32:33], v[32:33], v[38:39], v[32:33]
	v_fma_f64 v[38:39], -v[25:26], v[34:35], 1.0
	v_fma_f64 v[42:43], -v[30:31], v[36:37], 1.0
	;; [unrolled: 1-line block ×3, first 2 shown]
	v_fma_f64 v[34:35], v[34:35], v[38:39], v[34:35]
	v_mul_f64 v[38:39], v[7:8], 0.5
	v_fma_f64 v[36:37], v[36:37], v[42:43], v[36:37]
	v_mul_f64 v[42:43], v[11:12], v[11:12]
	v_fma_f64 v[32:33], v[32:33], v[44:45], v[32:33]
	v_div_scale_f64 v[44:45], s[2:3], s[8:9], v[1:2], s[8:9]
	v_fma_f64 v[46:47], -v[25:26], v[34:35], 1.0
	v_fma_f64 v[50:51], -v[30:31], v[36:37], 1.0
	v_mul_f64 v[52:53], v[40:41], v[32:33]
	v_fma_f64 v[34:35], v[34:35], v[46:47], v[34:35]
	v_mov_b32_e32 v47, s1
	v_mov_b32_e32 v46, s0
	v_fma_f64 v[36:37], v[36:37], v[50:51], v[36:37]
	v_cmp_gt_f64_e64 s[0:1], s[62:63], v[1:2]
	v_fma_f64 v[21:22], -v[21:22], v[52:53], v[40:41]
	v_mul_f64 v[50:51], v[44:45], v[34:35]
	v_mul_f64 v[60:61], v[48:49], v[36:37]
	v_cndmask_b32_e64 v40, 0, v56, s[0:1]
	v_mul_f64 v[56:57], v[23:24], 0.5
	v_div_fmas_f64 v[21:22], v[21:22], v[32:33], v[52:53]
	v_mul_f64 v[32:33], v[42:43], 0.5
	v_fma_f64 v[52:53], v[23:24], s[28:29], v[46:47]
	v_fma_f64 v[25:26], -v[25:26], v[50:51], v[44:45]
	v_fma_f64 v[44:45], v[42:43], s[28:29], v[46:47]
	v_fma_f64 v[46:47], v[42:43], s[52:53], v[54:55]
	v_ldexp_f64 v[40:41], v[1:2], v40
	v_fma_f64 v[54:55], v[23:24], v[58:59], s[54:55]
	v_add_f64 v[58:59], -v[56:57], 1.0
	v_fma_f64 v[30:31], -v[30:31], v[60:61], v[48:49]
	v_add_f64 v[48:49], -v[32:33], 1.0
	s_mov_b64 vcc, s[2:3]
	v_div_fmas_f64 v[25:26], v[25:26], v[34:35], v[50:51]
	v_fma_f64 v[46:47], v[42:43], v[46:47], s[54:55]
	v_rsq_f64_e32 v[34:35], v[40:41]
	v_fma_f64 v[50:51], v[23:24], v[54:55], s[50:51]
	s_mov_b64 vcc, s[4:5]
	v_add_f64 v[54:55], -v[58:59], 1.0
	v_div_fmas_f64 v[30:31], v[30:31], v[36:37], v[60:61]
	v_add_f64 v[36:37], -v[48:49], 1.0
	v_fma_f64 v[44:45], v[42:43], v[44:45], s[14:15]
	v_fma_f64 v[46:47], v[42:43], v[46:47], s[50:51]
	v_mul_f64 v[60:61], v[5:6], -v[23:24]
	v_fma_f64 v[50:51], v[23:24], v[50:51], s[30:31]
	v_fma_f64 v[52:53], v[23:24], v[52:53], s[14:15]
	v_add_f64 v[54:55], v[54:55], -v[56:57]
	v_mul_f64 v[56:57], v[13:14], 0.5
	v_add_f64 v[32:33], v[36:37], -v[32:33]
	v_mul_f64 v[36:37], v[11:12], -v[42:43]
	v_fma_f64 v[44:45], v[42:43], v[44:45], s[12:13]
	v_fma_f64 v[46:47], v[42:43], v[46:47], s[30:31]
	;; [unrolled: 1-line block ×3, first 2 shown]
	v_mul_f64 v[50:51], v[40:41], v[34:35]
	v_mul_f64 v[34:35], v[34:35], 0.5
	v_fma_f64 v[52:53], v[23:24], v[52:53], s[12:13]
	s_mov_b32 s2, 0x55555555
	s_mov_b32 s3, 0x3fa55555
	v_fma_f64 v[44:45], v[42:43], v[44:45], s[10:11]
	v_fma_f64 v[46:47], v[36:37], v[46:47], v[56:57]
	v_fma_f64 v[54:55], v[5:6], -v[7:8], v[54:55]
	v_fma_f64 v[7:8], v[23:24], v[38:39], -v[7:8]
	v_fma_f64 v[56:57], -v[34:35], v[50:51], 0.5
	v_fma_f64 v[52:53], v[23:24], v[52:53], s[10:11]
	s_mov_b32 s5, 0xbfc55555
	s_mov_b32 s4, s2
	v_fma_f64 v[44:45], v[42:43], v[44:45], s[2:3]
	v_fma_f64 v[46:47], v[42:43], v[46:47], -v[13:14]
	v_mul_f64 v[42:43], v[42:43], v[42:43]
	v_fma_f64 v[13:14], v[11:12], -v[13:14], v[32:33]
	v_fma_f64 v[50:51], v[50:51], v[56:57], v[50:51]
	v_fma_f64 v[38:39], v[23:24], v[52:53], s[2:3]
	v_mul_f64 v[23:24], v[23:24], v[23:24]
	v_fma_f64 v[32:33], v[34:35], v[56:57], v[34:35]
	v_fma_f64 v[7:8], v[60:61], s[4:5], v[7:8]
	;; [unrolled: 1-line block ×3, first 2 shown]
	v_div_fixup_f64 v[1:2], v[25:26], v[1:2], s[8:9]
	v_fma_f64 v[13:14], v[42:43], v[44:45], v[13:14]
	v_fma_f64 v[34:35], -v[50:51], v[50:51], v[40:41]
	v_div_fixup_f64 v[17:18], v[30:31], v[17:18], v[19:20]
	v_fma_f64 v[23:24], v[23:24], v[38:39], v[54:55]
	s_movk_i32 s10, 0x1f8
	v_add_f64 v[5:6], v[5:6], -v[7:8]
	v_add_f64 v[11:12], v[11:12], -v[36:37]
	v_cmp_class_f64_e64 s[2:3], v[3:4], s10
	v_add_f64 v[13:14], v[48:49], v[13:14]
	v_fma_f64 v[7:8], v[34:35], v[32:33], v[50:51]
	v_mul_f64 v[1:2], v[1:2], v[17:18]
	v_and_b32_e32 v38, 1, v29
	v_lshlrev_b32_e32 v29, 30, v29
	v_xor_b32_e32 v29, v29, v4
	v_cmp_eq_u32_e64 s[4:5], 0, v38
	v_add_f64 v[23:24], v[58:59], v[23:24]
	v_and_b32_e32 v19, 0x80000000, v29
	v_cndmask_b32_e64 v12, v14, v12, s[4:5]
	v_cndmask_b32_e64 v11, v13, v11, s[4:5]
	v_xor_b32_e32 v12, v12, v19
	v_fma_f64 v[3:4], -v[7:8], v[7:8], v[40:41]
	v_cndmask_b32_e64 v11, 0, v11, s[2:3]
	v_cndmask_b32_e64 v12, v63, v12, s[2:3]
	v_div_fixup_f64 v[9:10], v[21:22], v[9:10], v[15:16]
	v_mul_f64 v[1:2], v[1:2], v[11:12]
	v_cmp_eq_u32_e32 vcc, 0, v62
	v_lshlrev_b32_e32 v11, 30, v28
	v_xor_b32_e32 v6, 0x80000000, v6
	v_and_b32_e32 v11, 0x80000000, v11
	v_cndmask_b32_e32 v6, v6, v24, vcc
	v_cndmask_b32_e32 v5, v5, v23, vcc
	v_xor_b32_e32 v6, v6, v11
	v_cndmask_b32_e64 v5, 0, v5, s[2:3]
	v_fma_f64 v[3:4], v[3:4], v[32:33], v[7:8]
	v_cndmask_b32_e64 v6, v63, v6, s[2:3]
	v_fma_f64 v[1:2], v[9:10], v[5:6], v[1:2]
	v_mov_b32_e32 v5, 0xffffff80
	s_mov_b32 s2, 0x33d43651
	v_mov_b32_e32 v6, 0x260
	v_cndmask_b32_e64 v5, 0, v5, s[0:1]
	s_mov_b32 s3, 0x3fe98845
	v_ldexp_f64 v[3:4], v[3:4], v5
	v_cmp_class_f64_e32 vcc, v[40:41], v6
	v_mul_f64 v[1:2], v[1:2], s[2:3]
	v_cndmask_b32_e32 v4, v4, v41, vcc
	v_cndmask_b32_e32 v3, v3, v40, vcc
	v_div_scale_f64 v[5:6], s[0:1], v[3:4], v[3:4], v[1:2]
	v_div_scale_f64 v[11:12], vcc, v[1:2], v[3:4], v[1:2]
	v_rcp_f64_e32 v[7:8], v[5:6]
	v_fma_f64 v[9:10], -v[5:6], v[7:8], 1.0
	v_fma_f64 v[7:8], v[7:8], v[9:10], v[7:8]
	v_fma_f64 v[9:10], -v[5:6], v[7:8], 1.0
	v_fma_f64 v[7:8], v[7:8], v[9:10], v[7:8]
	v_mul_f64 v[9:10], v[11:12], v[7:8]
	v_fma_f64 v[5:6], -v[5:6], v[9:10], v[11:12]
	v_div_fmas_f64 v[5:6], v[5:6], v[7:8], v[9:10]
	v_div_fixup_f64 v[3:4], v[5:6], v[3:4], v[1:2]
.LBB7_162:
	s_or_b64 exec, exec, s[6:7]
	v_add_u32_e32 v27, 0x80, v27
	global_store_dwordx2 v0, v[3:4], s[16:17]
	s_or_b64 exec, exec, s[48:49]
	v_cmp_gt_i32_e32 vcc, s57, v27
	s_and_saveexec_b64 s[48:49], vcc
	s_cbranch_execnz .LBB7_15
.LBB7_163:
	s_or_b64 exec, exec, s[48:49]
	v_cmp_gt_i32_e32 vcc, s57, v27
	s_and_saveexec_b64 s[48:49], vcc
	s_cbranch_execz .LBB7_195
.LBB7_164:
	s_andn2_b64 vcc, exec, s[36:37]
	s_cbranch_vccnz .LBB7_169
; %bb.165:
	s_andn2_b64 vcc, exec, s[46:47]
	s_cbranch_vccnz .LBB7_170
; %bb.166:
	s_add_i32 s55, s58, 1
	s_cmp_eq_u32 s56, 2
	s_cbranch_scc1 .LBB7_198
; %bb.167:
	s_and_b32 s54, s55, 28
	v_mov_b32_e32 v2, 0
	s_mov_b32 s59, 0
	s_mov_b64 s[50:51], s[34:35]
	s_mov_b64 s[52:53], s[44:45]
	v_mov_b32_e32 v0, 0
	v_mov_b32_e32 v1, v27
.LBB7_168:                              ; =>This Inner Loop Header: Depth=1
	s_load_dwordx8 s[8:15], s[50:51], 0x4
	s_load_dwordx4 s[28:31], s[50:51], 0x24
	s_load_dwordx8 s[0:7], s[52:53], 0x0
	s_add_u32 s50, s50, 48
	s_addc_u32 s51, s51, 0
	s_waitcnt lgkmcnt(0)
	v_mul_hi_u32 v3, s9, v1
	s_add_i32 s59, s59, 4
	s_add_u32 s52, s52, 32
	s_addc_u32 s53, s53, 0
	v_add_u32_e32 v3, v1, v3
	v_lshrrev_b32_e32 v3, s10, v3
	v_mul_lo_u32 v4, v3, s8
	v_mul_hi_u32 v5, s12, v3
	s_cmp_eq_u32 s54, s59
	v_sub_u32_e32 v1, v1, v4
	v_add_u32_e32 v4, v3, v5
	v_mul_lo_u32 v5, v1, s0
	v_mul_lo_u32 v6, v1, s1
	v_lshrrev_b32_e32 v1, s13, v4
	v_mul_lo_u32 v4, v1, s11
	v_mul_hi_u32 v7, s15, v1
	v_sub_u32_e32 v3, v3, v4
	v_add_u32_e32 v4, v1, v7
	v_lshrrev_b32_e32 v4, s28, v4
	v_mul_hi_u32 v8, s30, v4
	v_mul_lo_u32 v9, v4, s14
	v_mul_lo_u32 v7, v3, s2
	;; [unrolled: 1-line block ×3, first 2 shown]
	v_sub_u32_e32 v9, v1, v9
	v_add_u32_e32 v1, v4, v8
	v_lshrrev_b32_e32 v1, s31, v1
	v_mul_lo_u32 v8, v1, s29
	v_mul_lo_u32 v10, v9, s4
	;; [unrolled: 1-line block ×3, first 2 shown]
	v_add3_u32 v0, v5, v0, v7
	v_sub_u32_e32 v4, v4, v8
	v_mul_lo_u32 v8, v4, s6
	v_mul_lo_u32 v4, v4, s7
	v_add3_u32 v2, v6, v2, v3
	v_add3_u32 v0, v10, v0, v8
	v_add3_u32 v2, v9, v2, v4
	s_cbranch_scc0 .LBB7_168
	s_branch .LBB7_199
.LBB7_169:
                                        ; implicit-def: $vgpr0
                                        ; implicit-def: $vgpr2
	s_branch .LBB7_203
.LBB7_170:
	v_mov_b32_e32 v0, 0
	v_mov_b32_e32 v2, 0
	s_branch .LBB7_202
.LBB7_171:
	s_mov_b32 s54, 0
	v_mov_b32_e32 v0, 0
	v_mov_b32_e32 v2, 0
	;; [unrolled: 1-line block ×3, first 2 shown]
.LBB7_172:
	s_and_b32 s4, s55, 3
	s_cmp_eq_u32 s4, 0
	s_cbranch_scc1 .LBB7_175
; %bb.173:
	s_lshl_b32 s0, s54, 3
	s_add_u32 s0, s34, s0
	s_addc_u32 s1, s35, 0
	s_add_u32 s0, s0, 0xc4
	s_addc_u32 s1, s1, 0
	s_mul_i32 s2, s54, 12
	s_add_u32 s2, s34, s2
	s_addc_u32 s3, s35, 0
.LBB7_174:                              ; =>This Inner Loop Header: Depth=1
	s_load_dwordx2 s[6:7], s[2:3], 0x4
	s_load_dword s5, s[2:3], 0xc
	s_load_dwordx2 s[8:9], s[0:1], 0x0
	s_add_u32 s2, s2, 12
	s_addc_u32 s3, s3, 0
	s_waitcnt lgkmcnt(0)
	v_mul_hi_u32 v3, s7, v1
	s_add_u32 s0, s0, 8
	s_addc_u32 s1, s1, 0
	s_add_i32 s4, s4, -1
	v_add_u32_e32 v3, v1, v3
	v_lshrrev_b32_e32 v4, s5, v3
	v_mul_lo_u32 v3, v4, s6
	s_cmp_lg_u32 s4, 0
	v_sub_u32_e32 v3, v1, v3
	v_mad_u64_u32 v[0:1], s[6:7], v3, s8, v[0:1]
	v_mad_u64_u32 v[2:3], s[6:7], v3, s9, v[2:3]
	v_mov_b32_e32 v1, v4
	s_cbranch_scc1 .LBB7_174
.LBB7_175:
	s_cbranch_execnz .LBB7_178
.LBB7_176:
	s_waitcnt lgkmcnt(0)
	v_mul_hi_u32 v0, s25, v27
	s_andn2_b64 vcc, exec, s[42:43]
	v_add_u32_e32 v0, v27, v0
	v_lshrrev_b32_e32 v1, s26, v0
	v_mul_lo_u32 v0, v1, s24
	v_sub_u32_e32 v2, v27, v0
	v_mul_lo_u32 v0, v2, s20
	v_mul_lo_u32 v2, v2, s21
	s_cbranch_vccnz .LBB7_178
; %bb.177:
	v_mul_hi_u32 v3, s40, v1
	v_add_u32_e32 v3, v1, v3
	v_lshrrev_b32_e32 v3, s41, v3
	v_mul_lo_u32 v3, v3, s27
	v_sub_u32_e32 v3, v1, v3
	v_mad_u64_u32 v[0:1], s[0:1], v3, s22, v[0:1]
	v_mad_u64_u32 v[2:3], s[0:1], v3, s23, v[2:3]
.LBB7_178:
	s_waitcnt lgkmcnt(0)
	global_load_dwordx2 v[1:2], v2, s[18:19]
	s_mov_b32 s0, 0
	s_mov_b32 s1, 0x40140000
	s_waitcnt vmcnt(0)
	v_cmp_gt_f64_e32 vcc, 0, v[1:2]
	v_xor_b32_e32 v3, 0x80000000, v2
	v_cndmask_b32_e32 v2, v2, v3, vcc
	v_cmp_ge_f64_e32 vcc, s[0:1], v[1:2]
	v_mul_f64 v[9:10], v[1:2], v[1:2]
                                        ; implicit-def: $vgpr3_vgpr4
	s_and_saveexec_b64 s[0:1], vcc
	s_xor_b64 s[0:1], exec, s[0:1]
	s_cbranch_execz .LBB7_184
; %bb.179:
	s_mov_b32 s2, 0x88e368f1
	s_mov_b32 s3, 0x3ee4f8b5
	v_cmp_ngt_f64_e32 vcc, s[2:3], v[1:2]
                                        ; implicit-def: $vgpr3_vgpr4
	s_and_saveexec_b64 s[2:3], vcc
	s_xor_b64 s[2:3], exec, s[2:3]
	s_cbranch_execz .LBB7_181
; %bb.180:
	v_mov_b32_e32 v1, 0xa696b78c
	v_mov_b32_e32 v2, 0x407f3902
	v_fma_f64 v[1:2], v[9:10], 0, v[1:2]
	s_mov_b32 s4, 0x36a21a67
	s_mov_b32 s5, 0x410536cb
	;; [unrolled: 1-line block ×3, first 2 shown]
	v_mov_b32_e32 v3, 0xad1c8325
	v_mov_b32_e32 v4, 0xc1f1dc53
	s_mov_b32 s7, 0x4204d5b0
	v_fma_f64 v[3:4], v[9:10], 0, v[3:4]
	v_fma_f64 v[1:2], v[9:10], v[1:2], s[4:5]
	s_mov_b32 s4, 0x2eac0634
	s_mov_b32 s5, 0x41871934
	;; [unrolled: 1-line block ×6, first 2 shown]
	v_fma_f64 v[1:2], v[9:10], v[1:2], s[4:5]
	s_mov_b32 s4, 0xc772990d
	s_mov_b32 s5, 0x427c7751
	v_fma_f64 v[3:4], v[9:10], v[3:4], s[4:5]
	s_mov_b32 s4, 0x80462bbb
	s_mov_b32 s5, 0xc01721fb
	v_add_f64 v[5:6], v[9:10], s[4:5]
	s_mov_b32 s4, 0x7e7b2e9c
	v_fma_f64 v[1:2], v[9:10], v[1:2], s[6:7]
	s_mov_b32 s6, 0xe0d900f7
	s_mov_b32 s7, 0xc2ec5614
	v_fma_f64 v[3:4], v[9:10], v[3:4], s[6:7]
	s_mov_b32 s6, 0x69ff5fb4
	s_mov_b32 s5, 0x435c4141
	;; [unrolled: 1-line block ×3, first 2 shown]
	v_fma_f64 v[1:2], v[9:10], v[1:2], s[8:9]
	s_mov_b32 s8, 0xa621dd6f
	s_mov_b32 s9, 0xc03e78a4
	v_add_f64 v[7:8], v[9:10], s[8:9]
	v_fma_f64 v[3:4], v[9:10], v[3:4], s[6:7]
	v_fma_f64 v[1:2], v[9:10], v[1:2], s[10:11]
	v_mul_f64 v[5:6], v[5:6], v[7:8]
	v_fma_f64 v[1:2], v[9:10], v[1:2], s[4:5]
	s_mov_b32 s4, 0xc7b662cc
	s_mov_b32 s5, 0x43b7be34
	v_mul_f64 v[3:4], v[5:6], v[3:4]
	v_fma_f64 v[1:2], v[9:10], v[1:2], s[4:5]
	v_div_scale_f64 v[5:6], s[4:5], v[1:2], v[1:2], v[3:4]
	v_div_scale_f64 v[11:12], vcc, v[3:4], v[1:2], v[3:4]
	v_rcp_f64_e32 v[7:8], v[5:6]
	v_fma_f64 v[9:10], -v[5:6], v[7:8], 1.0
	v_fma_f64 v[7:8], v[7:8], v[9:10], v[7:8]
	v_fma_f64 v[9:10], -v[5:6], v[7:8], 1.0
	v_fma_f64 v[7:8], v[7:8], v[9:10], v[7:8]
	v_mul_f64 v[9:10], v[11:12], v[7:8]
	v_fma_f64 v[5:6], -v[5:6], v[9:10], v[11:12]
	v_div_fmas_f64 v[5:6], v[5:6], v[7:8], v[9:10]
                                        ; implicit-def: $vgpr9_vgpr10
	v_div_fixup_f64 v[3:4], v[5:6], v[1:2], v[3:4]
.LBB7_181:
	s_andn2_saveexec_b64 s[2:3], s[2:3]
	s_cbranch_execz .LBB7_183
; %bb.182:
	s_mov_b32 s4, 0
	s_mov_b32 s5, 0xbfd00000
	v_fma_f64 v[3:4], v[9:10], s[4:5], 1.0
.LBB7_183:
	s_or_b64 exec, exec, s[2:3]
                                        ; implicit-def: $vgpr9_vgpr10
                                        ; implicit-def: $vgpr1_vgpr2
.LBB7_184:
	s_andn2_saveexec_b64 s[6:7], s[0:1]
	s_cbranch_execz .LBB7_194
; %bb.185:
	s_mov_b32 s5, 0xbfe921fb
	s_mov_b32 s4, 0x54442d18
	v_add_f64 v[3:4], v[1:2], s[4:5]
	s_mov_b32 s0, 0
	s_mov_b32 s1, 0x41d00000
                                        ; implicit-def: $vgpr28
                                        ; implicit-def: $vgpr5_vgpr6
                                        ; implicit-def: $vgpr7_vgpr8
	v_cmp_nlt_f64_e64 s[2:3], |v[3:4]|, s[0:1]
	s_and_saveexec_b64 s[0:1], s[2:3]
	s_xor_b64 s[8:9], exec, s[0:1]
	s_cbranch_execz .LBB7_187
; %bb.186:
	v_trig_preop_f64 v[5:6], |v[3:4]|, 0
	s_mov_b32 s0, 0
	s_mov_b32 s1, 0x7b000000
	s_movk_i32 s5, 0xff80
	v_ldexp_f64 v[11:12], |v[3:4]|, s5
	v_cmp_ge_f64_e64 vcc, |v[3:4]|, s[0:1]
	v_trig_preop_f64 v[7:8], |v[3:4]|, 1
	v_and_b32_e32 v13, 0x7fffffff, v4
	v_trig_preop_f64 v[19:20], |v[3:4]|, 2
	s_mov_b32 s0, 0
	s_mov_b32 s1, 0x7ff00000
	v_mov_b32_e32 v31, 0x40100000
	v_mov_b32_e32 v30, 0
	v_cndmask_b32_e32 v12, v13, v12, vcc
	v_cndmask_b32_e32 v11, v3, v11, vcc
	s_mov_b32 s5, 0x3ff921fb
	v_mul_f64 v[13:14], v[5:6], v[11:12]
	v_mul_f64 v[15:16], v[7:8], v[11:12]
	;; [unrolled: 1-line block ×3, first 2 shown]
	v_fma_f64 v[5:6], v[5:6], v[11:12], -v[13:14]
	v_fma_f64 v[7:8], v[7:8], v[11:12], -v[15:16]
	;; [unrolled: 1-line block ×3, first 2 shown]
	v_add_f64 v[17:18], v[15:16], v[5:6]
	v_add_f64 v[21:22], v[17:18], -v[15:16]
	v_add_f64 v[28:29], v[13:14], v[17:18]
	v_add_f64 v[23:24], v[17:18], -v[21:22]
	v_add_f64 v[5:6], v[5:6], -v[21:22]
	v_add_f64 v[21:22], v[25:26], v[7:8]
	v_add_f64 v[13:14], v[28:29], -v[13:14]
	v_add_f64 v[15:16], v[15:16], -v[23:24]
	v_ldexp_f64 v[23:24], v[28:29], -2
	v_add_f64 v[32:33], v[21:22], -v[25:26]
	v_add_f64 v[13:14], v[17:18], -v[13:14]
	v_add_f64 v[5:6], v[5:6], v[15:16]
	v_fract_f64_e32 v[15:16], v[23:24]
	v_cmp_neq_f64_e64 vcc, |v[23:24]|, s[0:1]
	v_add_f64 v[7:8], v[7:8], -v[32:33]
	v_add_f64 v[17:18], v[21:22], v[5:6]
	v_ldexp_f64 v[15:16], v[15:16], 2
	v_add_f64 v[23:24], v[13:14], v[17:18]
	v_cndmask_b32_e32 v16, 0, v16, vcc
	v_cndmask_b32_e32 v15, 0, v15, vcc
	v_add_f64 v[34:35], v[17:18], -v[21:22]
	v_add_f64 v[28:29], v[23:24], v[15:16]
	v_add_f64 v[13:14], v[23:24], -v[13:14]
	v_add_f64 v[36:37], v[17:18], -v[34:35]
	;; [unrolled: 1-line block ×3, first 2 shown]
	v_cmp_gt_f64_e32 vcc, 0, v[28:29]
	v_add_f64 v[28:29], v[21:22], -v[32:33]
	v_add_f64 v[13:14], v[17:18], -v[13:14]
	;; [unrolled: 1-line block ×3, first 2 shown]
	v_cndmask_b32_e32 v31, 0, v31, vcc
	v_add_f64 v[15:16], v[15:16], v[30:31]
	v_add_f64 v[28:29], v[25:26], -v[28:29]
	v_add_f64 v[5:6], v[5:6], v[21:22]
	v_add_f64 v[38:39], v[23:24], v[15:16]
	;; [unrolled: 1-line block ×3, first 2 shown]
	v_cvt_i32_f64_e32 v33, v[38:39]
	v_add_f64 v[5:6], v[7:8], v[5:6]
	v_cvt_f64_i32_e32 v[31:32], v33
	v_add_f64 v[15:16], v[15:16], -v[31:32]
	v_add_f64 v[5:6], v[11:12], v[5:6]
	v_add_f64 v[7:8], v[23:24], v[15:16]
	v_add_f64 v[5:6], v[13:14], v[5:6]
	v_mov_b32_e32 v13, 0x3ff00000
	v_add_f64 v[11:12], v[7:8], -v[15:16]
	v_cmp_le_f64_e32 vcc, 0.5, v[7:8]
	v_add_f64 v[11:12], v[23:24], -v[11:12]
	v_cndmask_b32_e32 v31, 0, v13, vcc
	v_add_f64 v[7:8], v[7:8], -v[30:31]
	v_addc_co_u32_e64 v28, s[0:1], 0, v33, vcc
	s_mov_b32 s0, 0x33145c07
	s_mov_b32 s1, 0x3c91a626
	v_add_f64 v[5:6], v[5:6], v[11:12]
	v_add_f64 v[11:12], v[7:8], v[5:6]
	v_mul_f64 v[13:14], v[11:12], s[4:5]
	v_add_f64 v[7:8], v[11:12], -v[7:8]
	v_fma_f64 v[15:16], v[11:12], s[4:5], -v[13:14]
	v_add_f64 v[5:6], v[5:6], -v[7:8]
	v_fma_f64 v[7:8], v[11:12], s[0:1], v[15:16]
	v_fma_f64 v[7:8], v[5:6], s[4:5], v[7:8]
	v_add_f64 v[5:6], v[13:14], v[7:8]
	v_add_f64 v[11:12], v[5:6], -v[13:14]
	v_add_f64 v[7:8], v[7:8], -v[11:12]
	s_andn2_saveexec_b64 s[0:1], s[8:9]
	s_cbranch_execz .LBB7_189
	s_branch .LBB7_188
.LBB7_187:
	s_andn2_saveexec_b64 s[0:1], s[8:9]
	s_cbranch_execz .LBB7_189
.LBB7_188:
	s_mov_b32 s4, 0x6dc9c883
	s_mov_b32 s5, 0x3fe45f30
	v_mul_f64 v[5:6], |v[3:4]|, s[4:5]
	s_mov_b32 s4, 0x54442d18
	s_mov_b32 s5, 0xbff921fb
	;; [unrolled: 1-line block ×4, first 2 shown]
	v_rndne_f64_e32 v[11:12], v[5:6]
	v_fma_f64 v[5:6], v[11:12], s[4:5], |v[3:4]|
	v_mul_f64 v[7:8], v[11:12], s[8:9]
	s_mov_b32 s4, 0x252049c0
	s_mov_b32 s5, 0xb97b839a
	v_cvt_i32_f64_e32 v28, v[11:12]
	v_fma_f64 v[17:18], v[11:12], s[8:9], v[5:6]
	v_add_f64 v[13:14], v[5:6], v[7:8]
	s_mov_b32 s9, 0x3c91a626
	v_add_f64 v[15:16], v[5:6], -v[13:14]
	v_add_f64 v[13:14], v[13:14], -v[17:18]
	v_add_f64 v[5:6], v[15:16], v[7:8]
	v_fma_f64 v[7:8], v[11:12], s[8:9], v[7:8]
	v_add_f64 v[5:6], v[13:14], v[5:6]
	v_add_f64 v[5:6], v[5:6], -v[7:8]
	v_fma_f64 v[7:8], v[11:12], s[4:5], v[5:6]
	v_add_f64 v[5:6], v[17:18], v[7:8]
	v_add_f64 v[13:14], v[5:6], -v[17:18]
	v_add_f64 v[7:8], v[7:8], -v[13:14]
.LBB7_189:
	s_or_b64 exec, exec, s[0:1]
                                        ; implicit-def: $vgpr29
                                        ; implicit-def: $vgpr11_vgpr12
                                        ; implicit-def: $vgpr13_vgpr14
	s_and_saveexec_b64 s[0:1], s[2:3]
	s_xor_b64 s[2:3], exec, s[0:1]
	s_cbranch_execz .LBB7_191
; %bb.190:
	v_trig_preop_f64 v[11:12], |v[3:4]|, 0
	s_mov_b32 s0, 0
	s_mov_b32 s1, 0x7b000000
	s_movk_i32 s4, 0xff80
	v_ldexp_f64 v[15:16], |v[3:4]|, s4
	v_cmp_ge_f64_e64 vcc, |v[3:4]|, s[0:1]
	v_trig_preop_f64 v[13:14], |v[3:4]|, 1
	v_and_b32_e32 v17, 0x7fffffff, v4
	v_trig_preop_f64 v[23:24], |v[3:4]|, 2
	s_mov_b32 s0, 0
	s_mov_b32 s1, 0x7ff00000
	v_mov_b32_e32 v36, 0x40100000
	v_mov_b32_e32 v35, 0
	v_cndmask_b32_e32 v16, v17, v16, vcc
	v_cndmask_b32_e32 v15, v3, v15, vcc
	s_mov_b32 s4, 0x33145c07
	v_mul_f64 v[17:18], v[11:12], v[15:16]
	s_mov_b32 s5, 0x3c91a626
	v_mul_f64 v[19:20], v[13:14], v[15:16]
	v_mul_f64 v[31:32], v[23:24], v[15:16]
	v_fma_f64 v[11:12], v[11:12], v[15:16], -v[17:18]
	v_fma_f64 v[13:14], v[13:14], v[15:16], -v[19:20]
	v_fma_f64 v[15:16], v[23:24], v[15:16], -v[31:32]
	v_add_f64 v[21:22], v[19:20], v[11:12]
	v_add_f64 v[25:26], v[21:22], -v[19:20]
	v_add_f64 v[33:34], v[17:18], v[21:22]
	v_add_f64 v[29:30], v[21:22], -v[25:26]
	v_add_f64 v[11:12], v[11:12], -v[25:26]
	v_add_f64 v[25:26], v[31:32], v[13:14]
	v_add_f64 v[17:18], v[33:34], -v[17:18]
	v_add_f64 v[19:20], v[19:20], -v[29:30]
	v_ldexp_f64 v[29:30], v[33:34], -2
	v_add_f64 v[37:38], v[25:26], -v[31:32]
	v_add_f64 v[17:18], v[21:22], -v[17:18]
	v_add_f64 v[11:12], v[11:12], v[19:20]
	v_fract_f64_e32 v[19:20], v[29:30]
	v_cmp_neq_f64_e64 vcc, |v[29:30]|, s[0:1]
	v_add_f64 v[13:14], v[13:14], -v[37:38]
	v_add_f64 v[21:22], v[25:26], v[11:12]
	v_ldexp_f64 v[19:20], v[19:20], 2
	v_add_f64 v[29:30], v[17:18], v[21:22]
	v_cndmask_b32_e32 v20, 0, v20, vcc
	v_cndmask_b32_e32 v19, 0, v19, vcc
	v_add_f64 v[39:40], v[21:22], -v[25:26]
	v_add_f64 v[33:34], v[29:30], v[19:20]
	v_add_f64 v[17:18], v[29:30], -v[17:18]
	v_add_f64 v[41:42], v[21:22], -v[39:40]
	;; [unrolled: 1-line block ×3, first 2 shown]
	v_cmp_gt_f64_e32 vcc, 0, v[33:34]
	v_add_f64 v[33:34], v[25:26], -v[37:38]
	v_add_f64 v[17:18], v[21:22], -v[17:18]
	;; [unrolled: 1-line block ×3, first 2 shown]
	v_cndmask_b32_e32 v36, 0, v36, vcc
	v_add_f64 v[19:20], v[19:20], v[35:36]
	v_add_f64 v[33:34], v[31:32], -v[33:34]
	v_add_f64 v[11:12], v[11:12], v[25:26]
	v_add_f64 v[43:44], v[29:30], v[19:20]
	v_add_f64 v[13:14], v[13:14], v[33:34]
	v_cvt_i32_f64_e32 v38, v[43:44]
	v_add_f64 v[11:12], v[13:14], v[11:12]
	v_cvt_f64_i32_e32 v[36:37], v38
	v_add_f64 v[19:20], v[19:20], -v[36:37]
	v_add_f64 v[11:12], v[15:16], v[11:12]
	v_add_f64 v[13:14], v[29:30], v[19:20]
	;; [unrolled: 1-line block ×3, first 2 shown]
	v_mov_b32_e32 v17, 0x3ff00000
	v_add_f64 v[15:16], v[13:14], -v[19:20]
	v_cmp_le_f64_e32 vcc, 0.5, v[13:14]
	v_add_f64 v[15:16], v[29:30], -v[15:16]
	v_cndmask_b32_e32 v36, 0, v17, vcc
	v_add_f64 v[13:14], v[13:14], -v[35:36]
	v_addc_co_u32_e64 v29, s[0:1], 0, v38, vcc
	s_mov_b32 s0, 0x54442d18
	s_mov_b32 s1, 0x3ff921fb
	v_add_f64 v[11:12], v[11:12], v[15:16]
	v_add_f64 v[15:16], v[13:14], v[11:12]
	v_mul_f64 v[17:18], v[15:16], s[0:1]
	v_add_f64 v[13:14], v[15:16], -v[13:14]
	v_fma_f64 v[19:20], v[15:16], s[0:1], -v[17:18]
	v_add_f64 v[11:12], v[11:12], -v[13:14]
	v_fma_f64 v[13:14], v[15:16], s[4:5], v[19:20]
	v_fma_f64 v[13:14], v[11:12], s[0:1], v[13:14]
	v_add_f64 v[11:12], v[17:18], v[13:14]
	v_add_f64 v[15:16], v[11:12], -v[17:18]
	v_add_f64 v[13:14], v[13:14], -v[15:16]
	s_andn2_saveexec_b64 s[0:1], s[2:3]
	s_cbranch_execnz .LBB7_192
	s_branch .LBB7_193
.LBB7_191:
	s_andn2_saveexec_b64 s[0:1], s[2:3]
	s_cbranch_execz .LBB7_193
.LBB7_192:
	s_mov_b32 s2, 0x6dc9c883
	s_mov_b32 s3, 0x3fe45f30
	v_mul_f64 v[11:12], |v[3:4]|, s[2:3]
	s_mov_b32 s2, 0x54442d18
	s_mov_b32 s3, 0xbff921fb
	;; [unrolled: 1-line block ×4, first 2 shown]
	v_rndne_f64_e32 v[15:16], v[11:12]
	v_fma_f64 v[11:12], v[15:16], s[2:3], |v[3:4]|
	v_mul_f64 v[13:14], v[15:16], s[4:5]
	s_mov_b32 s2, 0x252049c0
	s_mov_b32 s3, 0xb97b839a
	v_cvt_i32_f64_e32 v29, v[15:16]
	v_fma_f64 v[21:22], v[15:16], s[4:5], v[11:12]
	v_add_f64 v[17:18], v[11:12], v[13:14]
	s_mov_b32 s5, 0x3c91a626
	v_add_f64 v[19:20], v[11:12], -v[17:18]
	v_add_f64 v[17:18], v[17:18], -v[21:22]
	v_add_f64 v[11:12], v[19:20], v[13:14]
	v_fma_f64 v[13:14], v[15:16], s[4:5], v[13:14]
	v_add_f64 v[11:12], v[17:18], v[11:12]
	v_add_f64 v[11:12], v[11:12], -v[13:14]
	v_fma_f64 v[13:14], v[15:16], s[2:3], v[11:12]
	v_add_f64 v[11:12], v[21:22], v[13:14]
	v_add_f64 v[17:18], v[11:12], -v[21:22]
	v_add_f64 v[13:14], v[13:14], -v[17:18]
.LBB7_193:
	s_or_b64 exec, exec, s[0:1]
	s_mov_b32 s10, 0
	s_mov_b32 s11, 0x40390000
	v_div_scale_f64 v[15:16], s[0:1], v[9:10], v[9:10], s[10:11]
	s_mov_b32 s12, 0xb35dd1cf
	s_mov_b32 s14, 0xab5454e3
	;; [unrolled: 1-line block ×14, first 2 shown]
	v_rcp_f64_e32 v[17:18], v[15:16]
	s_mov_b32 s0, 0xa59425a1
	s_mov_b32 s50, 0xed423a19
	;; [unrolled: 1-line block ×6, first 2 shown]
	s_brev_b32 s63, 8
	s_mov_b32 s61, 0xbe5ae600
	s_mov_b32 s52, 0xf9a43bb8
	v_mov_b32_e32 v54, s60
	s_mov_b32 s53, 0x3de5e0b2
	v_mov_b32_e32 v55, s61
	v_mov_b32_e32 v56, 0x100
	s_mov_b32 s54, 0x796cde01
	s_mov_b32 s55, 0x3ec71de3
	v_fma_f64 v[19:20], -v[15:16], v[17:18], 1.0
	v_mov_b32_e32 v63, 0x7ff80000
	v_and_b32_e32 v62, 1, v28
	v_fma_f64 v[17:18], v[17:18], v[19:20], v[17:18]
	v_div_scale_f64 v[19:20], vcc, s[10:11], v[9:10], s[10:11]
	v_fma_f64 v[21:22], -v[15:16], v[17:18], 1.0
	v_fma_f64 v[17:18], v[17:18], v[21:22], v[17:18]
	v_mul_f64 v[21:22], v[19:20], v[17:18]
	v_fma_f64 v[15:16], -v[15:16], v[21:22], v[19:20]
	v_div_fmas_f64 v[15:16], v[15:16], v[17:18], v[21:22]
	v_mov_b32_e32 v17, 0x983b6b27
	v_mov_b32_e32 v18, 0x3f4a1d30
	;; [unrolled: 1-line block ×4, first 2 shown]
	v_div_fixup_f64 v[19:20], v[15:16], v[9:10], s[10:11]
	s_mov_b32 s10, 0xea1b21a1
	s_mov_b32 s11, 0x40218618
	v_fma_f64 v[9:10], v[19:20], 0, v[21:22]
	v_fma_f64 v[15:16], v[19:20], 0, v[17:18]
	v_mov_b32_e32 v17, 0x38a5384a
	v_mov_b32_e32 v18, 0xbf874742
	v_fma_f64 v[17:18], v[19:20], 0, v[17:18]
	v_mov_b32_e32 v21, 0x413c25ac
	v_mov_b32_e32 v22, 0x40501457
	v_fma_f64 v[21:22], v[19:20], 0, v[21:22]
	v_fma_f64 v[9:10], v[19:20], v[9:10], s[14:15]
	v_fma_f64 v[15:16], v[19:20], v[15:16], s[12:13]
	s_mov_b32 s12, 0x3a321174
	s_mov_b32 s13, 0xbff4853b
	v_fma_f64 v[17:18], v[19:20], v[17:18], s[12:13]
	s_mov_b32 s12, 0xb1759c7f
	s_mov_b32 s13, 0x408ac370
	v_fma_f64 v[21:22], v[19:20], v[21:22], s[12:13]
	v_fma_f64 v[9:10], v[19:20], v[9:10], s[28:29]
	v_fma_f64 v[15:16], v[19:20], v[15:16], s[8:9]
	s_mov_b32 s8, 0xf50e2c0c
	s_mov_b32 s9, 0xc0338dcf
	v_fma_f64 v[17:18], v[19:20], v[17:18], s[8:9]
	s_mov_b32 s8, 0xbd748cb5
	s_mov_b32 s9, 0x40ae54cd
	;; [unrolled: 8-line block ×5, first 2 shown]
	s_mov_b32 s1, 0xc049b48c
	v_fma_f64 v[9:10], v[19:20], v[9:10], 1.0
	v_fma_f64 v[15:16], v[19:20], v[15:16], 1.0
	s_mov_b32 s3, 0x40a01c2f
	v_fma_f64 v[23:24], v[19:20], v[21:22], s[2:3]
	v_fma_f64 v[25:26], v[19:20], v[17:18], s[0:1]
	s_mov_b32 s2, 0x6280a54
	s_mov_b32 s8, 0
	;; [unrolled: 1-line block ×4, first 2 shown]
	v_div_scale_f64 v[21:22], s[0:1], v[9:10], v[9:10], v[15:16]
	s_mov_b32 s0, 0xd1b9a1dd
	s_mov_b32 s1, 0xc0183358
	v_fma_f64 v[17:18], v[19:20], v[23:24], s[2:3]
	v_fma_f64 v[19:20], v[19:20], v[25:26], s[0:1]
	v_div_scale_f64 v[25:26], s[0:1], v[1:2], v[1:2], s[8:9]
	v_div_scale_f64 v[40:41], vcc, v[15:16], v[9:10], v[15:16]
	v_mul_f64 v[23:24], v[5:6], v[5:6]
	s_mov_b32 s28, 0x46cc5e42
	s_mov_b32 s29, 0xbda907db
	v_div_scale_f64 v[30:31], s[0:1], v[17:18], v[17:18], v[19:20]
	v_div_scale_f64 v[48:49], s[4:5], v[19:20], v[17:18], v[19:20]
	v_rcp_f64_e32 v[32:33], v[21:22]
	s_mov_b32 s0, 0x9037ab78
	s_mov_b32 s1, 0x3e21eeb6
	v_fma_f64 v[58:59], v[23:24], s[52:53], v[54:55]
	s_mov_b32 s50, 0x19e83e5c
	v_rcp_f64_e32 v[34:35], v[25:26]
	s_mov_b32 s51, 0xbf2a01a0
	s_mov_b32 s14, 0xa17f65f6
	;; [unrolled: 1-line block ×6, first 2 shown]
	v_rcp_f64_e32 v[36:37], v[30:31]
	s_mov_b32 s13, 0x3efa01a0
	s_mov_b32 s10, 0x16c16967
	;; [unrolled: 1-line block ×3, first 2 shown]
	v_fma_f64 v[38:39], -v[21:22], v[32:33], 1.0
	v_fma_f64 v[32:33], v[32:33], v[38:39], v[32:33]
	v_fma_f64 v[38:39], -v[25:26], v[34:35], 1.0
	v_fma_f64 v[42:43], -v[30:31], v[36:37], 1.0
	;; [unrolled: 1-line block ×3, first 2 shown]
	v_fma_f64 v[34:35], v[34:35], v[38:39], v[34:35]
	v_mul_f64 v[38:39], v[7:8], 0.5
	v_fma_f64 v[36:37], v[36:37], v[42:43], v[36:37]
	v_mul_f64 v[42:43], v[11:12], v[11:12]
	v_fma_f64 v[32:33], v[32:33], v[44:45], v[32:33]
	v_div_scale_f64 v[44:45], s[2:3], s[8:9], v[1:2], s[8:9]
	v_fma_f64 v[46:47], -v[25:26], v[34:35], 1.0
	v_fma_f64 v[50:51], -v[30:31], v[36:37], 1.0
	v_mul_f64 v[52:53], v[40:41], v[32:33]
	v_fma_f64 v[34:35], v[34:35], v[46:47], v[34:35]
	v_mov_b32_e32 v47, s1
	v_mov_b32_e32 v46, s0
	v_fma_f64 v[36:37], v[36:37], v[50:51], v[36:37]
	v_cmp_gt_f64_e64 s[0:1], s[62:63], v[1:2]
	v_fma_f64 v[21:22], -v[21:22], v[52:53], v[40:41]
	v_mul_f64 v[50:51], v[44:45], v[34:35]
	v_mul_f64 v[60:61], v[48:49], v[36:37]
	v_cndmask_b32_e64 v40, 0, v56, s[0:1]
	v_mul_f64 v[56:57], v[23:24], 0.5
	v_div_fmas_f64 v[21:22], v[21:22], v[32:33], v[52:53]
	v_mul_f64 v[32:33], v[42:43], 0.5
	v_fma_f64 v[52:53], v[23:24], s[28:29], v[46:47]
	v_fma_f64 v[25:26], -v[25:26], v[50:51], v[44:45]
	v_fma_f64 v[44:45], v[42:43], s[28:29], v[46:47]
	v_fma_f64 v[46:47], v[42:43], s[52:53], v[54:55]
	v_ldexp_f64 v[40:41], v[1:2], v40
	v_fma_f64 v[54:55], v[23:24], v[58:59], s[54:55]
	v_add_f64 v[58:59], -v[56:57], 1.0
	v_fma_f64 v[30:31], -v[30:31], v[60:61], v[48:49]
	v_add_f64 v[48:49], -v[32:33], 1.0
	s_mov_b64 vcc, s[2:3]
	v_div_fmas_f64 v[25:26], v[25:26], v[34:35], v[50:51]
	v_fma_f64 v[46:47], v[42:43], v[46:47], s[54:55]
	v_rsq_f64_e32 v[34:35], v[40:41]
	v_fma_f64 v[50:51], v[23:24], v[54:55], s[50:51]
	s_mov_b64 vcc, s[4:5]
	v_add_f64 v[54:55], -v[58:59], 1.0
	v_div_fmas_f64 v[30:31], v[30:31], v[36:37], v[60:61]
	v_add_f64 v[36:37], -v[48:49], 1.0
	v_fma_f64 v[44:45], v[42:43], v[44:45], s[14:15]
	v_fma_f64 v[46:47], v[42:43], v[46:47], s[50:51]
	v_mul_f64 v[60:61], v[5:6], -v[23:24]
	v_fma_f64 v[50:51], v[23:24], v[50:51], s[30:31]
	v_fma_f64 v[52:53], v[23:24], v[52:53], s[14:15]
	v_add_f64 v[54:55], v[54:55], -v[56:57]
	v_mul_f64 v[56:57], v[13:14], 0.5
	v_add_f64 v[32:33], v[36:37], -v[32:33]
	v_mul_f64 v[36:37], v[11:12], -v[42:43]
	v_fma_f64 v[44:45], v[42:43], v[44:45], s[12:13]
	v_fma_f64 v[46:47], v[42:43], v[46:47], s[30:31]
	;; [unrolled: 1-line block ×3, first 2 shown]
	v_mul_f64 v[50:51], v[40:41], v[34:35]
	v_mul_f64 v[34:35], v[34:35], 0.5
	v_fma_f64 v[52:53], v[23:24], v[52:53], s[12:13]
	s_mov_b32 s2, 0x55555555
	s_mov_b32 s3, 0x3fa55555
	v_fma_f64 v[44:45], v[42:43], v[44:45], s[10:11]
	v_fma_f64 v[46:47], v[36:37], v[46:47], v[56:57]
	v_fma_f64 v[54:55], v[5:6], -v[7:8], v[54:55]
	v_fma_f64 v[7:8], v[23:24], v[38:39], -v[7:8]
	v_fma_f64 v[56:57], -v[34:35], v[50:51], 0.5
	v_fma_f64 v[52:53], v[23:24], v[52:53], s[10:11]
	s_mov_b32 s5, 0xbfc55555
	s_mov_b32 s4, s2
	v_fma_f64 v[44:45], v[42:43], v[44:45], s[2:3]
	v_fma_f64 v[46:47], v[42:43], v[46:47], -v[13:14]
	v_mul_f64 v[42:43], v[42:43], v[42:43]
	v_fma_f64 v[13:14], v[11:12], -v[13:14], v[32:33]
	v_fma_f64 v[50:51], v[50:51], v[56:57], v[50:51]
	v_fma_f64 v[38:39], v[23:24], v[52:53], s[2:3]
	v_mul_f64 v[23:24], v[23:24], v[23:24]
	v_fma_f64 v[32:33], v[34:35], v[56:57], v[34:35]
	v_fma_f64 v[7:8], v[60:61], s[4:5], v[7:8]
	;; [unrolled: 1-line block ×3, first 2 shown]
	v_div_fixup_f64 v[1:2], v[25:26], v[1:2], s[8:9]
	v_fma_f64 v[13:14], v[42:43], v[44:45], v[13:14]
	v_fma_f64 v[34:35], -v[50:51], v[50:51], v[40:41]
	v_div_fixup_f64 v[17:18], v[30:31], v[17:18], v[19:20]
	v_fma_f64 v[23:24], v[23:24], v[38:39], v[54:55]
	s_movk_i32 s10, 0x1f8
	v_add_f64 v[5:6], v[5:6], -v[7:8]
	v_add_f64 v[11:12], v[11:12], -v[36:37]
	v_cmp_class_f64_e64 s[2:3], v[3:4], s10
	v_add_f64 v[13:14], v[48:49], v[13:14]
	v_fma_f64 v[7:8], v[34:35], v[32:33], v[50:51]
	v_mul_f64 v[1:2], v[1:2], v[17:18]
	v_and_b32_e32 v38, 1, v29
	v_lshlrev_b32_e32 v29, 30, v29
	v_xor_b32_e32 v29, v29, v4
	v_cmp_eq_u32_e64 s[4:5], 0, v38
	v_add_f64 v[23:24], v[58:59], v[23:24]
	v_and_b32_e32 v19, 0x80000000, v29
	v_cndmask_b32_e64 v12, v14, v12, s[4:5]
	v_cndmask_b32_e64 v11, v13, v11, s[4:5]
	v_xor_b32_e32 v12, v12, v19
	v_fma_f64 v[3:4], -v[7:8], v[7:8], v[40:41]
	v_cndmask_b32_e64 v11, 0, v11, s[2:3]
	v_cndmask_b32_e64 v12, v63, v12, s[2:3]
	v_div_fixup_f64 v[9:10], v[21:22], v[9:10], v[15:16]
	v_mul_f64 v[1:2], v[1:2], v[11:12]
	v_cmp_eq_u32_e32 vcc, 0, v62
	v_lshlrev_b32_e32 v11, 30, v28
	v_xor_b32_e32 v6, 0x80000000, v6
	v_and_b32_e32 v11, 0x80000000, v11
	v_cndmask_b32_e32 v6, v6, v24, vcc
	v_cndmask_b32_e32 v5, v5, v23, vcc
	v_xor_b32_e32 v6, v6, v11
	v_cndmask_b32_e64 v5, 0, v5, s[2:3]
	v_fma_f64 v[3:4], v[3:4], v[32:33], v[7:8]
	v_cndmask_b32_e64 v6, v63, v6, s[2:3]
	v_fma_f64 v[1:2], v[9:10], v[5:6], v[1:2]
	v_mov_b32_e32 v5, 0xffffff80
	s_mov_b32 s2, 0x33d43651
	v_mov_b32_e32 v6, 0x260
	v_cndmask_b32_e64 v5, 0, v5, s[0:1]
	s_mov_b32 s3, 0x3fe98845
	v_ldexp_f64 v[3:4], v[3:4], v5
	v_cmp_class_f64_e32 vcc, v[40:41], v6
	v_mul_f64 v[1:2], v[1:2], s[2:3]
	v_cndmask_b32_e32 v4, v4, v41, vcc
	v_cndmask_b32_e32 v3, v3, v40, vcc
	v_div_scale_f64 v[5:6], s[0:1], v[3:4], v[3:4], v[1:2]
	v_div_scale_f64 v[11:12], vcc, v[1:2], v[3:4], v[1:2]
	v_rcp_f64_e32 v[7:8], v[5:6]
	v_fma_f64 v[9:10], -v[5:6], v[7:8], 1.0
	v_fma_f64 v[7:8], v[7:8], v[9:10], v[7:8]
	v_fma_f64 v[9:10], -v[5:6], v[7:8], 1.0
	v_fma_f64 v[7:8], v[7:8], v[9:10], v[7:8]
	v_mul_f64 v[9:10], v[11:12], v[7:8]
	v_fma_f64 v[5:6], -v[5:6], v[9:10], v[11:12]
	v_div_fmas_f64 v[5:6], v[5:6], v[7:8], v[9:10]
	v_div_fixup_f64 v[3:4], v[5:6], v[3:4], v[1:2]
.LBB7_194:
	s_or_b64 exec, exec, s[6:7]
	v_add_u32_e32 v27, 0x80, v27
	global_store_dwordx2 v0, v[3:4], s[16:17]
	s_or_b64 exec, exec, s[48:49]
	v_cmp_gt_i32_e32 vcc, s57, v27
	s_and_saveexec_b64 s[48:49], vcc
	s_cbranch_execnz .LBB7_164
.LBB7_195:
	s_or_b64 exec, exec, s[48:49]
	v_cmp_gt_i32_e32 vcc, s57, v27
	s_and_saveexec_b64 s[48:49], vcc
	s_cbranch_execnz .LBB7_222
.LBB7_196:
	s_or_b64 exec, exec, s[48:49]
                                        ; implicit-def: $vgpr12
                                        ; implicit-def: $vgpr27
	s_andn2_saveexec_b64 s[0:1], s[38:39]
	s_cbranch_execnz .LBB7_8
.LBB7_197:
	s_endpgm
.LBB7_198:
	s_mov_b32 s54, 0
	v_mov_b32_e32 v0, 0
	v_mov_b32_e32 v2, 0
	v_mov_b32_e32 v1, v27
.LBB7_199:
	s_and_b32 s4, s55, 3
	s_cmp_eq_u32 s4, 0
	s_cbranch_scc1 .LBB7_202
; %bb.200:
	s_lshl_b32 s0, s54, 3
	s_add_u32 s0, s34, s0
	s_addc_u32 s1, s35, 0
	s_add_u32 s0, s0, 0xc4
	s_addc_u32 s1, s1, 0
	s_mul_i32 s2, s54, 12
	s_add_u32 s2, s34, s2
	s_addc_u32 s3, s35, 0
.LBB7_201:                              ; =>This Inner Loop Header: Depth=1
	s_load_dwordx2 s[6:7], s[2:3], 0x4
	s_load_dword s5, s[2:3], 0xc
	s_load_dwordx2 s[8:9], s[0:1], 0x0
	s_add_u32 s2, s2, 12
	s_addc_u32 s3, s3, 0
	s_waitcnt lgkmcnt(0)
	v_mul_hi_u32 v3, s7, v1
	s_add_u32 s0, s0, 8
	s_addc_u32 s1, s1, 0
	s_add_i32 s4, s4, -1
	v_add_u32_e32 v3, v1, v3
	v_lshrrev_b32_e32 v4, s5, v3
	v_mul_lo_u32 v3, v4, s6
	s_cmp_lg_u32 s4, 0
	v_sub_u32_e32 v3, v1, v3
	v_mad_u64_u32 v[0:1], s[6:7], v3, s8, v[0:1]
	v_mad_u64_u32 v[2:3], s[6:7], v3, s9, v[2:3]
	v_mov_b32_e32 v1, v4
	s_cbranch_scc1 .LBB7_201
.LBB7_202:
	s_cbranch_execnz .LBB7_205
.LBB7_203:
	s_waitcnt lgkmcnt(0)
	v_mul_hi_u32 v0, s25, v27
	s_andn2_b64 vcc, exec, s[42:43]
	v_add_u32_e32 v0, v27, v0
	v_lshrrev_b32_e32 v1, s26, v0
	v_mul_lo_u32 v0, v1, s24
	v_sub_u32_e32 v2, v27, v0
	v_mul_lo_u32 v0, v2, s20
	v_mul_lo_u32 v2, v2, s21
	s_cbranch_vccnz .LBB7_205
; %bb.204:
	v_mul_hi_u32 v3, s40, v1
	v_add_u32_e32 v3, v1, v3
	v_lshrrev_b32_e32 v3, s41, v3
	v_mul_lo_u32 v3, v3, s27
	v_sub_u32_e32 v3, v1, v3
	v_mad_u64_u32 v[0:1], s[0:1], v3, s22, v[0:1]
	v_mad_u64_u32 v[2:3], s[0:1], v3, s23, v[2:3]
.LBB7_205:
	s_waitcnt lgkmcnt(0)
	global_load_dwordx2 v[1:2], v2, s[18:19]
	s_mov_b32 s0, 0
	s_mov_b32 s1, 0x40140000
	s_waitcnt vmcnt(0)
	v_cmp_gt_f64_e32 vcc, 0, v[1:2]
	v_xor_b32_e32 v3, 0x80000000, v2
	v_cndmask_b32_e32 v2, v2, v3, vcc
	v_cmp_ge_f64_e32 vcc, s[0:1], v[1:2]
	v_mul_f64 v[9:10], v[1:2], v[1:2]
                                        ; implicit-def: $vgpr3_vgpr4
	s_and_saveexec_b64 s[0:1], vcc
	s_xor_b64 s[0:1], exec, s[0:1]
	s_cbranch_execz .LBB7_211
; %bb.206:
	s_mov_b32 s2, 0x88e368f1
	s_mov_b32 s3, 0x3ee4f8b5
	v_cmp_ngt_f64_e32 vcc, s[2:3], v[1:2]
                                        ; implicit-def: $vgpr3_vgpr4
	s_and_saveexec_b64 s[2:3], vcc
	s_xor_b64 s[2:3], exec, s[2:3]
	s_cbranch_execz .LBB7_208
; %bb.207:
	v_mov_b32_e32 v1, 0xa696b78c
	v_mov_b32_e32 v2, 0x407f3902
	v_fma_f64 v[1:2], v[9:10], 0, v[1:2]
	s_mov_b32 s4, 0x36a21a67
	s_mov_b32 s5, 0x410536cb
	s_mov_b32 s6, 0x9444914
	v_mov_b32_e32 v3, 0xad1c8325
	v_mov_b32_e32 v4, 0xc1f1dc53
	s_mov_b32 s7, 0x4204d5b0
	v_fma_f64 v[3:4], v[9:10], 0, v[3:4]
	v_fma_f64 v[1:2], v[9:10], v[1:2], s[4:5]
	s_mov_b32 s4, 0x2eac0634
	s_mov_b32 s5, 0x41871934
	;; [unrolled: 1-line block ×6, first 2 shown]
	v_fma_f64 v[1:2], v[9:10], v[1:2], s[4:5]
	s_mov_b32 s4, 0xc772990d
	s_mov_b32 s5, 0x427c7751
	v_fma_f64 v[3:4], v[9:10], v[3:4], s[4:5]
	s_mov_b32 s4, 0x80462bbb
	s_mov_b32 s5, 0xc01721fb
	v_add_f64 v[5:6], v[9:10], s[4:5]
	s_mov_b32 s4, 0x7e7b2e9c
	v_fma_f64 v[1:2], v[9:10], v[1:2], s[6:7]
	s_mov_b32 s6, 0xe0d900f7
	s_mov_b32 s7, 0xc2ec5614
	v_fma_f64 v[3:4], v[9:10], v[3:4], s[6:7]
	s_mov_b32 s6, 0x69ff5fb4
	s_mov_b32 s5, 0x435c4141
	;; [unrolled: 1-line block ×3, first 2 shown]
	v_fma_f64 v[1:2], v[9:10], v[1:2], s[8:9]
	s_mov_b32 s8, 0xa621dd6f
	s_mov_b32 s9, 0xc03e78a4
	v_add_f64 v[7:8], v[9:10], s[8:9]
	v_fma_f64 v[3:4], v[9:10], v[3:4], s[6:7]
	v_fma_f64 v[1:2], v[9:10], v[1:2], s[10:11]
	v_mul_f64 v[5:6], v[5:6], v[7:8]
	v_fma_f64 v[1:2], v[9:10], v[1:2], s[4:5]
	s_mov_b32 s4, 0xc7b662cc
	s_mov_b32 s5, 0x43b7be34
	v_mul_f64 v[3:4], v[5:6], v[3:4]
	v_fma_f64 v[1:2], v[9:10], v[1:2], s[4:5]
	v_div_scale_f64 v[5:6], s[4:5], v[1:2], v[1:2], v[3:4]
	v_div_scale_f64 v[11:12], vcc, v[3:4], v[1:2], v[3:4]
	v_rcp_f64_e32 v[7:8], v[5:6]
	v_fma_f64 v[9:10], -v[5:6], v[7:8], 1.0
	v_fma_f64 v[7:8], v[7:8], v[9:10], v[7:8]
	v_fma_f64 v[9:10], -v[5:6], v[7:8], 1.0
	v_fma_f64 v[7:8], v[7:8], v[9:10], v[7:8]
	v_mul_f64 v[9:10], v[11:12], v[7:8]
	v_fma_f64 v[5:6], -v[5:6], v[9:10], v[11:12]
	v_div_fmas_f64 v[5:6], v[5:6], v[7:8], v[9:10]
                                        ; implicit-def: $vgpr9_vgpr10
	v_div_fixup_f64 v[3:4], v[5:6], v[1:2], v[3:4]
.LBB7_208:
	s_andn2_saveexec_b64 s[2:3], s[2:3]
	s_cbranch_execz .LBB7_210
; %bb.209:
	s_mov_b32 s4, 0
	s_mov_b32 s5, 0xbfd00000
	v_fma_f64 v[3:4], v[9:10], s[4:5], 1.0
.LBB7_210:
	s_or_b64 exec, exec, s[2:3]
                                        ; implicit-def: $vgpr9_vgpr10
                                        ; implicit-def: $vgpr1_vgpr2
.LBB7_211:
	s_andn2_saveexec_b64 s[6:7], s[0:1]
	s_cbranch_execz .LBB7_221
; %bb.212:
	s_mov_b32 s5, 0xbfe921fb
	s_mov_b32 s4, 0x54442d18
	v_add_f64 v[3:4], v[1:2], s[4:5]
	s_mov_b32 s0, 0
	s_mov_b32 s1, 0x41d00000
                                        ; implicit-def: $vgpr28
                                        ; implicit-def: $vgpr5_vgpr6
                                        ; implicit-def: $vgpr7_vgpr8
	v_cmp_nlt_f64_e64 s[2:3], |v[3:4]|, s[0:1]
	s_and_saveexec_b64 s[0:1], s[2:3]
	s_xor_b64 s[8:9], exec, s[0:1]
	s_cbranch_execz .LBB7_214
; %bb.213:
	v_trig_preop_f64 v[5:6], |v[3:4]|, 0
	s_mov_b32 s0, 0
	s_mov_b32 s1, 0x7b000000
	s_movk_i32 s5, 0xff80
	v_ldexp_f64 v[11:12], |v[3:4]|, s5
	v_cmp_ge_f64_e64 vcc, |v[3:4]|, s[0:1]
	v_trig_preop_f64 v[7:8], |v[3:4]|, 1
	v_and_b32_e32 v13, 0x7fffffff, v4
	v_trig_preop_f64 v[19:20], |v[3:4]|, 2
	s_mov_b32 s0, 0
	s_mov_b32 s1, 0x7ff00000
	v_mov_b32_e32 v31, 0x40100000
	v_mov_b32_e32 v30, 0
	v_cndmask_b32_e32 v12, v13, v12, vcc
	v_cndmask_b32_e32 v11, v3, v11, vcc
	s_mov_b32 s5, 0x3ff921fb
	v_mul_f64 v[13:14], v[5:6], v[11:12]
	v_mul_f64 v[15:16], v[7:8], v[11:12]
	;; [unrolled: 1-line block ×3, first 2 shown]
	v_fma_f64 v[5:6], v[5:6], v[11:12], -v[13:14]
	v_fma_f64 v[7:8], v[7:8], v[11:12], -v[15:16]
	;; [unrolled: 1-line block ×3, first 2 shown]
	v_add_f64 v[17:18], v[15:16], v[5:6]
	v_add_f64 v[21:22], v[17:18], -v[15:16]
	v_add_f64 v[28:29], v[13:14], v[17:18]
	v_add_f64 v[23:24], v[17:18], -v[21:22]
	v_add_f64 v[5:6], v[5:6], -v[21:22]
	v_add_f64 v[21:22], v[25:26], v[7:8]
	v_add_f64 v[13:14], v[28:29], -v[13:14]
	v_add_f64 v[15:16], v[15:16], -v[23:24]
	v_ldexp_f64 v[23:24], v[28:29], -2
	v_add_f64 v[32:33], v[21:22], -v[25:26]
	v_add_f64 v[13:14], v[17:18], -v[13:14]
	v_add_f64 v[5:6], v[5:6], v[15:16]
	v_fract_f64_e32 v[15:16], v[23:24]
	v_cmp_neq_f64_e64 vcc, |v[23:24]|, s[0:1]
	v_add_f64 v[7:8], v[7:8], -v[32:33]
	v_add_f64 v[17:18], v[21:22], v[5:6]
	v_ldexp_f64 v[15:16], v[15:16], 2
	v_add_f64 v[23:24], v[13:14], v[17:18]
	v_cndmask_b32_e32 v16, 0, v16, vcc
	v_cndmask_b32_e32 v15, 0, v15, vcc
	v_add_f64 v[34:35], v[17:18], -v[21:22]
	v_add_f64 v[28:29], v[23:24], v[15:16]
	v_add_f64 v[13:14], v[23:24], -v[13:14]
	v_add_f64 v[36:37], v[17:18], -v[34:35]
	;; [unrolled: 1-line block ×3, first 2 shown]
	v_cmp_gt_f64_e32 vcc, 0, v[28:29]
	v_add_f64 v[28:29], v[21:22], -v[32:33]
	v_add_f64 v[13:14], v[17:18], -v[13:14]
	;; [unrolled: 1-line block ×3, first 2 shown]
	v_cndmask_b32_e32 v31, 0, v31, vcc
	v_add_f64 v[15:16], v[15:16], v[30:31]
	v_add_f64 v[28:29], v[25:26], -v[28:29]
	v_add_f64 v[5:6], v[5:6], v[21:22]
	v_add_f64 v[38:39], v[23:24], v[15:16]
	;; [unrolled: 1-line block ×3, first 2 shown]
	v_cvt_i32_f64_e32 v33, v[38:39]
	v_add_f64 v[5:6], v[7:8], v[5:6]
	v_cvt_f64_i32_e32 v[31:32], v33
	v_add_f64 v[15:16], v[15:16], -v[31:32]
	v_add_f64 v[5:6], v[11:12], v[5:6]
	v_add_f64 v[7:8], v[23:24], v[15:16]
	;; [unrolled: 1-line block ×3, first 2 shown]
	v_mov_b32_e32 v13, 0x3ff00000
	v_add_f64 v[11:12], v[7:8], -v[15:16]
	v_cmp_le_f64_e32 vcc, 0.5, v[7:8]
	v_add_f64 v[11:12], v[23:24], -v[11:12]
	v_cndmask_b32_e32 v31, 0, v13, vcc
	v_add_f64 v[7:8], v[7:8], -v[30:31]
	v_addc_co_u32_e64 v28, s[0:1], 0, v33, vcc
	s_mov_b32 s0, 0x33145c07
	s_mov_b32 s1, 0x3c91a626
	v_add_f64 v[5:6], v[5:6], v[11:12]
	v_add_f64 v[11:12], v[7:8], v[5:6]
	v_mul_f64 v[13:14], v[11:12], s[4:5]
	v_add_f64 v[7:8], v[11:12], -v[7:8]
	v_fma_f64 v[15:16], v[11:12], s[4:5], -v[13:14]
	v_add_f64 v[5:6], v[5:6], -v[7:8]
	v_fma_f64 v[7:8], v[11:12], s[0:1], v[15:16]
	v_fma_f64 v[7:8], v[5:6], s[4:5], v[7:8]
	v_add_f64 v[5:6], v[13:14], v[7:8]
	v_add_f64 v[11:12], v[5:6], -v[13:14]
	v_add_f64 v[7:8], v[7:8], -v[11:12]
	s_andn2_saveexec_b64 s[0:1], s[8:9]
	s_cbranch_execz .LBB7_216
	s_branch .LBB7_215
.LBB7_214:
	s_andn2_saveexec_b64 s[0:1], s[8:9]
	s_cbranch_execz .LBB7_216
.LBB7_215:
	s_mov_b32 s4, 0x6dc9c883
	s_mov_b32 s5, 0x3fe45f30
	v_mul_f64 v[5:6], |v[3:4]|, s[4:5]
	s_mov_b32 s4, 0x54442d18
	s_mov_b32 s5, 0xbff921fb
	;; [unrolled: 1-line block ×4, first 2 shown]
	v_rndne_f64_e32 v[11:12], v[5:6]
	v_fma_f64 v[5:6], v[11:12], s[4:5], |v[3:4]|
	v_mul_f64 v[7:8], v[11:12], s[8:9]
	s_mov_b32 s4, 0x252049c0
	s_mov_b32 s5, 0xb97b839a
	v_cvt_i32_f64_e32 v28, v[11:12]
	v_fma_f64 v[17:18], v[11:12], s[8:9], v[5:6]
	v_add_f64 v[13:14], v[5:6], v[7:8]
	s_mov_b32 s9, 0x3c91a626
	v_add_f64 v[15:16], v[5:6], -v[13:14]
	v_add_f64 v[13:14], v[13:14], -v[17:18]
	v_add_f64 v[5:6], v[15:16], v[7:8]
	v_fma_f64 v[7:8], v[11:12], s[8:9], v[7:8]
	v_add_f64 v[5:6], v[13:14], v[5:6]
	v_add_f64 v[5:6], v[5:6], -v[7:8]
	v_fma_f64 v[7:8], v[11:12], s[4:5], v[5:6]
	v_add_f64 v[5:6], v[17:18], v[7:8]
	v_add_f64 v[13:14], v[5:6], -v[17:18]
	v_add_f64 v[7:8], v[7:8], -v[13:14]
.LBB7_216:
	s_or_b64 exec, exec, s[0:1]
                                        ; implicit-def: $vgpr29
                                        ; implicit-def: $vgpr11_vgpr12
                                        ; implicit-def: $vgpr13_vgpr14
	s_and_saveexec_b64 s[0:1], s[2:3]
	s_xor_b64 s[2:3], exec, s[0:1]
	s_cbranch_execz .LBB7_218
; %bb.217:
	v_trig_preop_f64 v[11:12], |v[3:4]|, 0
	s_mov_b32 s0, 0
	s_mov_b32 s1, 0x7b000000
	s_movk_i32 s4, 0xff80
	v_ldexp_f64 v[15:16], |v[3:4]|, s4
	v_cmp_ge_f64_e64 vcc, |v[3:4]|, s[0:1]
	v_trig_preop_f64 v[13:14], |v[3:4]|, 1
	v_and_b32_e32 v17, 0x7fffffff, v4
	v_trig_preop_f64 v[23:24], |v[3:4]|, 2
	s_mov_b32 s0, 0
	s_mov_b32 s1, 0x7ff00000
	v_mov_b32_e32 v36, 0x40100000
	v_mov_b32_e32 v35, 0
	v_cndmask_b32_e32 v16, v17, v16, vcc
	v_cndmask_b32_e32 v15, v3, v15, vcc
	s_mov_b32 s4, 0x33145c07
	v_mul_f64 v[17:18], v[11:12], v[15:16]
	s_mov_b32 s5, 0x3c91a626
	v_mul_f64 v[19:20], v[13:14], v[15:16]
	v_mul_f64 v[31:32], v[23:24], v[15:16]
	v_fma_f64 v[11:12], v[11:12], v[15:16], -v[17:18]
	v_fma_f64 v[13:14], v[13:14], v[15:16], -v[19:20]
	;; [unrolled: 1-line block ×3, first 2 shown]
	v_add_f64 v[21:22], v[19:20], v[11:12]
	v_add_f64 v[25:26], v[21:22], -v[19:20]
	v_add_f64 v[33:34], v[17:18], v[21:22]
	v_add_f64 v[29:30], v[21:22], -v[25:26]
	v_add_f64 v[11:12], v[11:12], -v[25:26]
	v_add_f64 v[25:26], v[31:32], v[13:14]
	v_add_f64 v[17:18], v[33:34], -v[17:18]
	v_add_f64 v[19:20], v[19:20], -v[29:30]
	v_ldexp_f64 v[29:30], v[33:34], -2
	v_add_f64 v[37:38], v[25:26], -v[31:32]
	v_add_f64 v[17:18], v[21:22], -v[17:18]
	v_add_f64 v[11:12], v[11:12], v[19:20]
	v_fract_f64_e32 v[19:20], v[29:30]
	v_cmp_neq_f64_e64 vcc, |v[29:30]|, s[0:1]
	v_add_f64 v[13:14], v[13:14], -v[37:38]
	v_add_f64 v[21:22], v[25:26], v[11:12]
	v_ldexp_f64 v[19:20], v[19:20], 2
	v_add_f64 v[29:30], v[17:18], v[21:22]
	v_cndmask_b32_e32 v20, 0, v20, vcc
	v_cndmask_b32_e32 v19, 0, v19, vcc
	v_add_f64 v[39:40], v[21:22], -v[25:26]
	v_add_f64 v[33:34], v[29:30], v[19:20]
	v_add_f64 v[17:18], v[29:30], -v[17:18]
	v_add_f64 v[41:42], v[21:22], -v[39:40]
	v_add_f64 v[11:12], v[11:12], -v[39:40]
	v_cmp_gt_f64_e32 vcc, 0, v[33:34]
	v_add_f64 v[33:34], v[25:26], -v[37:38]
	v_add_f64 v[17:18], v[21:22], -v[17:18]
	v_add_f64 v[25:26], v[25:26], -v[41:42]
	v_cndmask_b32_e32 v36, 0, v36, vcc
	v_add_f64 v[19:20], v[19:20], v[35:36]
	v_add_f64 v[33:34], v[31:32], -v[33:34]
	v_add_f64 v[11:12], v[11:12], v[25:26]
	v_add_f64 v[43:44], v[29:30], v[19:20]
	;; [unrolled: 1-line block ×3, first 2 shown]
	v_cvt_i32_f64_e32 v38, v[43:44]
	v_add_f64 v[11:12], v[13:14], v[11:12]
	v_cvt_f64_i32_e32 v[36:37], v38
	v_add_f64 v[19:20], v[19:20], -v[36:37]
	v_add_f64 v[11:12], v[15:16], v[11:12]
	v_add_f64 v[13:14], v[29:30], v[19:20]
	;; [unrolled: 1-line block ×3, first 2 shown]
	v_mov_b32_e32 v17, 0x3ff00000
	v_add_f64 v[15:16], v[13:14], -v[19:20]
	v_cmp_le_f64_e32 vcc, 0.5, v[13:14]
	v_add_f64 v[15:16], v[29:30], -v[15:16]
	v_cndmask_b32_e32 v36, 0, v17, vcc
	v_add_f64 v[13:14], v[13:14], -v[35:36]
	v_addc_co_u32_e64 v29, s[0:1], 0, v38, vcc
	s_mov_b32 s0, 0x54442d18
	s_mov_b32 s1, 0x3ff921fb
	v_add_f64 v[11:12], v[11:12], v[15:16]
	v_add_f64 v[15:16], v[13:14], v[11:12]
	v_mul_f64 v[17:18], v[15:16], s[0:1]
	v_add_f64 v[13:14], v[15:16], -v[13:14]
	v_fma_f64 v[19:20], v[15:16], s[0:1], -v[17:18]
	v_add_f64 v[11:12], v[11:12], -v[13:14]
	v_fma_f64 v[13:14], v[15:16], s[4:5], v[19:20]
	v_fma_f64 v[13:14], v[11:12], s[0:1], v[13:14]
	v_add_f64 v[11:12], v[17:18], v[13:14]
	v_add_f64 v[15:16], v[11:12], -v[17:18]
	v_add_f64 v[13:14], v[13:14], -v[15:16]
	s_andn2_saveexec_b64 s[0:1], s[2:3]
	s_cbranch_execnz .LBB7_219
	s_branch .LBB7_220
.LBB7_218:
	s_andn2_saveexec_b64 s[0:1], s[2:3]
	s_cbranch_execz .LBB7_220
.LBB7_219:
	s_mov_b32 s2, 0x6dc9c883
	s_mov_b32 s3, 0x3fe45f30
	v_mul_f64 v[11:12], |v[3:4]|, s[2:3]
	s_mov_b32 s2, 0x54442d18
	s_mov_b32 s3, 0xbff921fb
	;; [unrolled: 1-line block ×4, first 2 shown]
	v_rndne_f64_e32 v[15:16], v[11:12]
	v_fma_f64 v[11:12], v[15:16], s[2:3], |v[3:4]|
	v_mul_f64 v[13:14], v[15:16], s[4:5]
	s_mov_b32 s2, 0x252049c0
	s_mov_b32 s3, 0xb97b839a
	v_cvt_i32_f64_e32 v29, v[15:16]
	v_fma_f64 v[21:22], v[15:16], s[4:5], v[11:12]
	v_add_f64 v[17:18], v[11:12], v[13:14]
	s_mov_b32 s5, 0x3c91a626
	v_add_f64 v[19:20], v[11:12], -v[17:18]
	v_add_f64 v[17:18], v[17:18], -v[21:22]
	v_add_f64 v[11:12], v[19:20], v[13:14]
	v_fma_f64 v[13:14], v[15:16], s[4:5], v[13:14]
	v_add_f64 v[11:12], v[17:18], v[11:12]
	v_add_f64 v[11:12], v[11:12], -v[13:14]
	v_fma_f64 v[13:14], v[15:16], s[2:3], v[11:12]
	v_add_f64 v[11:12], v[21:22], v[13:14]
	v_add_f64 v[17:18], v[11:12], -v[21:22]
	v_add_f64 v[13:14], v[13:14], -v[17:18]
.LBB7_220:
	s_or_b64 exec, exec, s[0:1]
	s_mov_b32 s10, 0
	s_mov_b32 s11, 0x40390000
	v_div_scale_f64 v[15:16], s[0:1], v[9:10], v[9:10], s[10:11]
	s_mov_b32 s12, 0xb35dd1cf
	s_mov_b32 s14, 0xab5454e3
	;; [unrolled: 1-line block ×14, first 2 shown]
	v_rcp_f64_e32 v[17:18], v[15:16]
	s_mov_b32 s0, 0xa59425a1
	s_mov_b32 s50, 0xed423a19
	;; [unrolled: 1-line block ×6, first 2 shown]
	s_brev_b32 s63, 8
	s_mov_b32 s61, 0xbe5ae600
	s_mov_b32 s52, 0xf9a43bb8
	v_mov_b32_e32 v54, s60
	s_mov_b32 s53, 0x3de5e0b2
	v_mov_b32_e32 v55, s61
	v_mov_b32_e32 v56, 0x100
	s_mov_b32 s54, 0x796cde01
	s_mov_b32 s55, 0x3ec71de3
	v_fma_f64 v[19:20], -v[15:16], v[17:18], 1.0
	v_mov_b32_e32 v63, 0x7ff80000
	v_and_b32_e32 v62, 1, v28
	v_fma_f64 v[17:18], v[17:18], v[19:20], v[17:18]
	v_div_scale_f64 v[19:20], vcc, s[10:11], v[9:10], s[10:11]
	v_fma_f64 v[21:22], -v[15:16], v[17:18], 1.0
	v_fma_f64 v[17:18], v[17:18], v[21:22], v[17:18]
	v_mul_f64 v[21:22], v[19:20], v[17:18]
	v_fma_f64 v[15:16], -v[15:16], v[21:22], v[19:20]
	v_div_fmas_f64 v[15:16], v[15:16], v[17:18], v[21:22]
	v_mov_b32_e32 v17, 0x983b6b27
	v_mov_b32_e32 v18, 0x3f4a1d30
	;; [unrolled: 1-line block ×4, first 2 shown]
	v_div_fixup_f64 v[19:20], v[15:16], v[9:10], s[10:11]
	s_mov_b32 s10, 0xea1b21a1
	s_mov_b32 s11, 0x40218618
	v_fma_f64 v[9:10], v[19:20], 0, v[21:22]
	v_fma_f64 v[15:16], v[19:20], 0, v[17:18]
	v_mov_b32_e32 v17, 0x38a5384a
	v_mov_b32_e32 v18, 0xbf874742
	v_fma_f64 v[17:18], v[19:20], 0, v[17:18]
	v_mov_b32_e32 v21, 0x413c25ac
	v_mov_b32_e32 v22, 0x40501457
	v_fma_f64 v[21:22], v[19:20], 0, v[21:22]
	v_fma_f64 v[9:10], v[19:20], v[9:10], s[14:15]
	v_fma_f64 v[15:16], v[19:20], v[15:16], s[12:13]
	s_mov_b32 s12, 0x3a321174
	s_mov_b32 s13, 0xbff4853b
	v_fma_f64 v[17:18], v[19:20], v[17:18], s[12:13]
	s_mov_b32 s12, 0xb1759c7f
	s_mov_b32 s13, 0x408ac370
	v_fma_f64 v[21:22], v[19:20], v[21:22], s[12:13]
	v_fma_f64 v[9:10], v[19:20], v[9:10], s[28:29]
	v_fma_f64 v[15:16], v[19:20], v[15:16], s[8:9]
	s_mov_b32 s8, 0xf50e2c0c
	s_mov_b32 s9, 0xc0338dcf
	v_fma_f64 v[17:18], v[19:20], v[17:18], s[8:9]
	s_mov_b32 s8, 0xbd748cb5
	s_mov_b32 s9, 0x40ae54cd
	;; [unrolled: 8-line block ×5, first 2 shown]
	s_mov_b32 s1, 0xc049b48c
	v_fma_f64 v[9:10], v[19:20], v[9:10], 1.0
	v_fma_f64 v[15:16], v[19:20], v[15:16], 1.0
	s_mov_b32 s3, 0x40a01c2f
	v_fma_f64 v[23:24], v[19:20], v[21:22], s[2:3]
	v_fma_f64 v[25:26], v[19:20], v[17:18], s[0:1]
	s_mov_b32 s2, 0x6280a54
	s_mov_b32 s8, 0
	;; [unrolled: 1-line block ×4, first 2 shown]
	v_div_scale_f64 v[21:22], s[0:1], v[9:10], v[9:10], v[15:16]
	s_mov_b32 s0, 0xd1b9a1dd
	s_mov_b32 s1, 0xc0183358
	v_fma_f64 v[17:18], v[19:20], v[23:24], s[2:3]
	v_fma_f64 v[19:20], v[19:20], v[25:26], s[0:1]
	v_div_scale_f64 v[25:26], s[0:1], v[1:2], v[1:2], s[8:9]
	v_div_scale_f64 v[40:41], vcc, v[15:16], v[9:10], v[15:16]
	v_mul_f64 v[23:24], v[5:6], v[5:6]
	s_mov_b32 s28, 0x46cc5e42
	s_mov_b32 s29, 0xbda907db
	v_div_scale_f64 v[30:31], s[0:1], v[17:18], v[17:18], v[19:20]
	v_div_scale_f64 v[48:49], s[4:5], v[19:20], v[17:18], v[19:20]
	v_rcp_f64_e32 v[32:33], v[21:22]
	s_mov_b32 s0, 0x9037ab78
	s_mov_b32 s1, 0x3e21eeb6
	v_fma_f64 v[58:59], v[23:24], s[52:53], v[54:55]
	s_mov_b32 s50, 0x19e83e5c
	v_rcp_f64_e32 v[34:35], v[25:26]
	s_mov_b32 s51, 0xbf2a01a0
	s_mov_b32 s14, 0xa17f65f6
	;; [unrolled: 1-line block ×6, first 2 shown]
	v_rcp_f64_e32 v[36:37], v[30:31]
	s_mov_b32 s13, 0x3efa01a0
	s_mov_b32 s10, 0x16c16967
	;; [unrolled: 1-line block ×3, first 2 shown]
	v_fma_f64 v[38:39], -v[21:22], v[32:33], 1.0
	v_fma_f64 v[32:33], v[32:33], v[38:39], v[32:33]
	v_fma_f64 v[38:39], -v[25:26], v[34:35], 1.0
	v_fma_f64 v[42:43], -v[30:31], v[36:37], 1.0
	;; [unrolled: 1-line block ×3, first 2 shown]
	v_fma_f64 v[34:35], v[34:35], v[38:39], v[34:35]
	v_mul_f64 v[38:39], v[7:8], 0.5
	v_fma_f64 v[36:37], v[36:37], v[42:43], v[36:37]
	v_mul_f64 v[42:43], v[11:12], v[11:12]
	v_fma_f64 v[32:33], v[32:33], v[44:45], v[32:33]
	v_div_scale_f64 v[44:45], s[2:3], s[8:9], v[1:2], s[8:9]
	v_fma_f64 v[46:47], -v[25:26], v[34:35], 1.0
	v_fma_f64 v[50:51], -v[30:31], v[36:37], 1.0
	v_mul_f64 v[52:53], v[40:41], v[32:33]
	v_fma_f64 v[34:35], v[34:35], v[46:47], v[34:35]
	v_mov_b32_e32 v47, s1
	v_mov_b32_e32 v46, s0
	v_fma_f64 v[36:37], v[36:37], v[50:51], v[36:37]
	v_cmp_gt_f64_e64 s[0:1], s[62:63], v[1:2]
	v_fma_f64 v[21:22], -v[21:22], v[52:53], v[40:41]
	v_mul_f64 v[50:51], v[44:45], v[34:35]
	v_mul_f64 v[60:61], v[48:49], v[36:37]
	v_cndmask_b32_e64 v40, 0, v56, s[0:1]
	v_mul_f64 v[56:57], v[23:24], 0.5
	v_div_fmas_f64 v[21:22], v[21:22], v[32:33], v[52:53]
	v_mul_f64 v[32:33], v[42:43], 0.5
	v_fma_f64 v[52:53], v[23:24], s[28:29], v[46:47]
	v_fma_f64 v[25:26], -v[25:26], v[50:51], v[44:45]
	v_fma_f64 v[44:45], v[42:43], s[28:29], v[46:47]
	v_fma_f64 v[46:47], v[42:43], s[52:53], v[54:55]
	v_ldexp_f64 v[40:41], v[1:2], v40
	v_fma_f64 v[54:55], v[23:24], v[58:59], s[54:55]
	v_add_f64 v[58:59], -v[56:57], 1.0
	v_fma_f64 v[30:31], -v[30:31], v[60:61], v[48:49]
	v_add_f64 v[48:49], -v[32:33], 1.0
	s_mov_b64 vcc, s[2:3]
	v_div_fmas_f64 v[25:26], v[25:26], v[34:35], v[50:51]
	v_fma_f64 v[46:47], v[42:43], v[46:47], s[54:55]
	v_rsq_f64_e32 v[34:35], v[40:41]
	v_fma_f64 v[50:51], v[23:24], v[54:55], s[50:51]
	s_mov_b64 vcc, s[4:5]
	v_add_f64 v[54:55], -v[58:59], 1.0
	v_div_fmas_f64 v[30:31], v[30:31], v[36:37], v[60:61]
	v_add_f64 v[36:37], -v[48:49], 1.0
	v_fma_f64 v[44:45], v[42:43], v[44:45], s[14:15]
	v_fma_f64 v[46:47], v[42:43], v[46:47], s[50:51]
	v_mul_f64 v[60:61], v[5:6], -v[23:24]
	v_fma_f64 v[50:51], v[23:24], v[50:51], s[30:31]
	v_fma_f64 v[52:53], v[23:24], v[52:53], s[14:15]
	v_add_f64 v[54:55], v[54:55], -v[56:57]
	v_mul_f64 v[56:57], v[13:14], 0.5
	v_add_f64 v[32:33], v[36:37], -v[32:33]
	v_mul_f64 v[36:37], v[11:12], -v[42:43]
	v_fma_f64 v[44:45], v[42:43], v[44:45], s[12:13]
	v_fma_f64 v[46:47], v[42:43], v[46:47], s[30:31]
	;; [unrolled: 1-line block ×3, first 2 shown]
	v_mul_f64 v[50:51], v[40:41], v[34:35]
	v_mul_f64 v[34:35], v[34:35], 0.5
	v_fma_f64 v[52:53], v[23:24], v[52:53], s[12:13]
	s_mov_b32 s2, 0x55555555
	s_mov_b32 s3, 0x3fa55555
	v_fma_f64 v[44:45], v[42:43], v[44:45], s[10:11]
	v_fma_f64 v[46:47], v[36:37], v[46:47], v[56:57]
	v_fma_f64 v[54:55], v[5:6], -v[7:8], v[54:55]
	v_fma_f64 v[7:8], v[23:24], v[38:39], -v[7:8]
	v_fma_f64 v[56:57], -v[34:35], v[50:51], 0.5
	v_fma_f64 v[52:53], v[23:24], v[52:53], s[10:11]
	s_mov_b32 s5, 0xbfc55555
	s_mov_b32 s4, s2
	v_fma_f64 v[44:45], v[42:43], v[44:45], s[2:3]
	v_fma_f64 v[46:47], v[42:43], v[46:47], -v[13:14]
	v_mul_f64 v[42:43], v[42:43], v[42:43]
	v_fma_f64 v[13:14], v[11:12], -v[13:14], v[32:33]
	v_fma_f64 v[50:51], v[50:51], v[56:57], v[50:51]
	v_fma_f64 v[38:39], v[23:24], v[52:53], s[2:3]
	v_mul_f64 v[23:24], v[23:24], v[23:24]
	v_fma_f64 v[32:33], v[34:35], v[56:57], v[34:35]
	v_fma_f64 v[7:8], v[60:61], s[4:5], v[7:8]
	v_fma_f64 v[36:37], v[36:37], s[4:5], v[46:47]
	v_div_fixup_f64 v[1:2], v[25:26], v[1:2], s[8:9]
	v_fma_f64 v[13:14], v[42:43], v[44:45], v[13:14]
	v_fma_f64 v[34:35], -v[50:51], v[50:51], v[40:41]
	v_div_fixup_f64 v[17:18], v[30:31], v[17:18], v[19:20]
	v_fma_f64 v[23:24], v[23:24], v[38:39], v[54:55]
	s_movk_i32 s10, 0x1f8
	v_add_f64 v[5:6], v[5:6], -v[7:8]
	v_add_f64 v[11:12], v[11:12], -v[36:37]
	v_cmp_class_f64_e64 s[2:3], v[3:4], s10
	v_add_f64 v[13:14], v[48:49], v[13:14]
	v_fma_f64 v[7:8], v[34:35], v[32:33], v[50:51]
	v_mul_f64 v[1:2], v[1:2], v[17:18]
	v_and_b32_e32 v38, 1, v29
	v_lshlrev_b32_e32 v29, 30, v29
	v_xor_b32_e32 v29, v29, v4
	v_cmp_eq_u32_e64 s[4:5], 0, v38
	v_add_f64 v[23:24], v[58:59], v[23:24]
	v_and_b32_e32 v19, 0x80000000, v29
	v_cndmask_b32_e64 v12, v14, v12, s[4:5]
	v_cndmask_b32_e64 v11, v13, v11, s[4:5]
	v_xor_b32_e32 v12, v12, v19
	v_fma_f64 v[3:4], -v[7:8], v[7:8], v[40:41]
	v_cndmask_b32_e64 v11, 0, v11, s[2:3]
	v_cndmask_b32_e64 v12, v63, v12, s[2:3]
	v_div_fixup_f64 v[9:10], v[21:22], v[9:10], v[15:16]
	v_mul_f64 v[1:2], v[1:2], v[11:12]
	v_cmp_eq_u32_e32 vcc, 0, v62
	v_lshlrev_b32_e32 v11, 30, v28
	v_xor_b32_e32 v6, 0x80000000, v6
	v_and_b32_e32 v11, 0x80000000, v11
	v_cndmask_b32_e32 v6, v6, v24, vcc
	v_cndmask_b32_e32 v5, v5, v23, vcc
	v_xor_b32_e32 v6, v6, v11
	v_cndmask_b32_e64 v5, 0, v5, s[2:3]
	v_fma_f64 v[3:4], v[3:4], v[32:33], v[7:8]
	v_cndmask_b32_e64 v6, v63, v6, s[2:3]
	v_fma_f64 v[1:2], v[9:10], v[5:6], v[1:2]
	v_mov_b32_e32 v5, 0xffffff80
	s_mov_b32 s2, 0x33d43651
	v_mov_b32_e32 v6, 0x260
	v_cndmask_b32_e64 v5, 0, v5, s[0:1]
	s_mov_b32 s3, 0x3fe98845
	v_ldexp_f64 v[3:4], v[3:4], v5
	v_cmp_class_f64_e32 vcc, v[40:41], v6
	v_mul_f64 v[1:2], v[1:2], s[2:3]
	v_cndmask_b32_e32 v4, v4, v41, vcc
	v_cndmask_b32_e32 v3, v3, v40, vcc
	v_div_scale_f64 v[5:6], s[0:1], v[3:4], v[3:4], v[1:2]
	v_div_scale_f64 v[11:12], vcc, v[1:2], v[3:4], v[1:2]
	v_rcp_f64_e32 v[7:8], v[5:6]
	v_fma_f64 v[9:10], -v[5:6], v[7:8], 1.0
	v_fma_f64 v[7:8], v[7:8], v[9:10], v[7:8]
	v_fma_f64 v[9:10], -v[5:6], v[7:8], 1.0
	v_fma_f64 v[7:8], v[7:8], v[9:10], v[7:8]
	v_mul_f64 v[9:10], v[11:12], v[7:8]
	v_fma_f64 v[5:6], -v[5:6], v[9:10], v[11:12]
	v_div_fmas_f64 v[5:6], v[5:6], v[7:8], v[9:10]
	v_div_fixup_f64 v[3:4], v[5:6], v[3:4], v[1:2]
.LBB7_221:
	s_or_b64 exec, exec, s[6:7]
	v_add_u32_e32 v27, 0x80, v27
	global_store_dwordx2 v0, v[3:4], s[16:17]
	s_or_b64 exec, exec, s[48:49]
	v_cmp_gt_i32_e32 vcc, s57, v27
	s_and_saveexec_b64 s[48:49], vcc
	s_cbranch_execz .LBB7_196
.LBB7_222:
	s_andn2_b64 vcc, exec, s[36:37]
	s_cbranch_vccnz .LBB7_227
; %bb.223:
	s_andn2_b64 vcc, exec, s[46:47]
	s_cbranch_vccnz .LBB7_228
; %bb.224:
	s_add_i32 s58, s58, 1
	s_cmp_eq_u32 s56, 2
	s_cbranch_scc1 .LBB7_229
; %bb.225:
	s_and_b32 s50, s58, 28
	v_mov_b32_e32 v2, 0
	s_mov_b32 s51, 0
	s_mov_b64 s[46:47], s[34:35]
	v_mov_b32_e32 v0, 0
	v_mov_b32_e32 v1, v27
.LBB7_226:                              ; =>This Inner Loop Header: Depth=1
	s_load_dwordx8 s[8:15], s[46:47], 0x4
	s_load_dwordx4 s[28:31], s[46:47], 0x24
	s_load_dwordx8 s[0:7], s[44:45], 0x0
	s_add_u32 s46, s46, 48
	s_addc_u32 s47, s47, 0
	s_waitcnt lgkmcnt(0)
	v_mul_hi_u32 v3, s9, v1
	s_add_i32 s51, s51, 4
	s_add_u32 s44, s44, 32
	s_addc_u32 s45, s45, 0
	v_add_u32_e32 v3, v1, v3
	v_lshrrev_b32_e32 v3, s10, v3
	v_mul_lo_u32 v4, v3, s8
	v_mul_hi_u32 v5, s12, v3
	s_cmp_eq_u32 s50, s51
	v_sub_u32_e32 v1, v1, v4
	v_add_u32_e32 v4, v3, v5
	v_mul_lo_u32 v5, v1, s0
	v_mul_lo_u32 v6, v1, s1
	v_lshrrev_b32_e32 v1, s13, v4
	v_mul_lo_u32 v4, v1, s11
	v_mul_hi_u32 v7, s15, v1
	v_sub_u32_e32 v3, v3, v4
	v_add_u32_e32 v4, v1, v7
	v_lshrrev_b32_e32 v4, s28, v4
	v_mul_hi_u32 v8, s30, v4
	v_mul_lo_u32 v9, v4, s14
	v_mul_lo_u32 v7, v3, s2
	v_mul_lo_u32 v3, v3, s3
	v_sub_u32_e32 v9, v1, v9
	v_add_u32_e32 v1, v4, v8
	v_lshrrev_b32_e32 v1, s31, v1
	v_mul_lo_u32 v8, v1, s29
	v_mul_lo_u32 v10, v9, s4
	;; [unrolled: 1-line block ×3, first 2 shown]
	v_add3_u32 v0, v5, v0, v7
	v_sub_u32_e32 v4, v4, v8
	v_mul_lo_u32 v8, v4, s6
	v_mul_lo_u32 v4, v4, s7
	v_add3_u32 v2, v6, v2, v3
	v_add3_u32 v0, v10, v0, v8
	v_add3_u32 v2, v9, v2, v4
	s_cbranch_scc0 .LBB7_226
	s_branch .LBB7_230
.LBB7_227:
                                        ; implicit-def: $vgpr0
                                        ; implicit-def: $vgpr2
	s_branch .LBB7_234
.LBB7_228:
	v_mov_b32_e32 v0, 0
	v_mov_b32_e32 v2, 0
	s_branch .LBB7_233
.LBB7_229:
	s_mov_b32 s50, 0
	v_mov_b32_e32 v0, 0
	v_mov_b32_e32 v2, 0
	;; [unrolled: 1-line block ×3, first 2 shown]
.LBB7_230:
	s_and_b32 s4, s58, 3
	s_cmp_eq_u32 s4, 0
	s_cbranch_scc1 .LBB7_233
; %bb.231:
	s_lshl_b32 s0, s50, 3
	s_add_u32 s0, s34, s0
	s_addc_u32 s1, s35, 0
	s_add_u32 s0, s0, 0xc4
	s_addc_u32 s1, s1, 0
	s_mul_i32 s2, s50, 12
	s_add_u32 s2, s34, s2
	s_addc_u32 s3, s35, 0
.LBB7_232:                              ; =>This Inner Loop Header: Depth=1
	s_load_dwordx2 s[6:7], s[2:3], 0x4
	s_load_dword s5, s[2:3], 0xc
	s_load_dwordx2 s[8:9], s[0:1], 0x0
	s_add_u32 s2, s2, 12
	s_addc_u32 s3, s3, 0
	s_waitcnt lgkmcnt(0)
	v_mul_hi_u32 v3, s7, v1
	s_add_u32 s0, s0, 8
	s_addc_u32 s1, s1, 0
	s_add_i32 s4, s4, -1
	v_add_u32_e32 v3, v1, v3
	v_lshrrev_b32_e32 v4, s5, v3
	v_mul_lo_u32 v3, v4, s6
	s_cmp_lg_u32 s4, 0
	v_sub_u32_e32 v3, v1, v3
	v_mad_u64_u32 v[0:1], s[6:7], v3, s8, v[0:1]
	v_mad_u64_u32 v[2:3], s[6:7], v3, s9, v[2:3]
	v_mov_b32_e32 v1, v4
	s_cbranch_scc1 .LBB7_232
.LBB7_233:
	s_cbranch_execnz .LBB7_236
.LBB7_234:
	s_waitcnt lgkmcnt(0)
	v_mul_hi_u32 v0, s25, v27
	s_andn2_b64 vcc, exec, s[42:43]
	v_add_u32_e32 v0, v27, v0
	v_lshrrev_b32_e32 v1, s26, v0
	v_mul_lo_u32 v0, v1, s24
	v_sub_u32_e32 v2, v27, v0
	v_mul_lo_u32 v0, v2, s20
	v_mul_lo_u32 v2, v2, s21
	s_cbranch_vccnz .LBB7_236
; %bb.235:
	v_mul_hi_u32 v3, s40, v1
	v_add_u32_e32 v3, v1, v3
	v_lshrrev_b32_e32 v3, s41, v3
	v_mul_lo_u32 v3, v3, s27
	v_sub_u32_e32 v3, v1, v3
	v_mad_u64_u32 v[0:1], s[0:1], v3, s22, v[0:1]
	v_mad_u64_u32 v[2:3], s[0:1], v3, s23, v[2:3]
.LBB7_236:
	s_waitcnt lgkmcnt(0)
	global_load_dwordx2 v[1:2], v2, s[18:19]
	s_mov_b32 s0, 0
	s_mov_b32 s1, 0x40140000
	s_waitcnt vmcnt(0)
	v_cmp_gt_f64_e32 vcc, 0, v[1:2]
	v_xor_b32_e32 v3, 0x80000000, v2
	v_cndmask_b32_e32 v2, v2, v3, vcc
	v_cmp_ge_f64_e32 vcc, s[0:1], v[1:2]
	v_mul_f64 v[9:10], v[1:2], v[1:2]
                                        ; implicit-def: $vgpr3_vgpr4
	s_and_saveexec_b64 s[0:1], vcc
	s_xor_b64 s[0:1], exec, s[0:1]
	s_cbranch_execz .LBB7_242
; %bb.237:
	s_mov_b32 s2, 0x88e368f1
	s_mov_b32 s3, 0x3ee4f8b5
	v_cmp_ngt_f64_e32 vcc, s[2:3], v[1:2]
                                        ; implicit-def: $vgpr3_vgpr4
	s_and_saveexec_b64 s[2:3], vcc
	s_xor_b64 s[2:3], exec, s[2:3]
	s_cbranch_execz .LBB7_239
; %bb.238:
	v_mov_b32_e32 v1, 0xa696b78c
	v_mov_b32_e32 v2, 0x407f3902
	v_fma_f64 v[1:2], v[9:10], 0, v[1:2]
	s_mov_b32 s4, 0x36a21a67
	s_mov_b32 s5, 0x410536cb
	;; [unrolled: 1-line block ×3, first 2 shown]
	v_mov_b32_e32 v3, 0xad1c8325
	v_mov_b32_e32 v4, 0xc1f1dc53
	s_mov_b32 s7, 0x4204d5b0
	v_fma_f64 v[3:4], v[9:10], 0, v[3:4]
	v_fma_f64 v[1:2], v[9:10], v[1:2], s[4:5]
	s_mov_b32 s4, 0x2eac0634
	s_mov_b32 s5, 0x41871934
	;; [unrolled: 1-line block ×6, first 2 shown]
	v_fma_f64 v[1:2], v[9:10], v[1:2], s[4:5]
	s_mov_b32 s4, 0xc772990d
	s_mov_b32 s5, 0x427c7751
	v_fma_f64 v[3:4], v[9:10], v[3:4], s[4:5]
	s_mov_b32 s4, 0x80462bbb
	s_mov_b32 s5, 0xc01721fb
	v_add_f64 v[5:6], v[9:10], s[4:5]
	s_mov_b32 s4, 0x7e7b2e9c
	v_fma_f64 v[1:2], v[9:10], v[1:2], s[6:7]
	s_mov_b32 s6, 0xe0d900f7
	s_mov_b32 s7, 0xc2ec5614
	v_fma_f64 v[3:4], v[9:10], v[3:4], s[6:7]
	s_mov_b32 s6, 0x69ff5fb4
	s_mov_b32 s5, 0x435c4141
	;; [unrolled: 1-line block ×3, first 2 shown]
	v_fma_f64 v[1:2], v[9:10], v[1:2], s[8:9]
	s_mov_b32 s8, 0xa621dd6f
	s_mov_b32 s9, 0xc03e78a4
	v_add_f64 v[7:8], v[9:10], s[8:9]
	v_fma_f64 v[3:4], v[9:10], v[3:4], s[6:7]
	v_fma_f64 v[1:2], v[9:10], v[1:2], s[10:11]
	v_mul_f64 v[5:6], v[5:6], v[7:8]
	v_fma_f64 v[1:2], v[9:10], v[1:2], s[4:5]
	s_mov_b32 s4, 0xc7b662cc
	s_mov_b32 s5, 0x43b7be34
	v_mul_f64 v[3:4], v[5:6], v[3:4]
	v_fma_f64 v[1:2], v[9:10], v[1:2], s[4:5]
	v_div_scale_f64 v[5:6], s[4:5], v[1:2], v[1:2], v[3:4]
	v_div_scale_f64 v[11:12], vcc, v[3:4], v[1:2], v[3:4]
	v_rcp_f64_e32 v[7:8], v[5:6]
	v_fma_f64 v[9:10], -v[5:6], v[7:8], 1.0
	v_fma_f64 v[7:8], v[7:8], v[9:10], v[7:8]
	v_fma_f64 v[9:10], -v[5:6], v[7:8], 1.0
	v_fma_f64 v[7:8], v[7:8], v[9:10], v[7:8]
	v_mul_f64 v[9:10], v[11:12], v[7:8]
	v_fma_f64 v[5:6], -v[5:6], v[9:10], v[11:12]
	v_div_fmas_f64 v[5:6], v[5:6], v[7:8], v[9:10]
                                        ; implicit-def: $vgpr9_vgpr10
	v_div_fixup_f64 v[3:4], v[5:6], v[1:2], v[3:4]
.LBB7_239:
	s_andn2_saveexec_b64 s[2:3], s[2:3]
	s_cbranch_execz .LBB7_241
; %bb.240:
	s_mov_b32 s4, 0
	s_mov_b32 s5, 0xbfd00000
	v_fma_f64 v[3:4], v[9:10], s[4:5], 1.0
.LBB7_241:
	s_or_b64 exec, exec, s[2:3]
                                        ; implicit-def: $vgpr9_vgpr10
                                        ; implicit-def: $vgpr1_vgpr2
.LBB7_242:
	s_andn2_saveexec_b64 s[6:7], s[0:1]
	s_cbranch_execz .LBB7_252
; %bb.243:
	s_mov_b32 s5, 0xbfe921fb
	s_mov_b32 s4, 0x54442d18
	v_add_f64 v[3:4], v[1:2], s[4:5]
	s_mov_b32 s0, 0
	s_mov_b32 s1, 0x41d00000
                                        ; implicit-def: $vgpr27
                                        ; implicit-def: $vgpr5_vgpr6
                                        ; implicit-def: $vgpr7_vgpr8
	v_cmp_nlt_f64_e64 s[2:3], |v[3:4]|, s[0:1]
	s_and_saveexec_b64 s[0:1], s[2:3]
	s_xor_b64 s[8:9], exec, s[0:1]
	s_cbranch_execz .LBB7_245
; %bb.244:
	v_trig_preop_f64 v[5:6], |v[3:4]|, 0
	s_mov_b32 s0, 0
	s_mov_b32 s1, 0x7b000000
	s_movk_i32 s5, 0xff80
	v_ldexp_f64 v[11:12], |v[3:4]|, s5
	v_cmp_ge_f64_e64 vcc, |v[3:4]|, s[0:1]
	v_trig_preop_f64 v[7:8], |v[3:4]|, 1
	v_and_b32_e32 v13, 0x7fffffff, v4
	v_trig_preop_f64 v[19:20], |v[3:4]|, 2
	s_mov_b32 s0, 0
	s_mov_b32 s1, 0x7ff00000
	v_mov_b32_e32 v30, 0x40100000
	v_mov_b32_e32 v29, 0
	v_cndmask_b32_e32 v12, v13, v12, vcc
	v_cndmask_b32_e32 v11, v3, v11, vcc
	s_mov_b32 s5, 0x3ff921fb
	v_mul_f64 v[13:14], v[5:6], v[11:12]
	v_mul_f64 v[15:16], v[7:8], v[11:12]
	;; [unrolled: 1-line block ×3, first 2 shown]
	v_fma_f64 v[5:6], v[5:6], v[11:12], -v[13:14]
	v_fma_f64 v[7:8], v[7:8], v[11:12], -v[15:16]
	;; [unrolled: 1-line block ×3, first 2 shown]
	v_add_f64 v[17:18], v[15:16], v[5:6]
	v_add_f64 v[21:22], v[17:18], -v[15:16]
	v_add_f64 v[27:28], v[13:14], v[17:18]
	v_add_f64 v[23:24], v[17:18], -v[21:22]
	v_add_f64 v[5:6], v[5:6], -v[21:22]
	v_add_f64 v[21:22], v[25:26], v[7:8]
	v_add_f64 v[13:14], v[27:28], -v[13:14]
	v_add_f64 v[15:16], v[15:16], -v[23:24]
	v_ldexp_f64 v[23:24], v[27:28], -2
	v_add_f64 v[31:32], v[21:22], -v[25:26]
	v_add_f64 v[13:14], v[17:18], -v[13:14]
	v_add_f64 v[5:6], v[5:6], v[15:16]
	v_fract_f64_e32 v[15:16], v[23:24]
	v_cmp_neq_f64_e64 vcc, |v[23:24]|, s[0:1]
	v_add_f64 v[7:8], v[7:8], -v[31:32]
	v_add_f64 v[17:18], v[21:22], v[5:6]
	v_ldexp_f64 v[15:16], v[15:16], 2
	v_add_f64 v[23:24], v[13:14], v[17:18]
	v_cndmask_b32_e32 v16, 0, v16, vcc
	v_cndmask_b32_e32 v15, 0, v15, vcc
	v_add_f64 v[33:34], v[17:18], -v[21:22]
	v_add_f64 v[27:28], v[23:24], v[15:16]
	v_add_f64 v[13:14], v[23:24], -v[13:14]
	v_add_f64 v[35:36], v[17:18], -v[33:34]
	;; [unrolled: 1-line block ×3, first 2 shown]
	v_cmp_gt_f64_e32 vcc, 0, v[27:28]
	v_add_f64 v[27:28], v[21:22], -v[31:32]
	v_add_f64 v[13:14], v[17:18], -v[13:14]
	;; [unrolled: 1-line block ×3, first 2 shown]
	v_cndmask_b32_e32 v30, 0, v30, vcc
	v_add_f64 v[15:16], v[15:16], v[29:30]
	v_add_f64 v[27:28], v[25:26], -v[27:28]
	v_add_f64 v[5:6], v[5:6], v[21:22]
	v_add_f64 v[37:38], v[23:24], v[15:16]
	v_add_f64 v[7:8], v[7:8], v[27:28]
	v_cvt_i32_f64_e32 v32, v[37:38]
	v_add_f64 v[5:6], v[7:8], v[5:6]
	v_cvt_f64_i32_e32 v[30:31], v32
	v_add_f64 v[15:16], v[15:16], -v[30:31]
	v_add_f64 v[5:6], v[11:12], v[5:6]
	v_add_f64 v[7:8], v[23:24], v[15:16]
	;; [unrolled: 1-line block ×3, first 2 shown]
	v_mov_b32_e32 v13, 0x3ff00000
	v_add_f64 v[11:12], v[7:8], -v[15:16]
	v_cmp_le_f64_e32 vcc, 0.5, v[7:8]
	v_add_f64 v[11:12], v[23:24], -v[11:12]
	v_cndmask_b32_e32 v30, 0, v13, vcc
	v_add_f64 v[7:8], v[7:8], -v[29:30]
	v_addc_co_u32_e64 v27, s[0:1], 0, v32, vcc
	s_mov_b32 s0, 0x33145c07
	s_mov_b32 s1, 0x3c91a626
	v_add_f64 v[5:6], v[5:6], v[11:12]
	v_add_f64 v[11:12], v[7:8], v[5:6]
	v_mul_f64 v[13:14], v[11:12], s[4:5]
	v_add_f64 v[7:8], v[11:12], -v[7:8]
	v_fma_f64 v[15:16], v[11:12], s[4:5], -v[13:14]
	v_add_f64 v[5:6], v[5:6], -v[7:8]
	v_fma_f64 v[7:8], v[11:12], s[0:1], v[15:16]
	v_fma_f64 v[7:8], v[5:6], s[4:5], v[7:8]
	v_add_f64 v[5:6], v[13:14], v[7:8]
	v_add_f64 v[11:12], v[5:6], -v[13:14]
	v_add_f64 v[7:8], v[7:8], -v[11:12]
	s_andn2_saveexec_b64 s[0:1], s[8:9]
	s_cbranch_execz .LBB7_247
	s_branch .LBB7_246
.LBB7_245:
	s_andn2_saveexec_b64 s[0:1], s[8:9]
	s_cbranch_execz .LBB7_247
.LBB7_246:
	s_mov_b32 s4, 0x6dc9c883
	s_mov_b32 s5, 0x3fe45f30
	v_mul_f64 v[5:6], |v[3:4]|, s[4:5]
	s_mov_b32 s4, 0x54442d18
	s_mov_b32 s5, 0xbff921fb
	;; [unrolled: 1-line block ×4, first 2 shown]
	v_rndne_f64_e32 v[11:12], v[5:6]
	v_fma_f64 v[5:6], v[11:12], s[4:5], |v[3:4]|
	v_mul_f64 v[7:8], v[11:12], s[8:9]
	s_mov_b32 s4, 0x252049c0
	s_mov_b32 s5, 0xb97b839a
	v_cvt_i32_f64_e32 v27, v[11:12]
	v_fma_f64 v[17:18], v[11:12], s[8:9], v[5:6]
	v_add_f64 v[13:14], v[5:6], v[7:8]
	s_mov_b32 s9, 0x3c91a626
	v_add_f64 v[15:16], v[5:6], -v[13:14]
	v_add_f64 v[13:14], v[13:14], -v[17:18]
	v_add_f64 v[5:6], v[15:16], v[7:8]
	v_fma_f64 v[7:8], v[11:12], s[8:9], v[7:8]
	v_add_f64 v[5:6], v[13:14], v[5:6]
	v_add_f64 v[5:6], v[5:6], -v[7:8]
	v_fma_f64 v[7:8], v[11:12], s[4:5], v[5:6]
	v_add_f64 v[5:6], v[17:18], v[7:8]
	v_add_f64 v[13:14], v[5:6], -v[17:18]
	v_add_f64 v[7:8], v[7:8], -v[13:14]
.LBB7_247:
	s_or_b64 exec, exec, s[0:1]
                                        ; implicit-def: $vgpr28
                                        ; implicit-def: $vgpr11_vgpr12
                                        ; implicit-def: $vgpr13_vgpr14
	s_and_saveexec_b64 s[0:1], s[2:3]
	s_xor_b64 s[2:3], exec, s[0:1]
	s_cbranch_execz .LBB7_249
; %bb.248:
	v_trig_preop_f64 v[11:12], |v[3:4]|, 0
	s_mov_b32 s0, 0
	s_mov_b32 s1, 0x7b000000
	s_movk_i32 s4, 0xff80
	v_ldexp_f64 v[15:16], |v[3:4]|, s4
	v_cmp_ge_f64_e64 vcc, |v[3:4]|, s[0:1]
	v_trig_preop_f64 v[13:14], |v[3:4]|, 1
	v_and_b32_e32 v17, 0x7fffffff, v4
	v_trig_preop_f64 v[23:24], |v[3:4]|, 2
	s_mov_b32 s0, 0
	s_mov_b32 s1, 0x7ff00000
	v_mov_b32_e32 v35, 0x40100000
	v_mov_b32_e32 v34, 0
	v_cndmask_b32_e32 v16, v17, v16, vcc
	v_cndmask_b32_e32 v15, v3, v15, vcc
	s_mov_b32 s4, 0x33145c07
	v_mul_f64 v[17:18], v[11:12], v[15:16]
	s_mov_b32 s5, 0x3c91a626
	v_mul_f64 v[19:20], v[13:14], v[15:16]
	v_mul_f64 v[30:31], v[23:24], v[15:16]
	v_fma_f64 v[11:12], v[11:12], v[15:16], -v[17:18]
	v_fma_f64 v[13:14], v[13:14], v[15:16], -v[19:20]
	;; [unrolled: 1-line block ×3, first 2 shown]
	v_add_f64 v[21:22], v[19:20], v[11:12]
	v_add_f64 v[25:26], v[21:22], -v[19:20]
	v_add_f64 v[32:33], v[17:18], v[21:22]
	v_add_f64 v[28:29], v[21:22], -v[25:26]
	v_add_f64 v[11:12], v[11:12], -v[25:26]
	v_add_f64 v[25:26], v[30:31], v[13:14]
	v_add_f64 v[17:18], v[32:33], -v[17:18]
	v_add_f64 v[19:20], v[19:20], -v[28:29]
	v_ldexp_f64 v[28:29], v[32:33], -2
	v_add_f64 v[36:37], v[25:26], -v[30:31]
	v_add_f64 v[17:18], v[21:22], -v[17:18]
	v_add_f64 v[11:12], v[11:12], v[19:20]
	v_fract_f64_e32 v[19:20], v[28:29]
	v_cmp_neq_f64_e64 vcc, |v[28:29]|, s[0:1]
	v_add_f64 v[13:14], v[13:14], -v[36:37]
	v_add_f64 v[21:22], v[25:26], v[11:12]
	v_ldexp_f64 v[19:20], v[19:20], 2
	v_add_f64 v[28:29], v[17:18], v[21:22]
	v_cndmask_b32_e32 v20, 0, v20, vcc
	v_cndmask_b32_e32 v19, 0, v19, vcc
	v_add_f64 v[38:39], v[21:22], -v[25:26]
	v_add_f64 v[32:33], v[28:29], v[19:20]
	v_add_f64 v[17:18], v[28:29], -v[17:18]
	v_add_f64 v[40:41], v[21:22], -v[38:39]
	;; [unrolled: 1-line block ×3, first 2 shown]
	v_cmp_gt_f64_e32 vcc, 0, v[32:33]
	v_add_f64 v[32:33], v[25:26], -v[36:37]
	v_add_f64 v[17:18], v[21:22], -v[17:18]
	;; [unrolled: 1-line block ×3, first 2 shown]
	v_cndmask_b32_e32 v35, 0, v35, vcc
	v_add_f64 v[19:20], v[19:20], v[34:35]
	v_add_f64 v[32:33], v[30:31], -v[32:33]
	v_add_f64 v[11:12], v[11:12], v[25:26]
	v_add_f64 v[42:43], v[28:29], v[19:20]
	;; [unrolled: 1-line block ×3, first 2 shown]
	v_cvt_i32_f64_e32 v37, v[42:43]
	v_add_f64 v[11:12], v[13:14], v[11:12]
	v_cvt_f64_i32_e32 v[35:36], v37
	v_add_f64 v[19:20], v[19:20], -v[35:36]
	v_add_f64 v[11:12], v[15:16], v[11:12]
	v_add_f64 v[13:14], v[28:29], v[19:20]
	;; [unrolled: 1-line block ×3, first 2 shown]
	v_mov_b32_e32 v17, 0x3ff00000
	v_add_f64 v[15:16], v[13:14], -v[19:20]
	v_cmp_le_f64_e32 vcc, 0.5, v[13:14]
	v_add_f64 v[15:16], v[28:29], -v[15:16]
	v_cndmask_b32_e32 v35, 0, v17, vcc
	v_add_f64 v[13:14], v[13:14], -v[34:35]
	v_addc_co_u32_e64 v28, s[0:1], 0, v37, vcc
	s_mov_b32 s0, 0x54442d18
	s_mov_b32 s1, 0x3ff921fb
	v_add_f64 v[11:12], v[11:12], v[15:16]
	v_add_f64 v[15:16], v[13:14], v[11:12]
	v_mul_f64 v[17:18], v[15:16], s[0:1]
	v_add_f64 v[13:14], v[15:16], -v[13:14]
	v_fma_f64 v[19:20], v[15:16], s[0:1], -v[17:18]
	v_add_f64 v[11:12], v[11:12], -v[13:14]
	v_fma_f64 v[13:14], v[15:16], s[4:5], v[19:20]
	v_fma_f64 v[13:14], v[11:12], s[0:1], v[13:14]
	v_add_f64 v[11:12], v[17:18], v[13:14]
	v_add_f64 v[15:16], v[11:12], -v[17:18]
	v_add_f64 v[13:14], v[13:14], -v[15:16]
	s_andn2_saveexec_b64 s[0:1], s[2:3]
	s_cbranch_execnz .LBB7_250
	s_branch .LBB7_251
.LBB7_249:
	s_andn2_saveexec_b64 s[0:1], s[2:3]
	s_cbranch_execz .LBB7_251
.LBB7_250:
	s_mov_b32 s2, 0x6dc9c883
	s_mov_b32 s3, 0x3fe45f30
	v_mul_f64 v[11:12], |v[3:4]|, s[2:3]
	s_mov_b32 s2, 0x54442d18
	s_mov_b32 s3, 0xbff921fb
	;; [unrolled: 1-line block ×4, first 2 shown]
	v_rndne_f64_e32 v[15:16], v[11:12]
	v_fma_f64 v[11:12], v[15:16], s[2:3], |v[3:4]|
	v_mul_f64 v[13:14], v[15:16], s[4:5]
	s_mov_b32 s2, 0x252049c0
	s_mov_b32 s3, 0xb97b839a
	v_cvt_i32_f64_e32 v28, v[15:16]
	v_fma_f64 v[21:22], v[15:16], s[4:5], v[11:12]
	v_add_f64 v[17:18], v[11:12], v[13:14]
	s_mov_b32 s5, 0x3c91a626
	v_add_f64 v[19:20], v[11:12], -v[17:18]
	v_add_f64 v[17:18], v[17:18], -v[21:22]
	v_add_f64 v[11:12], v[19:20], v[13:14]
	v_fma_f64 v[13:14], v[15:16], s[4:5], v[13:14]
	v_add_f64 v[11:12], v[17:18], v[11:12]
	v_add_f64 v[11:12], v[11:12], -v[13:14]
	v_fma_f64 v[13:14], v[15:16], s[2:3], v[11:12]
	v_add_f64 v[11:12], v[21:22], v[13:14]
	v_add_f64 v[17:18], v[11:12], -v[21:22]
	v_add_f64 v[13:14], v[13:14], -v[17:18]
.LBB7_251:
	s_or_b64 exec, exec, s[0:1]
	s_mov_b32 s10, 0
	s_mov_b32 s11, 0x40390000
	v_div_scale_f64 v[15:16], s[0:1], v[9:10], v[9:10], s[10:11]
	s_mov_b32 s12, 0xb35dd1cf
	s_mov_b32 s14, 0xab5454e3
	;; [unrolled: 1-line block ×14, first 2 shown]
	v_rcp_f64_e32 v[17:18], v[15:16]
	s_mov_b32 s0, 0xa59425a1
	s_mov_b32 s22, 0xed423a19
	;; [unrolled: 1-line block ×7, first 2 shown]
	s_brev_b32 s31, 8
	s_mov_b32 s24, 0xf9a43bb8
	v_mov_b32_e32 v54, s29
	s_mov_b32 s25, 0x3de5e0b2
	v_mov_b32_e32 v53, s28
	v_mov_b32_e32 v55, 0x100
	s_mov_b32 s26, 0x796cde01
	s_mov_b32 s27, 0x3ec71de3
	v_fma_f64 v[19:20], -v[15:16], v[17:18], 1.0
	v_mov_b32_e32 v62, 0x7ff80000
	v_and_b32_e32 v61, 1, v27
	v_fma_f64 v[17:18], v[17:18], v[19:20], v[17:18]
	v_div_scale_f64 v[19:20], vcc, s[10:11], v[9:10], s[10:11]
	v_fma_f64 v[21:22], -v[15:16], v[17:18], 1.0
	v_fma_f64 v[17:18], v[17:18], v[21:22], v[17:18]
	v_mul_f64 v[21:22], v[19:20], v[17:18]
	v_fma_f64 v[15:16], -v[15:16], v[21:22], v[19:20]
	v_div_fmas_f64 v[15:16], v[15:16], v[17:18], v[21:22]
	v_mov_b32_e32 v17, 0x983b6b27
	v_mov_b32_e32 v18, 0x3f4a1d30
	;; [unrolled: 1-line block ×4, first 2 shown]
	v_div_fixup_f64 v[19:20], v[15:16], v[9:10], s[10:11]
	s_mov_b32 s10, 0xea1b21a1
	s_mov_b32 s11, 0x40218618
	v_fma_f64 v[9:10], v[19:20], 0, v[21:22]
	v_fma_f64 v[15:16], v[19:20], 0, v[17:18]
	v_mov_b32_e32 v17, 0x38a5384a
	v_mov_b32_e32 v18, 0xbf874742
	v_fma_f64 v[17:18], v[19:20], 0, v[17:18]
	v_mov_b32_e32 v21, 0x413c25ac
	v_mov_b32_e32 v22, 0x40501457
	v_fma_f64 v[21:22], v[19:20], 0, v[21:22]
	v_fma_f64 v[9:10], v[19:20], v[9:10], s[14:15]
	v_fma_f64 v[15:16], v[19:20], v[15:16], s[12:13]
	s_mov_b32 s12, 0x3a321174
	s_mov_b32 s13, 0xbff4853b
	v_fma_f64 v[17:18], v[19:20], v[17:18], s[12:13]
	s_mov_b32 s12, 0xb1759c7f
	s_mov_b32 s13, 0x408ac370
	v_fma_f64 v[21:22], v[19:20], v[21:22], s[12:13]
	v_fma_f64 v[9:10], v[19:20], v[9:10], s[18:19]
	v_fma_f64 v[15:16], v[19:20], v[15:16], s[8:9]
	s_mov_b32 s8, 0xf50e2c0c
	s_mov_b32 s9, 0xc0338dcf
	v_fma_f64 v[17:18], v[19:20], v[17:18], s[8:9]
	s_mov_b32 s8, 0xbd748cb5
	s_mov_b32 s9, 0x40ae54cd
	;; [unrolled: 8-line block ×5, first 2 shown]
	s_mov_b32 s1, 0xc049b48c
	v_fma_f64 v[9:10], v[19:20], v[9:10], 1.0
	v_fma_f64 v[15:16], v[19:20], v[15:16], 1.0
	s_mov_b32 s3, 0x40a01c2f
	v_fma_f64 v[23:24], v[19:20], v[21:22], s[2:3]
	v_fma_f64 v[25:26], v[19:20], v[17:18], s[0:1]
	s_mov_b32 s2, 0x6280a54
	s_mov_b32 s8, 0
	;; [unrolled: 1-line block ×4, first 2 shown]
	v_div_scale_f64 v[21:22], s[0:1], v[9:10], v[9:10], v[15:16]
	s_mov_b32 s0, 0xd1b9a1dd
	s_mov_b32 s1, 0xc0183358
	v_fma_f64 v[17:18], v[19:20], v[23:24], s[2:3]
	v_fma_f64 v[19:20], v[19:20], v[25:26], s[0:1]
	v_div_scale_f64 v[25:26], s[0:1], v[1:2], v[1:2], s[8:9]
	v_div_scale_f64 v[39:40], vcc, v[15:16], v[9:10], v[15:16]
	v_mul_f64 v[23:24], v[5:6], v[5:6]
	s_mov_b32 s18, 0x46cc5e42
	s_mov_b32 s19, 0xbda907db
	v_div_scale_f64 v[29:30], s[0:1], v[17:18], v[17:18], v[19:20]
	v_div_scale_f64 v[47:48], s[4:5], v[19:20], v[17:18], v[19:20]
	v_rcp_f64_e32 v[31:32], v[21:22]
	s_mov_b32 s0, 0x9037ab78
	s_mov_b32 s1, 0x3e21eeb6
	v_fma_f64 v[57:58], v[23:24], s[24:25], v[53:54]
	s_mov_b32 s22, 0x19e83e5c
	v_rcp_f64_e32 v[33:34], v[25:26]
	s_mov_b32 s23, 0xbf2a01a0
	s_mov_b32 s14, 0xa17f65f6
	;; [unrolled: 1-line block ×6, first 2 shown]
	v_rcp_f64_e32 v[35:36], v[29:30]
	s_mov_b32 s13, 0x3efa01a0
	s_mov_b32 s10, 0x16c16967
	;; [unrolled: 1-line block ×3, first 2 shown]
	v_fma_f64 v[37:38], -v[21:22], v[31:32], 1.0
	v_fma_f64 v[31:32], v[31:32], v[37:38], v[31:32]
	v_fma_f64 v[37:38], -v[25:26], v[33:34], 1.0
	v_fma_f64 v[41:42], -v[29:30], v[35:36], 1.0
	;; [unrolled: 1-line block ×3, first 2 shown]
	v_fma_f64 v[33:34], v[33:34], v[37:38], v[33:34]
	v_mul_f64 v[37:38], v[7:8], 0.5
	v_fma_f64 v[35:36], v[35:36], v[41:42], v[35:36]
	v_mul_f64 v[41:42], v[11:12], v[11:12]
	v_fma_f64 v[31:32], v[31:32], v[43:44], v[31:32]
	v_div_scale_f64 v[43:44], s[2:3], s[8:9], v[1:2], s[8:9]
	v_fma_f64 v[45:46], -v[25:26], v[33:34], 1.0
	v_fma_f64 v[49:50], -v[29:30], v[35:36], 1.0
	v_mul_f64 v[51:52], v[39:40], v[31:32]
	v_fma_f64 v[33:34], v[33:34], v[45:46], v[33:34]
	v_mov_b32_e32 v46, s1
	v_mov_b32_e32 v45, s0
	v_fma_f64 v[35:36], v[35:36], v[49:50], v[35:36]
	v_cmp_gt_f64_e64 s[0:1], s[30:31], v[1:2]
	v_fma_f64 v[21:22], -v[21:22], v[51:52], v[39:40]
	v_mul_f64 v[49:50], v[43:44], v[33:34]
	v_mul_f64 v[59:60], v[47:48], v[35:36]
	v_cndmask_b32_e64 v39, 0, v55, s[0:1]
	v_mul_f64 v[55:56], v[23:24], 0.5
	v_div_fmas_f64 v[21:22], v[21:22], v[31:32], v[51:52]
	v_mul_f64 v[31:32], v[41:42], 0.5
	v_fma_f64 v[51:52], v[23:24], s[18:19], v[45:46]
	v_fma_f64 v[25:26], -v[25:26], v[49:50], v[43:44]
	v_fma_f64 v[43:44], v[41:42], s[18:19], v[45:46]
	v_fma_f64 v[45:46], v[41:42], s[24:25], v[53:54]
	v_ldexp_f64 v[39:40], v[1:2], v39
	v_fma_f64 v[53:54], v[23:24], v[57:58], s[26:27]
	v_add_f64 v[57:58], -v[55:56], 1.0
	v_fma_f64 v[29:30], -v[29:30], v[59:60], v[47:48]
	v_add_f64 v[47:48], -v[31:32], 1.0
	s_mov_b64 vcc, s[2:3]
	v_div_fmas_f64 v[25:26], v[25:26], v[33:34], v[49:50]
	v_fma_f64 v[45:46], v[41:42], v[45:46], s[26:27]
	v_rsq_f64_e32 v[33:34], v[39:40]
	v_fma_f64 v[49:50], v[23:24], v[53:54], s[22:23]
	s_mov_b64 vcc, s[4:5]
	v_add_f64 v[53:54], -v[57:58], 1.0
	v_div_fmas_f64 v[29:30], v[29:30], v[35:36], v[59:60]
	v_add_f64 v[35:36], -v[47:48], 1.0
	v_fma_f64 v[43:44], v[41:42], v[43:44], s[14:15]
	v_fma_f64 v[45:46], v[41:42], v[45:46], s[22:23]
	v_mul_f64 v[59:60], v[5:6], -v[23:24]
	v_fma_f64 v[49:50], v[23:24], v[49:50], s[20:21]
	v_fma_f64 v[51:52], v[23:24], v[51:52], s[14:15]
	v_add_f64 v[53:54], v[53:54], -v[55:56]
	v_mul_f64 v[55:56], v[13:14], 0.5
	v_add_f64 v[31:32], v[35:36], -v[31:32]
	v_mul_f64 v[35:36], v[11:12], -v[41:42]
	v_fma_f64 v[43:44], v[41:42], v[43:44], s[12:13]
	v_fma_f64 v[45:46], v[41:42], v[45:46], s[20:21]
	;; [unrolled: 1-line block ×3, first 2 shown]
	v_mul_f64 v[49:50], v[39:40], v[33:34]
	v_mul_f64 v[33:34], v[33:34], 0.5
	v_fma_f64 v[51:52], v[23:24], v[51:52], s[12:13]
	s_mov_b32 s2, 0x55555555
	s_mov_b32 s3, 0x3fa55555
	v_fma_f64 v[43:44], v[41:42], v[43:44], s[10:11]
	v_fma_f64 v[45:46], v[35:36], v[45:46], v[55:56]
	v_fma_f64 v[53:54], v[5:6], -v[7:8], v[53:54]
	v_fma_f64 v[7:8], v[23:24], v[37:38], -v[7:8]
	v_fma_f64 v[55:56], -v[33:34], v[49:50], 0.5
	v_fma_f64 v[51:52], v[23:24], v[51:52], s[10:11]
	s_mov_b32 s5, 0xbfc55555
	s_mov_b32 s4, s2
	v_fma_f64 v[43:44], v[41:42], v[43:44], s[2:3]
	v_fma_f64 v[45:46], v[41:42], v[45:46], -v[13:14]
	v_mul_f64 v[41:42], v[41:42], v[41:42]
	v_fma_f64 v[13:14], v[11:12], -v[13:14], v[31:32]
	v_fma_f64 v[49:50], v[49:50], v[55:56], v[49:50]
	v_fma_f64 v[37:38], v[23:24], v[51:52], s[2:3]
	v_mul_f64 v[23:24], v[23:24], v[23:24]
	v_fma_f64 v[31:32], v[33:34], v[55:56], v[33:34]
	v_fma_f64 v[7:8], v[59:60], s[4:5], v[7:8]
	v_fma_f64 v[35:36], v[35:36], s[4:5], v[45:46]
	v_div_fixup_f64 v[1:2], v[25:26], v[1:2], s[8:9]
	v_fma_f64 v[13:14], v[41:42], v[43:44], v[13:14]
	v_fma_f64 v[33:34], -v[49:50], v[49:50], v[39:40]
	v_div_fixup_f64 v[17:18], v[29:30], v[17:18], v[19:20]
	v_fma_f64 v[23:24], v[23:24], v[37:38], v[53:54]
	s_movk_i32 s10, 0x1f8
	v_add_f64 v[5:6], v[5:6], -v[7:8]
	v_add_f64 v[11:12], v[11:12], -v[35:36]
	v_cmp_class_f64_e64 s[2:3], v[3:4], s10
	v_add_f64 v[13:14], v[47:48], v[13:14]
	v_fma_f64 v[7:8], v[33:34], v[31:32], v[49:50]
	v_mul_f64 v[1:2], v[1:2], v[17:18]
	v_and_b32_e32 v37, 1, v28
	v_lshlrev_b32_e32 v28, 30, v28
	v_xor_b32_e32 v28, v28, v4
	v_cmp_eq_u32_e64 s[4:5], 0, v37
	v_add_f64 v[23:24], v[57:58], v[23:24]
	v_and_b32_e32 v19, 0x80000000, v28
	v_cndmask_b32_e64 v12, v14, v12, s[4:5]
	v_cndmask_b32_e64 v11, v13, v11, s[4:5]
	v_xor_b32_e32 v12, v12, v19
	v_fma_f64 v[3:4], -v[7:8], v[7:8], v[39:40]
	v_cndmask_b32_e64 v11, 0, v11, s[2:3]
	v_cndmask_b32_e64 v12, v62, v12, s[2:3]
	v_div_fixup_f64 v[9:10], v[21:22], v[9:10], v[15:16]
	v_mul_f64 v[1:2], v[1:2], v[11:12]
	v_cmp_eq_u32_e32 vcc, 0, v61
	v_lshlrev_b32_e32 v11, 30, v27
	v_xor_b32_e32 v6, 0x80000000, v6
	v_and_b32_e32 v11, 0x80000000, v11
	v_cndmask_b32_e32 v6, v6, v24, vcc
	v_cndmask_b32_e32 v5, v5, v23, vcc
	v_xor_b32_e32 v6, v6, v11
	v_cndmask_b32_e64 v5, 0, v5, s[2:3]
	v_fma_f64 v[3:4], v[3:4], v[31:32], v[7:8]
	v_cndmask_b32_e64 v6, v62, v6, s[2:3]
	v_fma_f64 v[1:2], v[9:10], v[5:6], v[1:2]
	v_mov_b32_e32 v5, 0xffffff80
	s_mov_b32 s2, 0x33d43651
	v_mov_b32_e32 v6, 0x260
	v_cndmask_b32_e64 v5, 0, v5, s[0:1]
	s_mov_b32 s3, 0x3fe98845
	v_ldexp_f64 v[3:4], v[3:4], v5
	v_cmp_class_f64_e32 vcc, v[39:40], v6
	v_mul_f64 v[1:2], v[1:2], s[2:3]
	v_cndmask_b32_e32 v4, v4, v40, vcc
	v_cndmask_b32_e32 v3, v3, v39, vcc
	v_div_scale_f64 v[5:6], s[0:1], v[3:4], v[3:4], v[1:2]
	v_div_scale_f64 v[11:12], vcc, v[1:2], v[3:4], v[1:2]
	v_rcp_f64_e32 v[7:8], v[5:6]
	v_fma_f64 v[9:10], -v[5:6], v[7:8], 1.0
	v_fma_f64 v[7:8], v[7:8], v[9:10], v[7:8]
	v_fma_f64 v[9:10], -v[5:6], v[7:8], 1.0
	v_fma_f64 v[7:8], v[7:8], v[9:10], v[7:8]
	v_mul_f64 v[9:10], v[11:12], v[7:8]
	v_fma_f64 v[5:6], -v[5:6], v[9:10], v[11:12]
	v_div_fmas_f64 v[5:6], v[5:6], v[7:8], v[9:10]
	v_div_fixup_f64 v[3:4], v[5:6], v[3:4], v[1:2]
.LBB7_252:
	s_or_b64 exec, exec, s[6:7]
	global_store_dwordx2 v0, v[3:4], s[16:17]
	s_or_b64 exec, exec, s[48:49]
                                        ; implicit-def: $vgpr12
                                        ; implicit-def: $vgpr27
	s_andn2_saveexec_b64 s[0:1], s[38:39]
	s_cbranch_execz .LBB7_197
	s_branch .LBB7_8
	.section	.rodata,"a",@progbits
	.p2align	6, 0x0
	.amdhsa_kernel _ZN2at6native32elementwise_kernel_manual_unrollILi128ELi4EZNS0_22gpu_kernel_impl_nocastIZZZNS0_12_GLOBAL__N_121bessel_j0_kernel_cudaERNS_18TensorIteratorBaseEENKUlvE_clEvENKUlvE_clEvEUldE_EEvS5_RKT_EUlibE_EEviT1_
		.amdhsa_group_segment_fixed_size 0
		.amdhsa_private_segment_fixed_size 0
		.amdhsa_kernarg_size 360
		.amdhsa_user_sgpr_count 6
		.amdhsa_user_sgpr_private_segment_buffer 1
		.amdhsa_user_sgpr_dispatch_ptr 0
		.amdhsa_user_sgpr_queue_ptr 0
		.amdhsa_user_sgpr_kernarg_segment_ptr 1
		.amdhsa_user_sgpr_dispatch_id 0
		.amdhsa_user_sgpr_flat_scratch_init 0
		.amdhsa_user_sgpr_private_segment_size 0
		.amdhsa_uses_dynamic_stack 0
		.amdhsa_system_sgpr_private_segment_wavefront_offset 0
		.amdhsa_system_sgpr_workgroup_id_x 1
		.amdhsa_system_sgpr_workgroup_id_y 0
		.amdhsa_system_sgpr_workgroup_id_z 0
		.amdhsa_system_sgpr_workgroup_info 0
		.amdhsa_system_vgpr_workitem_id 0
		.amdhsa_next_free_vgpr 64
		.amdhsa_next_free_sgpr 64
		.amdhsa_reserve_vcc 1
		.amdhsa_reserve_flat_scratch 0
		.amdhsa_float_round_mode_32 0
		.amdhsa_float_round_mode_16_64 0
		.amdhsa_float_denorm_mode_32 3
		.amdhsa_float_denorm_mode_16_64 3
		.amdhsa_dx10_clamp 1
		.amdhsa_ieee_mode 1
		.amdhsa_fp16_overflow 0
		.amdhsa_exception_fp_ieee_invalid_op 0
		.amdhsa_exception_fp_denorm_src 0
		.amdhsa_exception_fp_ieee_div_zero 0
		.amdhsa_exception_fp_ieee_overflow 0
		.amdhsa_exception_fp_ieee_underflow 0
		.amdhsa_exception_fp_ieee_inexact 0
		.amdhsa_exception_int_div_zero 0
	.end_amdhsa_kernel
	.section	.text._ZN2at6native32elementwise_kernel_manual_unrollILi128ELi4EZNS0_22gpu_kernel_impl_nocastIZZZNS0_12_GLOBAL__N_121bessel_j0_kernel_cudaERNS_18TensorIteratorBaseEENKUlvE_clEvENKUlvE_clEvEUldE_EEvS5_RKT_EUlibE_EEviT1_,"axG",@progbits,_ZN2at6native32elementwise_kernel_manual_unrollILi128ELi4EZNS0_22gpu_kernel_impl_nocastIZZZNS0_12_GLOBAL__N_121bessel_j0_kernel_cudaERNS_18TensorIteratorBaseEENKUlvE_clEvENKUlvE_clEvEUldE_EEvS5_RKT_EUlibE_EEviT1_,comdat
.Lfunc_end7:
	.size	_ZN2at6native32elementwise_kernel_manual_unrollILi128ELi4EZNS0_22gpu_kernel_impl_nocastIZZZNS0_12_GLOBAL__N_121bessel_j0_kernel_cudaERNS_18TensorIteratorBaseEENKUlvE_clEvENKUlvE_clEvEUldE_EEvS5_RKT_EUlibE_EEviT1_, .Lfunc_end7-_ZN2at6native32elementwise_kernel_manual_unrollILi128ELi4EZNS0_22gpu_kernel_impl_nocastIZZZNS0_12_GLOBAL__N_121bessel_j0_kernel_cudaERNS_18TensorIteratorBaseEENKUlvE_clEvENKUlvE_clEvEUldE_EEvS5_RKT_EUlibE_EEviT1_
                                        ; -- End function
	.set _ZN2at6native32elementwise_kernel_manual_unrollILi128ELi4EZNS0_22gpu_kernel_impl_nocastIZZZNS0_12_GLOBAL__N_121bessel_j0_kernel_cudaERNS_18TensorIteratorBaseEENKUlvE_clEvENKUlvE_clEvEUldE_EEvS5_RKT_EUlibE_EEviT1_.num_vgpr, 64
	.set _ZN2at6native32elementwise_kernel_manual_unrollILi128ELi4EZNS0_22gpu_kernel_impl_nocastIZZZNS0_12_GLOBAL__N_121bessel_j0_kernel_cudaERNS_18TensorIteratorBaseEENKUlvE_clEvENKUlvE_clEvEUldE_EEvS5_RKT_EUlibE_EEviT1_.num_agpr, 0
	.set _ZN2at6native32elementwise_kernel_manual_unrollILi128ELi4EZNS0_22gpu_kernel_impl_nocastIZZZNS0_12_GLOBAL__N_121bessel_j0_kernel_cudaERNS_18TensorIteratorBaseEENKUlvE_clEvENKUlvE_clEvEUldE_EEvS5_RKT_EUlibE_EEviT1_.numbered_sgpr, 64
	.set _ZN2at6native32elementwise_kernel_manual_unrollILi128ELi4EZNS0_22gpu_kernel_impl_nocastIZZZNS0_12_GLOBAL__N_121bessel_j0_kernel_cudaERNS_18TensorIteratorBaseEENKUlvE_clEvENKUlvE_clEvEUldE_EEvS5_RKT_EUlibE_EEviT1_.num_named_barrier, 0
	.set _ZN2at6native32elementwise_kernel_manual_unrollILi128ELi4EZNS0_22gpu_kernel_impl_nocastIZZZNS0_12_GLOBAL__N_121bessel_j0_kernel_cudaERNS_18TensorIteratorBaseEENKUlvE_clEvENKUlvE_clEvEUldE_EEvS5_RKT_EUlibE_EEviT1_.private_seg_size, 0
	.set _ZN2at6native32elementwise_kernel_manual_unrollILi128ELi4EZNS0_22gpu_kernel_impl_nocastIZZZNS0_12_GLOBAL__N_121bessel_j0_kernel_cudaERNS_18TensorIteratorBaseEENKUlvE_clEvENKUlvE_clEvEUldE_EEvS5_RKT_EUlibE_EEviT1_.uses_vcc, 1
	.set _ZN2at6native32elementwise_kernel_manual_unrollILi128ELi4EZNS0_22gpu_kernel_impl_nocastIZZZNS0_12_GLOBAL__N_121bessel_j0_kernel_cudaERNS_18TensorIteratorBaseEENKUlvE_clEvENKUlvE_clEvEUldE_EEvS5_RKT_EUlibE_EEviT1_.uses_flat_scratch, 0
	.set _ZN2at6native32elementwise_kernel_manual_unrollILi128ELi4EZNS0_22gpu_kernel_impl_nocastIZZZNS0_12_GLOBAL__N_121bessel_j0_kernel_cudaERNS_18TensorIteratorBaseEENKUlvE_clEvENKUlvE_clEvEUldE_EEvS5_RKT_EUlibE_EEviT1_.has_dyn_sized_stack, 0
	.set _ZN2at6native32elementwise_kernel_manual_unrollILi128ELi4EZNS0_22gpu_kernel_impl_nocastIZZZNS0_12_GLOBAL__N_121bessel_j0_kernel_cudaERNS_18TensorIteratorBaseEENKUlvE_clEvENKUlvE_clEvEUldE_EEvS5_RKT_EUlibE_EEviT1_.has_recursion, 0
	.set _ZN2at6native32elementwise_kernel_manual_unrollILi128ELi4EZNS0_22gpu_kernel_impl_nocastIZZZNS0_12_GLOBAL__N_121bessel_j0_kernel_cudaERNS_18TensorIteratorBaseEENKUlvE_clEvENKUlvE_clEvEUldE_EEvS5_RKT_EUlibE_EEviT1_.has_indirect_call, 0
	.section	.AMDGPU.csdata,"",@progbits
; Kernel info:
; codeLenInByte = 40476
; TotalNumSgprs: 68
; NumVgprs: 64
; ScratchSize: 0
; MemoryBound: 0
; FloatMode: 240
; IeeeMode: 1
; LDSByteSize: 0 bytes/workgroup (compile time only)
; SGPRBlocks: 8
; VGPRBlocks: 15
; NumSGPRsForWavesPerEU: 68
; NumVGPRsForWavesPerEU: 64
; Occupancy: 4
; WaveLimiterHint : 1
; COMPUTE_PGM_RSRC2:SCRATCH_EN: 0
; COMPUTE_PGM_RSRC2:USER_SGPR: 6
; COMPUTE_PGM_RSRC2:TRAP_HANDLER: 0
; COMPUTE_PGM_RSRC2:TGID_X_EN: 1
; COMPUTE_PGM_RSRC2:TGID_Y_EN: 0
; COMPUTE_PGM_RSRC2:TGID_Z_EN: 0
; COMPUTE_PGM_RSRC2:TIDIG_COMP_CNT: 0
	.text
	.p2align	2                               ; -- Begin function _ZN2at6native6invokeIZZZNS0_12_GLOBAL__N_121bessel_j0_kernel_cudaERNS_18TensorIteratorBaseEENKUlvE_clEvENKUlvE_clEvEUldE_i15function_traitsIS7_EEENT1_11result_typeERKT_PrKPcPKT0_PKN3c1010ScalarTypeEi
	.type	_ZN2at6native6invokeIZZZNS0_12_GLOBAL__N_121bessel_j0_kernel_cudaERNS_18TensorIteratorBaseEENKUlvE_clEvENKUlvE_clEvEUldE_i15function_traitsIS7_EEENT1_11result_typeERKT_PrKPcPKT0_PKN3c1010ScalarTypeEi,@function
_ZN2at6native6invokeIZZZNS0_12_GLOBAL__N_121bessel_j0_kernel_cudaERNS_18TensorIteratorBaseEENKUlvE_clEvENKUlvE_clEvEUldE_i15function_traitsIS7_EEENT1_11result_typeERKT_PrKPcPKT0_PKN3c1010ScalarTypeEi: ; @_ZN2at6native6invokeIZZZNS0_12_GLOBAL__N_121bessel_j0_kernel_cudaERNS_18TensorIteratorBaseEENKUlvE_clEvENKUlvE_clEvEUldE_i15function_traitsIS7_EEENT1_11result_typeERKT_PrKPcPKT0_PKN3c1010ScalarTypeEi
; %bb.0:
	s_waitcnt vmcnt(0) expcnt(0) lgkmcnt(0)
	buffer_store_dword v40, off, s[0:3], s32 offset:52 ; 4-byte Folded Spill
	buffer_store_dword v41, off, s[0:3], s32 offset:48 ; 4-byte Folded Spill
	;; [unrolled: 1-line block ×13, first 2 shown]
	buffer_store_dword v61, off, s[0:3], s32 ; 4-byte Folded Spill
	v_mul_lo_u32 v2, v4, v2
	s_mov_b64 s[6:7], 0
	v_ashrrev_i32_e32 v4, 31, v2
	v_add_co_u32_e32 v0, vcc, v0, v2
	v_mov_b32_e32 v2, 10
	v_addc_co_u32_e32 v1, vcc, v1, v4, vcc
	v_cmp_gt_i16_sdwa s[4:5], v3, v2 src0_sel:BYTE_0 src1_sel:DWORD
                                        ; implicit-def: $vgpr4_vgpr5
	s_and_saveexec_b64 s[8:9], s[4:5]
	s_xor_b64 s[4:5], exec, s[8:9]
	s_cbranch_execz .LBB8_42
; %bb.1:
	v_mov_b32_e32 v2, 25
	v_cmp_gt_i16_sdwa s[10:11], v3, v2 src0_sel:BYTE_0 src1_sel:DWORD
	s_mov_b64 s[12:13], 0
	s_mov_b64 s[8:9], 0
                                        ; implicit-def: $vgpr4_vgpr5
	s_and_saveexec_b64 s[14:15], s[10:11]
	s_xor_b64 s[10:11], exec, s[14:15]
	s_cbranch_execz .LBB8_93
; %bb.2:
	v_mov_b32_e32 v2, 28
	v_cmp_gt_i16_sdwa s[8:9], v3, v2 src0_sel:BYTE_0 src1_sel:DWORD
	s_mov_b64 s[14:15], 0
                                        ; implicit-def: $vgpr4_vgpr5
	s_and_saveexec_b64 s[16:17], s[8:9]
	s_xor_b64 s[8:9], exec, s[16:17]
	s_cbranch_execz .LBB8_18
; %bb.3:
	v_mov_b32_e32 v2, 43
	v_cmp_gt_i16_sdwa s[12:13], v3, v2 src0_sel:BYTE_0 src1_sel:DWORD
	s_mov_b64 s[16:17], 0
	s_mov_b64 s[18:19], 0
                                        ; implicit-def: $vgpr4_vgpr5
	s_and_saveexec_b64 s[14:15], s[12:13]
	s_xor_b64 s[12:13], exec, s[14:15]
	s_cbranch_execz .LBB8_13
; %bb.4:
	v_mov_b32_e32 v2, 45
	v_cmp_gt_i16_sdwa s[18:19], v3, v2 src0_sel:BYTE_0 src1_sel:DWORD
	s_mov_b64 s[14:15], 0
                                        ; implicit-def: $vgpr4_vgpr5
	s_and_saveexec_b64 s[20:21], s[18:19]
	s_xor_b64 s[18:19], exec, s[20:21]
	s_cbranch_execz .LBB8_8
; %bb.5:
	v_mov_b32_e32 v2, 46
	v_cmp_eq_u16_sdwa s[22:23], v3, v2 src0_sel:BYTE_0 src1_sel:DWORD
	s_mov_b64 s[20:21], -1
                                        ; implicit-def: $vgpr4_vgpr5
	s_and_saveexec_b64 s[16:17], s[22:23]
	s_cbranch_execz .LBB8_7
; %bb.6:
	flat_load_dword v2, v[0:1]
	s_mov_b64 s[14:15], exec
	s_xor_b64 s[20:21], exec, -1
	s_waitcnt vmcnt(0) lgkmcnt(0)
	v_lshlrev_b32_e32 v2, 16, v2
	v_cvt_f64_f32_e32 v[4:5], v2
.LBB8_7:
	s_or_b64 exec, exec, s[16:17]
	s_and_b64 s[16:17], s[14:15], exec
	s_and_b64 s[14:15], s[20:21], exec
                                        ; implicit-def: $vgpr3
.LBB8_8:
	s_andn2_saveexec_b64 s[18:19], s[18:19]
	s_cbranch_execz .LBB8_12
; %bb.9:
	v_mov_b32_e32 v2, 44
	v_cmp_eq_u16_sdwa s[26:27], v3, v2 src0_sel:BYTE_0 src1_sel:DWORD
	s_mov_b64 s[24:25], -1
	s_mov_b64 s[22:23], s[16:17]
                                        ; implicit-def: $vgpr4_vgpr5
	s_and_saveexec_b64 s[20:21], s[26:27]
	s_cbranch_execz .LBB8_11
; %bb.10:
	flat_load_ubyte v4, v[0:1]
	s_movk_i32 s24, 0xff
	v_bfrev_b32_e32 v5, 4
	v_mov_b32_e32 v6, 0x7ff80000
	v_bfrev_b32_e32 v7, 28
	s_or_b64 s[22:23], s[16:17], exec
	s_waitcnt vmcnt(0) lgkmcnt(0)
	v_lshlrev_b32_e32 v2, 23, v4
	v_cvt_f64_f32_e32 v[2:3], v2
	v_cmp_ne_u32_e32 vcc, s24, v4
	s_xor_b64 s[24:25], exec, -1
	v_cndmask_b32_e32 v2, v5, v2, vcc
	v_cndmask_b32_e32 v3, v6, v3, vcc
	v_cmp_ne_u32_e32 vcc, 0, v4
	v_cndmask_b32_e32 v5, v7, v3, vcc
	v_cndmask_b32_e32 v4, 0, v2, vcc
.LBB8_11:
	s_or_b64 exec, exec, s[20:21]
	s_andn2_b64 s[16:17], s[16:17], exec
	s_and_b64 s[20:21], s[22:23], exec
	s_or_b64 s[16:17], s[16:17], s[20:21]
	s_andn2_b64 s[14:15], s[14:15], exec
	s_and_b64 s[20:21], s[24:25], exec
	s_or_b64 s[14:15], s[14:15], s[20:21]
.LBB8_12:
	s_or_b64 exec, exec, s[18:19]
	s_and_b64 s[18:19], s[16:17], exec
	s_and_b64 s[16:17], s[14:15], exec
                                        ; implicit-def: $vgpr3
.LBB8_13:
	s_andn2_saveexec_b64 s[12:13], s[12:13]
	s_cbranch_execz .LBB8_17
; %bb.14:
	v_mov_b32_e32 v2, 29
	v_cmp_eq_u16_sdwa s[24:25], v3, v2 src0_sel:BYTE_0 src1_sel:DWORD
	s_mov_b64 s[14:15], -1
	s_mov_b64 s[20:21], s[18:19]
                                        ; implicit-def: $vgpr4_vgpr5
	s_and_saveexec_b64 s[22:23], s[24:25]
	s_cbranch_execz .LBB8_16
; %bb.15:
	flat_load_dwordx2 v[2:3], v[0:1]
	s_or_b64 s[20:21], s[18:19], exec
	s_xor_b64 s[14:15], exec, -1
	s_waitcnt vmcnt(0) lgkmcnt(0)
	v_cvt_f64_u32_e32 v[3:4], v3
	v_cvt_f64_u32_e32 v[5:6], v2
	v_ldexp_f64 v[3:4], v[3:4], 32
	v_add_f64 v[4:5], v[3:4], v[5:6]
.LBB8_16:
	s_or_b64 exec, exec, s[22:23]
	s_andn2_b64 s[18:19], s[18:19], exec
	s_and_b64 s[20:21], s[20:21], exec
	s_andn2_b64 s[16:17], s[16:17], exec
	s_and_b64 s[14:15], s[14:15], exec
	s_or_b64 s[18:19], s[18:19], s[20:21]
	s_or_b64 s[16:17], s[16:17], s[14:15]
.LBB8_17:
	s_or_b64 exec, exec, s[12:13]
	s_and_b64 s[14:15], s[18:19], exec
	s_and_b64 s[12:13], s[16:17], exec
                                        ; implicit-def: $vgpr3
.LBB8_18:
	s_andn2_saveexec_b64 s[8:9], s[8:9]
	s_cbranch_execz .LBB8_36
; %bb.19:
	v_mov_b32_e32 v2, 26
	v_cmp_gt_i16_sdwa s[16:17], v3, v2 src0_sel:BYTE_0 src1_sel:DWORD
                                        ; implicit-def: $vgpr4_vgpr5
	s_and_saveexec_b64 s[18:19], s[16:17]
	s_xor_b64 s[16:17], exec, s[18:19]
	s_cbranch_execz .LBB8_25
; %bb.20:
	v_mov_b32_e32 v2, 27
	v_cmp_gt_i16_sdwa s[18:19], v3, v2 src0_sel:BYTE_0 src1_sel:DWORD
                                        ; implicit-def: $vgpr4_vgpr5
	s_and_saveexec_b64 s[20:21], s[18:19]
	s_xor_b64 s[18:19], exec, s[20:21]
	s_cbranch_execz .LBB8_22
; %bb.21:
	flat_load_dword v2, v[0:1]
	s_waitcnt vmcnt(0) lgkmcnt(0)
	v_cvt_f64_u32_e32 v[4:5], v2
.LBB8_22:
	s_andn2_saveexec_b64 s[18:19], s[18:19]
	s_cbranch_execz .LBB8_24
; %bb.23:
	flat_load_ushort v2, v[0:1]
	s_waitcnt vmcnt(0) lgkmcnt(0)
	v_cvt_f64_u32_e32 v[4:5], v2
.LBB8_24:
	s_or_b64 exec, exec, s[18:19]
.LBB8_25:
	s_andn2_saveexec_b64 s[16:17], s[16:17]
	s_cbranch_execz .LBB8_35
; %bb.26:
	flat_load_ubyte v2, v[0:1]
	s_movk_i32 s18, 0x7f
	s_waitcnt vmcnt(0) lgkmcnt(0)
	v_cmp_lt_i16_e32 vcc, s18, v2
	s_mov_b64 s[18:19], 0
	s_and_saveexec_b64 s[20:21], vcc
	s_xor_b64 s[20:21], exec, s[20:21]
	s_cbranch_execz .LBB8_30
; %bb.27:
	s_movk_i32 s18, 0x80
	v_cmp_eq_u16_e32 vcc, s18, v2
	s_mov_b64 s[18:19], -1
	s_and_saveexec_b64 s[22:23], vcc
; %bb.28:
	s_xor_b64 s[18:19], exec, -1
; %bb.29:
	s_or_b64 exec, exec, s[22:23]
	s_and_b64 s[18:19], s[18:19], exec
.LBB8_30:
	s_or_saveexec_b64 s[20:21], s[20:21]
	v_bfrev_b32_e32 v4, 4
	v_mov_b32_e32 v5, 0x7ff80000
	s_xor_b64 exec, exec, s[20:21]
; %bb.31:
	v_cmp_ne_u16_e32 vcc, 0, v2
	v_mov_b32_e32 v4, 0
	s_andn2_b64 s[18:19], s[18:19], exec
	s_and_b64 s[22:23], vcc, exec
	v_mov_b32_e32 v5, 0
	s_or_b64 s[18:19], s[18:19], s[22:23]
; %bb.32:
	s_or_b64 exec, exec, s[20:21]
	s_and_saveexec_b64 s[20:21], s[18:19]
	s_cbranch_execz .LBB8_34
; %bb.33:
	v_lshlrev_b32_e32 v3, 24, v2
	v_and_b32_e32 v2, 0xffff, v2
	v_and_b32_e32 v4, 7, v2
	v_ffbh_u32_e32 v6, v4
	v_min_u32_e32 v6, 32, v6
	v_subrev_u32_e32 v7, 28, v6
	v_bfe_u32 v5, v2, 3, 4
	v_lshlrev_b32_e32 v2, v7, v2
	v_sub_u32_e32 v6, 29, v6
	v_and_b32_e32 v2, 7, v2
	v_cmp_eq_u32_e32 vcc, 0, v5
	v_cndmask_b32_e32 v5, v5, v6, vcc
	v_cndmask_b32_e32 v2, v4, v2, vcc
	v_mov_b32_e32 v4, 0x3b800000
	v_lshlrev_b32_e32 v2, 20, v2
	v_and_b32_e32 v3, 0x80000000, v3
	v_lshl_add_u32 v4, v5, 23, v4
	v_or3_b32 v2, v3, v4, v2
	v_cvt_f64_f32_e32 v[4:5], v2
.LBB8_34:
	s_or_b64 exec, exec, s[20:21]
.LBB8_35:
	s_or_b64 exec, exec, s[16:17]
	s_or_b64 s[14:15], s[14:15], exec
.LBB8_36:
	s_or_b64 exec, exec, s[8:9]
	s_and_b64 s[8:9], s[14:15], exec
	s_and_b64 s[12:13], s[12:13], exec
                                        ; implicit-def: $vgpr3
	s_andn2_saveexec_b64 s[10:11], s[10:11]
	s_cbranch_execnz .LBB8_94
.LBB8_37:
	s_or_b64 exec, exec, s[10:11]
	s_and_saveexec_b64 s[10:11], s[12:13]
	s_cbranch_execnz .LBB8_121
.LBB8_38:
	s_or_b64 exec, exec, s[10:11]
	s_and_saveexec_b64 s[10:11], s[6:7]
	s_xor_b64 s[6:7], exec, s[10:11]
	s_cbranch_execz .LBB8_40
.LBB8_39:
	flat_load_ubyte v0, v[0:1]
	v_mov_b32_e32 v1, 0x3ff00000
	v_mov_b32_e32 v4, 0
	s_or_b64 s[8:9], s[8:9], exec
	s_waitcnt vmcnt(0) lgkmcnt(0)
	v_cmp_ne_u16_e32 vcc, 0, v0
	v_cndmask_b32_e32 v5, 0, v1, vcc
.LBB8_40:
	s_or_b64 exec, exec, s[6:7]
	s_and_b64 s[6:7], s[8:9], exec
                                        ; implicit-def: $vgpr3
                                        ; implicit-def: $vgpr0_vgpr1
	s_andn2_saveexec_b64 s[4:5], s[4:5]
	s_cbranch_execnz .LBB8_43
.LBB8_41:
	s_or_b64 exec, exec, s[4:5]
                                        ; implicit-def: $vgpr0_vgpr1
	s_and_saveexec_b64 s[10:11], s[6:7]
	s_cbranch_execnz .LBB8_84
	s_branch .LBB8_130
.LBB8_42:
	s_andn2_saveexec_b64 s[4:5], s[4:5]
	s_cbranch_execz .LBB8_41
.LBB8_43:
	v_mov_b32_e32 v2, 4
	v_cmp_gt_i16_sdwa s[8:9], v3, v2 src0_sel:BYTE_0 src1_sel:DWORD
                                        ; implicit-def: $vgpr4_vgpr5
	s_and_saveexec_b64 s[10:11], s[8:9]
	s_xor_b64 s[8:9], exec, s[10:11]
	s_cbranch_execz .LBB8_65
; %bb.44:
	v_mov_b32_e32 v2, 7
	v_cmp_gt_i16_sdwa s[10:11], v3, v2 src0_sel:BYTE_0 src1_sel:DWORD
                                        ; implicit-def: $vgpr4_vgpr5
	s_and_saveexec_b64 s[12:13], s[10:11]
	s_xor_b64 s[10:11], exec, s[12:13]
	s_cbranch_execz .LBB8_54
; %bb.45:
	;; [unrolled: 7-line block ×4, first 2 shown]
	flat_load_dwordx2 v[4:5], v[0:1]
                                        ; implicit-def: $vgpr0_vgpr1
.LBB8_48:
	s_andn2_saveexec_b64 s[14:15], s[14:15]
	s_cbranch_execz .LBB8_50
; %bb.49:
	flat_load_dword v0, v[0:1]
	s_waitcnt vmcnt(0) lgkmcnt(0)
	v_cvt_f64_f32_e32 v[4:5], v0
.LBB8_50:
	s_or_b64 exec, exec, s[14:15]
                                        ; implicit-def: $vgpr0_vgpr1
.LBB8_51:
	s_andn2_saveexec_b64 s[12:13], s[12:13]
	s_cbranch_execz .LBB8_53
; %bb.52:
	flat_load_dword v0, v[0:1]
	s_waitcnt vmcnt(0) lgkmcnt(0)
	v_cvt_f32_f16_e32 v0, v0
	v_cvt_f64_f32_e32 v[4:5], v0
.LBB8_53:
	s_or_b64 exec, exec, s[12:13]
                                        ; implicit-def: $vgpr0_vgpr1
                                        ; implicit-def: $vgpr3
.LBB8_54:
	s_andn2_saveexec_b64 s[10:11], s[10:11]
	s_cbranch_execz .LBB8_64
; %bb.55:
	v_mov_b32_e32 v2, 5
	v_cmp_gt_i16_sdwa s[12:13], v3, v2 src0_sel:BYTE_0 src1_sel:DWORD
                                        ; implicit-def: $vgpr4_vgpr5
	s_and_saveexec_b64 s[14:15], s[12:13]
	s_xor_b64 s[12:13], exec, s[14:15]
	s_cbranch_execz .LBB8_61
; %bb.56:
	v_mov_b32_e32 v2, 6
	v_cmp_gt_i16_sdwa s[14:15], v3, v2 src0_sel:BYTE_0 src1_sel:DWORD
                                        ; implicit-def: $vgpr4_vgpr5
	s_and_saveexec_b64 s[16:17], s[14:15]
	s_xor_b64 s[14:15], exec, s[16:17]
	s_cbranch_execz .LBB8_58
; %bb.57:
	s_waitcnt vmcnt(0) lgkmcnt(0)
	flat_load_dwordx2 v[4:5], v[0:1]
                                        ; implicit-def: $vgpr0_vgpr1
.LBB8_58:
	s_andn2_saveexec_b64 s[14:15], s[14:15]
	s_cbranch_execz .LBB8_60
; %bb.59:
	flat_load_dword v0, v[0:1]
	s_waitcnt vmcnt(0) lgkmcnt(0)
	v_cvt_f64_f32_e32 v[4:5], v0
.LBB8_60:
	s_or_b64 exec, exec, s[14:15]
                                        ; implicit-def: $vgpr0_vgpr1
.LBB8_61:
	s_andn2_saveexec_b64 s[12:13], s[12:13]
	s_cbranch_execz .LBB8_63
; %bb.62:
	flat_load_ushort v0, v[0:1]
	s_waitcnt vmcnt(0) lgkmcnt(0)
	v_cvt_f32_f16_e32 v0, v0
	v_cvt_f64_f32_e32 v[4:5], v0
.LBB8_63:
	s_or_b64 exec, exec, s[12:13]
.LBB8_64:
	s_or_b64 exec, exec, s[10:11]
                                        ; implicit-def: $vgpr3
                                        ; implicit-def: $vgpr0_vgpr1
.LBB8_65:
	s_andn2_saveexec_b64 s[8:9], s[8:9]
	s_cbranch_execz .LBB8_83
; %bb.66:
	v_mov_b32_e32 v2, 1
	v_cmp_gt_i16_sdwa s[10:11], v3, v2 src0_sel:BYTE_0 src1_sel:DWORD
                                        ; implicit-def: $vgpr4_vgpr5
	s_and_saveexec_b64 s[12:13], s[10:11]
	s_xor_b64 s[10:11], exec, s[12:13]
	s_cbranch_execz .LBB8_76
; %bb.67:
	v_mov_b32_e32 v2, 2
	v_cmp_gt_i16_sdwa s[12:13], v3, v2 src0_sel:BYTE_0 src1_sel:DWORD
                                        ; implicit-def: $vgpr4_vgpr5
	s_and_saveexec_b64 s[14:15], s[12:13]
	s_xor_b64 s[12:13], exec, s[14:15]
	;; [unrolled: 7-line block ×3, first 2 shown]
	s_cbranch_execz .LBB8_70
; %bb.69:
	flat_load_dwordx2 v[0:1], v[0:1]
	s_waitcnt vmcnt(0) lgkmcnt(0)
	v_cvt_f64_i32_e32 v[1:2], v1
	v_cvt_f64_u32_e32 v[3:4], v0
	v_ldexp_f64 v[1:2], v[1:2], 32
	v_add_f64 v[4:5], v[1:2], v[3:4]
                                        ; implicit-def: $vgpr0_vgpr1
.LBB8_70:
	s_andn2_saveexec_b64 s[14:15], s[14:15]
	s_cbranch_execz .LBB8_72
; %bb.71:
	flat_load_dword v0, v[0:1]
	s_waitcnt vmcnt(0) lgkmcnt(0)
	v_cvt_f64_i32_e32 v[4:5], v0
.LBB8_72:
	s_or_b64 exec, exec, s[14:15]
                                        ; implicit-def: $vgpr0_vgpr1
.LBB8_73:
	s_andn2_saveexec_b64 s[12:13], s[12:13]
	s_cbranch_execz .LBB8_75
; %bb.74:
	flat_load_sshort v0, v[0:1]
	s_waitcnt vmcnt(0) lgkmcnt(0)
	v_cvt_f64_i32_e32 v[4:5], v0
.LBB8_75:
	s_or_b64 exec, exec, s[12:13]
                                        ; implicit-def: $vgpr0_vgpr1
                                        ; implicit-def: $vgpr3
.LBB8_76:
	s_andn2_saveexec_b64 s[10:11], s[10:11]
	s_cbranch_execz .LBB8_82
; %bb.77:
	v_mov_b32_e32 v2, 0
	v_cmp_gt_i16_sdwa s[12:13], v3, v2 src0_sel:BYTE_0 src1_sel:DWORD
                                        ; implicit-def: $vgpr4_vgpr5
	s_and_saveexec_b64 s[14:15], s[12:13]
	s_xor_b64 s[12:13], exec, s[14:15]
	s_cbranch_execz .LBB8_79
; %bb.78:
	flat_load_sbyte v0, v[0:1]
	s_waitcnt vmcnt(0) lgkmcnt(0)
	v_cvt_f64_i32_e32 v[4:5], v0
                                        ; implicit-def: $vgpr0_vgpr1
.LBB8_79:
	s_andn2_saveexec_b64 s[12:13], s[12:13]
	s_cbranch_execz .LBB8_81
; %bb.80:
	flat_load_ubyte v0, v[0:1]
	s_waitcnt vmcnt(0) lgkmcnt(0)
	v_cvt_f64_u32_e32 v[4:5], v0
.LBB8_81:
	s_or_b64 exec, exec, s[12:13]
.LBB8_82:
	s_or_b64 exec, exec, s[10:11]
.LBB8_83:
	s_or_b64 exec, exec, s[8:9]
	s_or_b64 s[6:7], s[6:7], exec
	s_or_b64 exec, exec, s[4:5]
                                        ; implicit-def: $vgpr0_vgpr1
	s_and_saveexec_b64 s[10:11], s[6:7]
	s_cbranch_execz .LBB8_130
.LBB8_84:
	s_waitcnt vmcnt(0) lgkmcnt(0)
	v_cmp_gt_f64_e32 vcc, 0, v[4:5]
	v_xor_b32_e32 v0, 0x80000000, v5
	s_mov_b32 s4, 0
	s_mov_b32 s5, 0x40140000
	v_cndmask_b32_e32 v5, v5, v0, vcc
	v_cmp_ge_f64_e32 vcc, s[4:5], v[4:5]
	v_mul_f64 v[12:13], v[4:5], v[4:5]
                                        ; implicit-def: $vgpr0_vgpr1
	s_and_saveexec_b64 s[4:5], vcc
	s_xor_b64 s[4:5], exec, s[4:5]
	s_cbranch_execz .LBB8_90
; %bb.85:
	s_mov_b32 s6, 0x88e368f1
	s_mov_b32 s7, 0x3ee4f8b5
	v_cmp_ngt_f64_e32 vcc, s[6:7], v[4:5]
                                        ; implicit-def: $vgpr0_vgpr1
	s_and_saveexec_b64 s[6:7], vcc
	s_xor_b64 s[6:7], exec, s[6:7]
	s_cbranch_execz .LBB8_87
; %bb.86:
	v_mov_b32_e32 v0, 0xa696b78c
	v_mov_b32_e32 v1, 0x407f3902
	v_fma_f64 v[0:1], v[12:13], 0, v[0:1]
	s_mov_b32 s8, 0x36a21a67
	s_mov_b32 s9, 0x410536cb
	;; [unrolled: 1-line block ×3, first 2 shown]
	v_mov_b32_e32 v2, 0xad1c8325
	v_mov_b32_e32 v3, 0xc1f1dc53
	s_mov_b32 s13, 0x4204d5b0
	v_fma_f64 v[2:3], v[12:13], 0, v[2:3]
	v_fma_f64 v[0:1], v[12:13], v[0:1], s[8:9]
	s_mov_b32 s8, 0x2eac0634
	s_mov_b32 s9, 0x41871934
	;; [unrolled: 1-line block ×6, first 2 shown]
	v_fma_f64 v[0:1], v[12:13], v[0:1], s[8:9]
	s_mov_b32 s8, 0xc772990d
	s_mov_b32 s9, 0x427c7751
	v_fma_f64 v[2:3], v[12:13], v[2:3], s[8:9]
	s_mov_b32 s8, 0x80462bbb
	s_mov_b32 s9, 0xc01721fb
	v_add_f64 v[4:5], v[12:13], s[8:9]
	s_mov_b32 s8, 0x7e7b2e9c
	v_fma_f64 v[0:1], v[12:13], v[0:1], s[12:13]
	s_mov_b32 s12, 0xe0d900f7
	s_mov_b32 s13, 0xc2ec5614
	v_fma_f64 v[2:3], v[12:13], v[2:3], s[12:13]
	s_mov_b32 s12, 0x69ff5fb4
	s_mov_b32 s9, 0x435c4141
	;; [unrolled: 1-line block ×3, first 2 shown]
	v_fma_f64 v[0:1], v[12:13], v[0:1], s[14:15]
	s_mov_b32 s14, 0xa621dd6f
	s_mov_b32 s15, 0xc03e78a4
	v_add_f64 v[6:7], v[12:13], s[14:15]
	v_fma_f64 v[2:3], v[12:13], v[2:3], s[12:13]
	v_fma_f64 v[0:1], v[12:13], v[0:1], s[16:17]
	v_mul_f64 v[4:5], v[4:5], v[6:7]
	v_fma_f64 v[0:1], v[12:13], v[0:1], s[8:9]
	s_mov_b32 s8, 0xc7b662cc
	s_mov_b32 s9, 0x43b7be34
	v_mul_f64 v[2:3], v[4:5], v[2:3]
	v_fma_f64 v[0:1], v[12:13], v[0:1], s[8:9]
                                        ; implicit-def: $vgpr12_vgpr13
	v_div_scale_f64 v[4:5], s[8:9], v[0:1], v[0:1], v[2:3]
	v_div_scale_f64 v[10:11], vcc, v[2:3], v[0:1], v[2:3]
	v_rcp_f64_e32 v[6:7], v[4:5]
	v_fma_f64 v[8:9], -v[4:5], v[6:7], 1.0
	v_fma_f64 v[6:7], v[6:7], v[8:9], v[6:7]
	v_fma_f64 v[8:9], -v[4:5], v[6:7], 1.0
	v_fma_f64 v[6:7], v[6:7], v[8:9], v[6:7]
	v_mul_f64 v[8:9], v[10:11], v[6:7]
	v_fma_f64 v[4:5], -v[4:5], v[8:9], v[10:11]
	v_div_fmas_f64 v[4:5], v[4:5], v[6:7], v[8:9]
	v_div_fixup_f64 v[0:1], v[4:5], v[0:1], v[2:3]
.LBB8_87:
	s_andn2_saveexec_b64 s[6:7], s[6:7]
	s_cbranch_execz .LBB8_89
; %bb.88:
	s_mov_b32 s8, 0
	s_mov_b32 s9, 0xbfd00000
	v_fma_f64 v[0:1], v[12:13], s[8:9], 1.0
.LBB8_89:
	s_or_b64 exec, exec, s[6:7]
                                        ; implicit-def: $vgpr12_vgpr13
                                        ; implicit-def: $vgpr4_vgpr5
.LBB8_90:
	s_andn2_saveexec_b64 s[12:13], s[4:5]
	s_cbranch_execz .LBB8_129
; %bb.91:
	s_mov_b32 s9, 0xbfe921fb
	s_mov_b32 s8, 0x54442d18
	v_add_f64 v[0:1], v[4:5], s[8:9]
	s_mov_b32 s4, 0
	s_mov_b32 s5, 0x41d00000
                                        ; implicit-def: $vgpr30
                                        ; implicit-def: $vgpr2_vgpr3
                                        ; implicit-def: $vgpr6_vgpr7
	v_trig_preop_f64 v[18:19], |v[0:1]|, 0
	v_trig_preop_f64 v[16:17], |v[0:1]|, 1
	;; [unrolled: 1-line block ×3, first 2 shown]
	v_cmp_nlt_f64_e64 s[6:7], |v[0:1]|, s[4:5]
	s_and_saveexec_b64 s[4:5], s[6:7]
	s_xor_b64 s[14:15], exec, s[4:5]
	s_cbranch_execz .LBB8_122
; %bb.92:
	s_mov_b32 s4, 0
	s_mov_b32 s5, 0x7b000000
	s_movk_i32 s9, 0xff80
	v_ldexp_f64 v[2:3], |v[0:1]|, s9
	v_cmp_ge_f64_e64 vcc, |v[0:1]|, s[4:5]
	v_and_b32_e32 v6, 0x7fffffff, v1
	s_mov_b32 s4, 0
	s_mov_b32 s5, 0x7ff00000
	v_mov_b32_e32 v33, 0x40100000
	v_mov_b32_e32 v32, 0
	s_mov_b32 s9, 0x3ff921fb
	v_cndmask_b32_e32 v3, v6, v3, vcc
	v_cndmask_b32_e32 v2, v0, v2, vcc
	v_mul_f64 v[6:7], v[18:19], v[2:3]
	v_mul_f64 v[8:9], v[16:17], v[2:3]
	;; [unrolled: 1-line block ×3, first 2 shown]
	v_fma_f64 v[10:11], v[18:19], v[2:3], -v[6:7]
	v_fma_f64 v[28:29], v[16:17], v[2:3], -v[8:9]
	;; [unrolled: 1-line block ×3, first 2 shown]
	v_add_f64 v[20:21], v[8:9], v[10:11]
	v_add_f64 v[22:23], v[20:21], -v[8:9]
	v_add_f64 v[30:31], v[6:7], v[20:21]
	v_add_f64 v[24:25], v[20:21], -v[22:23]
	v_add_f64 v[10:11], v[10:11], -v[22:23]
	v_add_f64 v[22:23], v[26:27], v[28:29]
	v_add_f64 v[6:7], v[30:31], -v[6:7]
	v_add_f64 v[8:9], v[8:9], -v[24:25]
	v_ldexp_f64 v[24:25], v[30:31], -2
	v_add_f64 v[34:35], v[22:23], -v[26:27]
	v_add_f64 v[6:7], v[20:21], -v[6:7]
	v_add_f64 v[8:9], v[10:11], v[8:9]
	v_fract_f64_e32 v[10:11], v[24:25]
	v_cmp_neq_f64_e64 vcc, |v[24:25]|, s[4:5]
	v_add_f64 v[28:29], v[28:29], -v[34:35]
	v_add_f64 v[20:21], v[22:23], v[8:9]
	v_ldexp_f64 v[10:11], v[10:11], 2
	v_add_f64 v[24:25], v[6:7], v[20:21]
	v_cndmask_b32_e32 v11, 0, v11, vcc
	v_cndmask_b32_e32 v10, 0, v10, vcc
	v_add_f64 v[36:37], v[20:21], -v[22:23]
	v_add_f64 v[30:31], v[24:25], v[10:11]
	v_add_f64 v[6:7], v[24:25], -v[6:7]
	v_add_f64 v[38:39], v[20:21], -v[36:37]
	;; [unrolled: 1-line block ×3, first 2 shown]
	v_cmp_gt_f64_e32 vcc, 0, v[30:31]
	v_add_f64 v[30:31], v[22:23], -v[34:35]
	v_add_f64 v[6:7], v[20:21], -v[6:7]
	;; [unrolled: 1-line block ×3, first 2 shown]
	v_cndmask_b32_e32 v33, 0, v33, vcc
	v_add_f64 v[10:11], v[10:11], v[32:33]
	v_add_f64 v[30:31], v[26:27], -v[30:31]
	v_add_f64 v[8:9], v[8:9], v[22:23]
	v_add_f64 v[48:49], v[24:25], v[10:11]
	;; [unrolled: 1-line block ×3, first 2 shown]
	v_cvt_i32_f64_e32 v35, v[48:49]
	v_add_f64 v[8:9], v[28:29], v[8:9]
	v_cvt_f64_i32_e32 v[33:34], v35
	v_add_f64 v[10:11], v[10:11], -v[33:34]
	v_add_f64 v[2:3], v[2:3], v[8:9]
	v_add_f64 v[22:23], v[24:25], v[10:11]
	;; [unrolled: 1-line block ×3, first 2 shown]
	v_add_f64 v[8:9], v[22:23], -v[10:11]
	v_cmp_le_f64_e32 vcc, 0.5, v[22:23]
	v_add_f64 v[6:7], v[24:25], -v[8:9]
	v_mov_b32_e32 v8, 0x3ff00000
	v_cndmask_b32_e32 v33, 0, v8, vcc
	v_addc_co_u32_e64 v30, s[4:5], 0, v35, vcc
	s_mov_b32 s4, 0x33145c07
	s_mov_b32 s5, 0x3c91a626
	v_add_f64 v[2:3], v[2:3], v[6:7]
	v_add_f64 v[6:7], v[22:23], -v[32:33]
	v_add_f64 v[8:9], v[6:7], v[2:3]
	v_mul_f64 v[10:11], v[8:9], s[8:9]
	v_add_f64 v[6:7], v[8:9], -v[6:7]
	v_fma_f64 v[20:21], v[8:9], s[8:9], -v[10:11]
	v_add_f64 v[2:3], v[2:3], -v[6:7]
	v_fma_f64 v[6:7], v[8:9], s[4:5], v[20:21]
	v_fma_f64 v[6:7], v[2:3], s[8:9], v[6:7]
	v_add_f64 v[2:3], v[10:11], v[6:7]
	v_add_f64 v[8:9], v[2:3], -v[10:11]
	v_add_f64 v[6:7], v[6:7], -v[8:9]
	s_andn2_saveexec_b64 s[4:5], s[14:15]
	s_cbranch_execz .LBB8_124
	s_branch .LBB8_123
.LBB8_93:
	s_andn2_saveexec_b64 s[10:11], s[10:11]
	s_cbranch_execz .LBB8_37
.LBB8_94:
	v_mov_b32_e32 v2, 22
	v_cmp_gt_i16_sdwa s[6:7], v3, v2 src0_sel:BYTE_0 src1_sel:DWORD
	s_mov_b64 s[14:15], s[8:9]
                                        ; implicit-def: $vgpr4_vgpr5
	s_and_saveexec_b64 s[16:17], s[6:7]
	s_xor_b64 s[6:7], exec, s[16:17]
	s_cbranch_execz .LBB8_112
; %bb.95:
	v_mov_b32_e32 v2, 23
	v_cmp_gt_i16_sdwa s[14:15], v3, v2 src0_sel:BYTE_0 src1_sel:DWORD
                                        ; implicit-def: $vgpr4_vgpr5
	s_and_saveexec_b64 s[16:17], s[14:15]
	s_xor_b64 s[14:15], exec, s[16:17]
	s_cbranch_execz .LBB8_109
; %bb.96:
	v_mov_b32_e32 v2, 24
	v_cmp_gt_i16_sdwa s[16:17], v3, v2 src0_sel:BYTE_0 src1_sel:DWORD
                                        ; implicit-def: $vgpr4_vgpr5
	s_and_saveexec_b64 s[18:19], s[16:17]
	s_xor_b64 s[16:17], exec, s[18:19]
	s_cbranch_execz .LBB8_106
; %bb.97:
	flat_load_ubyte v2, v[0:1]
	s_movk_i32 s18, 0x7f
	s_waitcnt vmcnt(0) lgkmcnt(0)
	v_cmp_lt_i16_e32 vcc, s18, v2
	s_mov_b64 s[18:19], 0
	s_and_saveexec_b64 s[20:21], vcc
	s_xor_b64 s[20:21], exec, s[20:21]
	s_cbranch_execz .LBB8_101
; %bb.98:
	s_movk_i32 s18, 0x80
	v_cmp_eq_u16_e32 vcc, s18, v2
	s_mov_b64 s[18:19], -1
	s_and_saveexec_b64 s[22:23], vcc
; %bb.99:
	s_xor_b64 s[18:19], exec, -1
; %bb.100:
	s_or_b64 exec, exec, s[22:23]
	s_and_b64 s[18:19], s[18:19], exec
.LBB8_101:
	s_or_saveexec_b64 s[20:21], s[20:21]
	v_bfrev_b32_e32 v4, 4
	v_mov_b32_e32 v5, 0x7ff80000
	s_xor_b64 exec, exec, s[20:21]
; %bb.102:
	v_cmp_ne_u16_e32 vcc, 0, v2
	v_mov_b32_e32 v4, 0
	s_andn2_b64 s[18:19], s[18:19], exec
	s_and_b64 s[22:23], vcc, exec
	v_mov_b32_e32 v5, 0
	s_or_b64 s[18:19], s[18:19], s[22:23]
; %bb.103:
	s_or_b64 exec, exec, s[20:21]
	s_and_saveexec_b64 s[20:21], s[18:19]
	s_cbranch_execz .LBB8_105
; %bb.104:
	v_lshlrev_b32_e32 v3, 24, v2
	v_and_b32_e32 v2, 0xffff, v2
	v_and_b32_e32 v4, 3, v2
	v_ffbh_u32_e32 v6, v4
	v_min_u32_e32 v6, 32, v6
	v_subrev_u32_e32 v7, 29, v6
	v_bfe_u32 v5, v2, 2, 5
	v_lshlrev_b32_e32 v2, v7, v2
	v_sub_u32_e32 v6, 30, v6
	v_and_b32_e32 v2, 3, v2
	v_cmp_eq_u32_e32 vcc, 0, v5
	v_cndmask_b32_e32 v5, v5, v6, vcc
	v_cndmask_b32_e32 v2, v4, v2, vcc
	v_mov_b32_e32 v4, 0x37800000
	v_lshlrev_b32_e32 v2, 21, v2
	v_and_b32_e32 v3, 0x80000000, v3
	v_lshl_add_u32 v4, v5, 23, v4
	v_or3_b32 v2, v3, v4, v2
	v_cvt_f64_f32_e32 v[4:5], v2
.LBB8_105:
	s_or_b64 exec, exec, s[20:21]
.LBB8_106:
	s_andn2_saveexec_b64 s[16:17], s[16:17]
	s_cbranch_execz .LBB8_108
; %bb.107:
	flat_load_ubyte v2, v[0:1]
	s_mov_b32 s18, 0x7f800000
	s_waitcnt vmcnt(0) lgkmcnt(0)
	v_lshlrev_b32_e32 v2, 24, v2
	v_and_b32_e32 v3, 0x7f000000, v2
	v_ffbh_u32_e32 v4, v3
	v_min_u32_e32 v4, 32, v4
	v_sub_u32_e64 v4, v4, 4 clamp
	v_lshlrev_b32_e32 v6, v4, v3
	v_lshlrev_b32_e32 v4, 23, v4
	v_lshrrev_b32_e32 v6, 4, v6
	v_add_u32_e32 v5, 0x1000000, v3
	v_sub_u32_e32 v4, v6, v4
	v_ashrrev_i32_e32 v5, 8, v5
	v_add_u32_e32 v4, 0x3c000000, v4
	v_and_or_b32 v4, v5, s18, v4
	v_cmp_ne_u32_e32 vcc, 0, v3
	v_cndmask_b32_e32 v3, 0, v4, vcc
	s_brev_b32 s18, 1
	v_and_or_b32 v2, v2, s18, v3
	v_cvt_f64_f32_e32 v[4:5], v2
.LBB8_108:
	s_or_b64 exec, exec, s[16:17]
.LBB8_109:
	s_andn2_saveexec_b64 s[14:15], s[14:15]
	s_cbranch_execz .LBB8_111
; %bb.110:
	flat_load_ubyte v2, v[0:1]
	s_movk_i32 s16, 0x7f00
	s_brev_b32 s17, 16
	s_waitcnt vmcnt(0) lgkmcnt(0)
	v_lshlrev_b16_e32 v3, 8, v2
	v_lshlrev_b32_e32 v2, 25, v2
	v_lshrrev_b32_e32 v4, 4, v2
	v_and_or_b32 v5, v3, s16, 0.5
	v_or_b32_e32 v4, 0x70000000, v4
	v_add_f32_e32 v5, -0.5, v5
	v_mul_f32_e32 v4, 0x7800000, v4
	v_cmp_gt_u32_e32 vcc, s17, v2
	v_bfe_i32 v3, v3, 0, 16
	v_cndmask_b32_e32 v2, v4, v5, vcc
	s_brev_b32 s16, 1
	v_and_or_b32 v2, v3, s16, v2
	v_cvt_f64_f32_e32 v[4:5], v2
.LBB8_111:
	s_or_b64 exec, exec, s[14:15]
	s_or_b64 s[14:15], s[8:9], exec
                                        ; implicit-def: $vgpr3
.LBB8_112:
	s_or_saveexec_b64 s[6:7], s[6:7]
	s_mov_b64 s[18:19], 0
	s_mov_b64 s[16:17], s[12:13]
	s_xor_b64 exec, exec, s[6:7]
	s_cbranch_execz .LBB8_120
; %bb.113:
	v_mov_b32_e32 v2, 14
	v_cmp_gt_i16_sdwa s[20:21], v3, v2 src0_sel:BYTE_0 src1_sel:DWORD
	s_mov_b64 s[16:17], s[12:13]
	s_mov_b64 s[18:19], s[14:15]
                                        ; implicit-def: $vgpr4_vgpr5
	s_and_saveexec_b64 s[22:23], s[20:21]
	s_xor_b64 s[20:21], exec, s[22:23]
	s_cbranch_execz .LBB8_117
; %bb.114:
	v_mov_b32_e32 v2, 15
	v_cmp_eq_u16_sdwa s[24:25], v3, v2 src0_sel:BYTE_0 src1_sel:DWORD
	s_mov_b64 s[16:17], -1
	s_mov_b64 s[18:19], s[14:15]
                                        ; implicit-def: $vgpr4_vgpr5
	s_and_saveexec_b64 s[22:23], s[24:25]
	s_cbranch_execz .LBB8_116
; %bb.115:
	flat_load_ushort v2, v[0:1]
	s_or_b64 s[18:19], s[14:15], exec
	s_xor_b64 s[16:17], exec, -1
	s_waitcnt vmcnt(0) lgkmcnt(0)
	v_lshlrev_b32_e32 v2, 16, v2
	v_cvt_f64_f32_e32 v[4:5], v2
.LBB8_116:
	s_or_b64 exec, exec, s[22:23]
	s_andn2_b64 s[22:23], s[14:15], exec
	s_and_b64 s[18:19], s[18:19], exec
	s_or_b64 s[18:19], s[22:23], s[18:19]
	s_andn2_b64 s[22:23], s[12:13], exec
	s_and_b64 s[16:17], s[16:17], exec
	s_or_b64 s[16:17], s[22:23], s[16:17]
                                        ; implicit-def: $vgpr3
.LBB8_117:
	s_or_saveexec_b64 s[20:21], s[20:21]
	s_mov_b64 s[22:23], 0
	s_xor_b64 exec, exec, s[20:21]
; %bb.118:
	v_mov_b32_e32 v2, 11
	v_cmp_ne_u16_sdwa s[24:25], v3, v2 src0_sel:BYTE_0 src1_sel:DWORD
	s_andn2_b64 s[16:17], s[16:17], exec
	s_and_b64 s[24:25], s[24:25], exec
	s_mov_b64 s[22:23], exec
	s_or_b64 s[16:17], s[16:17], s[24:25]
; %bb.119:
	s_or_b64 exec, exec, s[20:21]
	s_andn2_b64 s[14:15], s[14:15], exec
	s_and_b64 s[18:19], s[18:19], exec
	s_andn2_b64 s[20:21], s[12:13], exec
	s_and_b64 s[16:17], s[16:17], exec
	s_or_b64 s[14:15], s[14:15], s[18:19]
	s_and_b64 s[18:19], s[22:23], exec
	s_or_b64 s[16:17], s[20:21], s[16:17]
.LBB8_120:
	s_or_b64 exec, exec, s[6:7]
	s_andn2_b64 s[6:7], s[8:9], exec
	s_and_b64 s[8:9], s[14:15], exec
	s_andn2_b64 s[12:13], s[12:13], exec
	s_and_b64 s[14:15], s[16:17], exec
	s_or_b64 s[8:9], s[6:7], s[8:9]
	s_and_b64 s[6:7], s[18:19], exec
	s_or_b64 s[12:13], s[12:13], s[14:15]
	s_or_b64 exec, exec, s[10:11]
	s_and_saveexec_b64 s[10:11], s[12:13]
	s_cbranch_execz .LBB8_38
.LBB8_121:
	s_trap 2
	; divergent unreachable
	s_andn2_b64 s[6:7], s[6:7], exec
	s_or_b64 exec, exec, s[10:11]
	s_and_saveexec_b64 s[10:11], s[6:7]
	s_xor_b64 s[6:7], exec, s[10:11]
	s_cbranch_execnz .LBB8_39
	s_branch .LBB8_40
.LBB8_122:
	s_andn2_saveexec_b64 s[4:5], s[14:15]
	s_cbranch_execz .LBB8_124
.LBB8_123:
	s_mov_b32 s8, 0x6dc9c883
	s_mov_b32 s9, 0x3fe45f30
	v_mul_f64 v[2:3], |v[0:1]|, s[8:9]
	s_mov_b32 s8, 0x54442d18
	s_mov_b32 s9, 0xbff921fb
	;; [unrolled: 1-line block ×4, first 2 shown]
	v_rndne_f64_e32 v[8:9], v[2:3]
	v_fma_f64 v[2:3], v[8:9], s[8:9], |v[0:1]|
	v_mul_f64 v[6:7], v[8:9], s[14:15]
	s_mov_b32 s8, 0x252049c0
	s_mov_b32 s9, 0xb97b839a
	v_cvt_i32_f64_e32 v30, v[8:9]
	v_fma_f64 v[22:23], v[8:9], s[14:15], v[2:3]
	v_add_f64 v[10:11], v[2:3], v[6:7]
	s_mov_b32 s15, 0x3c91a626
	v_add_f64 v[20:21], v[2:3], -v[10:11]
	v_add_f64 v[10:11], v[10:11], -v[22:23]
	v_add_f64 v[2:3], v[20:21], v[6:7]
	v_fma_f64 v[6:7], v[8:9], s[14:15], v[6:7]
	v_add_f64 v[2:3], v[10:11], v[2:3]
	v_add_f64 v[2:3], v[2:3], -v[6:7]
	v_fma_f64 v[6:7], v[8:9], s[8:9], v[2:3]
	v_add_f64 v[2:3], v[22:23], v[6:7]
	v_add_f64 v[10:11], v[2:3], -v[22:23]
	v_add_f64 v[6:7], v[6:7], -v[10:11]
.LBB8_124:
	s_or_b64 exec, exec, s[4:5]
                                        ; implicit-def: $vgpr31
                                        ; implicit-def: $vgpr8_vgpr9
                                        ; implicit-def: $vgpr10_vgpr11
	s_and_saveexec_b64 s[4:5], s[6:7]
	s_xor_b64 s[4:5], exec, s[4:5]
	s_cbranch_execz .LBB8_126
; %bb.125:
	s_mov_b32 s6, 0
	s_mov_b32 s7, 0x7b000000
	s_movk_i32 s8, 0xff80
	v_ldexp_f64 v[8:9], |v[0:1]|, s8
	v_cmp_ge_f64_e64 vcc, |v[0:1]|, s[6:7]
	v_and_b32_e32 v10, 0x7fffffff, v1
	s_mov_b32 s6, 0
	s_mov_b32 s7, 0x7ff00000
	v_mov_b32_e32 v34, 0x40100000
	v_mov_b32_e32 v33, 0
	s_mov_b32 s8, 0x33145c07
	s_mov_b32 s9, 0x3c91a626
	v_cndmask_b32_e32 v9, v10, v9, vcc
	v_cndmask_b32_e32 v8, v0, v8, vcc
	v_mul_f64 v[10:11], v[18:19], v[8:9]
	v_mul_f64 v[20:21], v[16:17], v[8:9]
	v_mul_f64 v[28:29], v[14:15], v[8:9]
	v_fma_f64 v[18:19], v[18:19], v[8:9], -v[10:11]
	v_fma_f64 v[16:17], v[16:17], v[8:9], -v[20:21]
	;; [unrolled: 1-line block ×3, first 2 shown]
	v_add_f64 v[22:23], v[20:21], v[18:19]
	v_add_f64 v[24:25], v[22:23], -v[20:21]
	v_add_f64 v[31:32], v[10:11], v[22:23]
	v_add_f64 v[26:27], v[22:23], -v[24:25]
	v_add_f64 v[18:19], v[18:19], -v[24:25]
	v_add_f64 v[24:25], v[28:29], v[16:17]
	v_add_f64 v[10:11], v[31:32], -v[10:11]
	v_add_f64 v[20:21], v[20:21], -v[26:27]
	v_ldexp_f64 v[26:27], v[31:32], -2
	v_add_f64 v[35:36], v[24:25], -v[28:29]
	v_add_f64 v[10:11], v[22:23], -v[10:11]
	v_add_f64 v[18:19], v[18:19], v[20:21]
	v_fract_f64_e32 v[20:21], v[26:27]
	v_cmp_neq_f64_e64 vcc, |v[26:27]|, s[6:7]
	v_add_f64 v[16:17], v[16:17], -v[35:36]
	s_mov_b32 s6, 0x54442d18
	s_mov_b32 s7, 0x3ff921fb
	v_add_f64 v[22:23], v[24:25], v[18:19]
	v_ldexp_f64 v[20:21], v[20:21], 2
	v_add_f64 v[26:27], v[10:11], v[22:23]
	v_cndmask_b32_e32 v21, 0, v21, vcc
	v_cndmask_b32_e32 v20, 0, v20, vcc
	v_add_f64 v[37:38], v[22:23], -v[24:25]
	v_add_f64 v[31:32], v[26:27], v[20:21]
	v_add_f64 v[10:11], v[26:27], -v[10:11]
	v_add_f64 v[48:49], v[22:23], -v[37:38]
	;; [unrolled: 1-line block ×3, first 2 shown]
	v_cmp_gt_f64_e32 vcc, 0, v[31:32]
	v_add_f64 v[31:32], v[24:25], -v[35:36]
	v_add_f64 v[10:11], v[22:23], -v[10:11]
	v_add_f64 v[24:25], v[24:25], -v[48:49]
	v_cndmask_b32_e32 v34, 0, v34, vcc
	v_add_f64 v[20:21], v[20:21], v[33:34]
	v_add_f64 v[31:32], v[28:29], -v[31:32]
	v_add_f64 v[18:19], v[18:19], v[24:25]
	v_add_f64 v[50:51], v[26:27], v[20:21]
	;; [unrolled: 1-line block ×3, first 2 shown]
	v_cvt_i32_f64_e32 v36, v[50:51]
	v_add_f64 v[14:15], v[16:17], v[18:19]
	v_cvt_f64_i32_e32 v[34:35], v36
	v_add_f64 v[20:21], v[20:21], -v[34:35]
	v_add_f64 v[8:9], v[8:9], v[14:15]
	v_add_f64 v[16:17], v[26:27], v[20:21]
	;; [unrolled: 1-line block ×3, first 2 shown]
	v_add_f64 v[14:15], v[16:17], -v[20:21]
	v_cmp_le_f64_e32 vcc, 0.5, v[16:17]
	v_add_f64 v[10:11], v[26:27], -v[14:15]
	v_mov_b32_e32 v14, 0x3ff00000
	v_cndmask_b32_e32 v34, 0, v14, vcc
	v_addc_co_u32_e32 v31, vcc, 0, v36, vcc
	v_add_f64 v[8:9], v[8:9], v[10:11]
	v_add_f64 v[10:11], v[16:17], -v[33:34]
	v_add_f64 v[14:15], v[10:11], v[8:9]
	v_mul_f64 v[16:17], v[14:15], s[6:7]
	v_add_f64 v[10:11], v[14:15], -v[10:11]
	v_fma_f64 v[18:19], v[14:15], s[6:7], -v[16:17]
	v_add_f64 v[8:9], v[8:9], -v[10:11]
	v_fma_f64 v[10:11], v[14:15], s[8:9], v[18:19]
	v_fma_f64 v[10:11], v[8:9], s[6:7], v[10:11]
	v_add_f64 v[8:9], v[16:17], v[10:11]
	v_add_f64 v[14:15], v[8:9], -v[16:17]
	v_add_f64 v[10:11], v[10:11], -v[14:15]
	s_andn2_saveexec_b64 s[4:5], s[4:5]
	s_cbranch_execnz .LBB8_127
	s_branch .LBB8_128
.LBB8_126:
	s_andn2_saveexec_b64 s[4:5], s[4:5]
	s_cbranch_execz .LBB8_128
.LBB8_127:
	s_mov_b32 s6, 0x6dc9c883
	s_mov_b32 s7, 0x3fe45f30
	v_mul_f64 v[8:9], |v[0:1]|, s[6:7]
	s_mov_b32 s6, 0x54442d18
	s_mov_b32 s7, 0xbff921fb
	;; [unrolled: 1-line block ×4, first 2 shown]
	v_rndne_f64_e32 v[14:15], v[8:9]
	v_fma_f64 v[8:9], v[14:15], s[6:7], |v[0:1]|
	v_mul_f64 v[10:11], v[14:15], s[8:9]
	s_mov_b32 s6, 0x252049c0
	s_mov_b32 s7, 0xb97b839a
	v_cvt_i32_f64_e32 v31, v[14:15]
	v_fma_f64 v[20:21], v[14:15], s[8:9], v[8:9]
	v_add_f64 v[16:17], v[8:9], v[10:11]
	s_mov_b32 s9, 0x3c91a626
	v_add_f64 v[18:19], v[8:9], -v[16:17]
	v_add_f64 v[16:17], v[16:17], -v[20:21]
	v_add_f64 v[8:9], v[18:19], v[10:11]
	v_fma_f64 v[10:11], v[14:15], s[8:9], v[10:11]
	v_add_f64 v[8:9], v[16:17], v[8:9]
	v_add_f64 v[8:9], v[8:9], -v[10:11]
	v_fma_f64 v[10:11], v[14:15], s[6:7], v[8:9]
	v_add_f64 v[8:9], v[20:21], v[10:11]
	v_add_f64 v[16:17], v[8:9], -v[20:21]
	v_add_f64 v[10:11], v[10:11], -v[16:17]
.LBB8_128:
	s_or_b64 exec, exec, s[4:5]
	s_mov_b32 s14, 0
	s_mov_b32 s15, 0x40390000
	v_div_scale_f64 v[14:15], s[4:5], v[12:13], v[12:13], s[14:15]
	s_mov_b32 s20, 0xb35dd1cf
	s_mov_b32 s24, 0xab5454e3
	;; [unrolled: 1-line block ×14, first 2 shown]
	v_rcp_f64_e32 v[16:17], v[14:15]
	s_mov_b32 s4, 0xa59425a1
	s_mov_b32 s26, 0xed423a19
	;; [unrolled: 1-line block ×5, first 2 shown]
	s_brev_b32 s45, 8
	v_mov_b32_e32 v46, 0x100
	s_mov_b32 s28, 0x796cde01
	s_mov_b32 s29, 0x3ec71de3
	;; [unrolled: 1-line block ×6, first 2 shown]
	v_fma_f64 v[18:19], -v[14:15], v[16:17], 1.0
	v_fma_f64 v[16:17], v[16:17], v[18:19], v[16:17]
	v_div_scale_f64 v[18:19], vcc, s[14:15], v[12:13], s[14:15]
	v_fma_f64 v[20:21], -v[14:15], v[16:17], 1.0
	v_fma_f64 v[16:17], v[16:17], v[20:21], v[16:17]
	v_mul_f64 v[20:21], v[18:19], v[16:17]
	v_fma_f64 v[14:15], -v[14:15], v[20:21], v[18:19]
	v_div_fmas_f64 v[18:19], v[14:15], v[16:17], v[20:21]
	v_mov_b32_e32 v14, 0x983b6b27
	v_mov_b32_e32 v15, 0x3f4a1d30
	;; [unrolled: 1-line block ×6, first 2 shown]
	v_div_fixup_f64 v[12:13], v[18:19], v[12:13], s[14:15]
	v_mov_b32_e32 v18, 0x38a5384a
	v_mov_b32_e32 v19, 0xbf874742
	s_mov_b32 s14, 0xea1b21a1
	s_mov_b32 s15, 0x40218618
	v_fma_f64 v[16:17], v[12:13], 0, v[16:17]
	v_fma_f64 v[14:15], v[12:13], 0, v[14:15]
	;; [unrolled: 1-line block ×6, first 2 shown]
	s_mov_b32 s20, 0x3a321174
	s_mov_b32 s21, 0xbff4853b
	v_fma_f64 v[18:19], v[12:13], v[18:19], s[20:21]
	s_mov_b32 s20, 0xb1759c7f
	s_mov_b32 s21, 0x408ac370
	v_fma_f64 v[20:21], v[12:13], v[20:21], s[20:21]
	v_fma_f64 v[16:17], v[12:13], v[16:17], s[22:23]
	v_fma_f64 v[14:15], v[12:13], v[14:15], s[16:17]
	s_mov_b32 s16, 0xf50e2c0c
	s_mov_b32 s17, 0xc0338dcf
	v_fma_f64 v[18:19], v[12:13], v[18:19], s[16:17]
	s_mov_b32 s16, 0xbd748cb5
	s_mov_b32 s17, 0x40ae54cd
	v_fma_f64 v[20:21], v[12:13], v[20:21], s[16:17]
	v_fma_f64 v[16:17], v[12:13], v[16:17], s[18:19]
	v_fma_f64 v[14:15], v[12:13], v[14:15], s[8:9]
	s_mov_b32 s8, 0x5a6de8c4
	s_mov_b32 s9, 0xc0574d2f
	v_fma_f64 v[18:19], v[12:13], v[18:19], s[8:9]
	s_mov_b32 s8, 0xbdefd63e
	s_mov_b32 s9, 0x40bc4877
	v_fma_f64 v[20:21], v[12:13], v[20:21], s[8:9]
	v_fma_f64 v[16:17], v[12:13], v[16:17], s[14:15]
	v_fma_f64 v[14:15], v[12:13], v[14:15], s[6:7]
	s_mov_b32 s6, 0x20cae8ea
	s_mov_b32 s7, 0xc06635cc
	v_fma_f64 v[18:19], v[12:13], v[18:19], s[6:7]
	s_mov_b32 s6, 0x1d733b11
	s_mov_b32 s7, 0x40b72aba
	v_fma_f64 v[20:21], v[12:13], v[20:21], s[6:7]
	v_fma_f64 v[16:17], v[12:13], v[16:17], s[26:27]
	v_fma_f64 v[22:23], v[12:13], v[14:15], s[4:5]
	s_mov_b32 s4, 0xec17392d
	s_mov_b32 s5, 0xc062627a
	v_fma_f64 v[18:19], v[12:13], v[18:19], s[4:5]
	s_mov_b32 s4, 0x55b218cd
	s_mov_b32 s6, 0xc7319e82
	;; [unrolled: 1-line block ×3, first 2 shown]
	v_fma_f64 v[14:15], v[12:13], v[16:17], 1.0
	v_fma_f64 v[16:17], v[12:13], v[22:23], 1.0
	s_mov_b32 s7, 0x40a01c2f
	v_fma_f64 v[22:23], v[12:13], v[20:21], s[6:7]
	v_fma_f64 v[24:25], v[12:13], v[18:19], s[4:5]
	s_mov_b32 s6, 0x6280a54
	s_mov_b32 s14, 0
	;; [unrolled: 1-line block ×4, first 2 shown]
	v_div_scale_f64 v[20:21], s[4:5], v[14:15], v[14:15], v[16:17]
	s_mov_b32 s4, 0xd1b9a1dd
	s_mov_b32 s5, 0xc0183358
	v_fma_f64 v[18:19], v[12:13], v[22:23], s[6:7]
	v_fma_f64 v[12:13], v[12:13], v[24:25], s[4:5]
	v_div_scale_f64 v[26:27], s[4:5], v[4:5], v[4:5], s[14:15]
	v_div_scale_f64 v[38:39], vcc, v[16:17], v[14:15], v[16:17]
	v_mul_f64 v[22:23], v[2:3], v[2:3]
	s_mov_b32 s24, 0xb42fdfa7
	s_mov_b32 s25, 0xbe5ae600
	v_div_scale_f64 v[28:29], s[4:5], v[18:19], v[18:19], v[12:13]
	v_div_scale_f64 v[54:55], s[8:9], v[12:13], v[18:19], v[12:13]
	v_rcp_f64_e32 v[24:25], v[20:21]
	s_mov_b32 s4, 0x9037ab78
	s_mov_b32 s5, 0x3e21eeb6
	;; [unrolled: 1-line block ×3, first 2 shown]
	v_mov_b32_e32 v45, s25
	v_rcp_f64_e32 v[32:33], v[26:27]
	s_mov_b32 s27, 0x3de5e0b2
	v_mov_b32_e32 v44, s24
	v_fma_f64 v[56:57], v[22:23], s[26:27], v[44:45]
	s_mov_b32 s18, 0x46cc5e42
	s_mov_b32 s19, 0xbda907db
	;; [unrolled: 1-line block ×3, first 2 shown]
	v_rcp_f64_e32 v[34:35], v[28:29]
	s_mov_b32 s17, 0xbe927e4f
	s_mov_b32 s22, 0x19f4ec90
	;; [unrolled: 1-line block ×3, first 2 shown]
	v_fma_f64 v[36:37], -v[20:21], v[24:25], 1.0
	s_mov_b32 s20, 0x16c16967
	s_mov_b32 s21, 0xbf56c16c
	v_fma_f64 v[24:25], v[24:25], v[36:37], v[24:25]
	v_fma_f64 v[36:37], -v[26:27], v[32:33], 1.0
	v_fma_f64 v[48:49], -v[28:29], v[34:35], 1.0
	;; [unrolled: 1-line block ×3, first 2 shown]
	v_fma_f64 v[32:33], v[32:33], v[36:37], v[32:33]
	v_mul_f64 v[36:37], v[8:9], v[8:9]
	v_fma_f64 v[34:35], v[34:35], v[48:49], v[34:35]
	v_mul_f64 v[48:49], v[6:7], 0.5
	v_fma_f64 v[24:25], v[24:25], v[50:51], v[24:25]
	v_div_scale_f64 v[50:51], s[6:7], s[14:15], v[4:5], s[14:15]
	v_fma_f64 v[52:53], -v[26:27], v[32:33], 1.0
	v_fma_f64 v[40:41], -v[28:29], v[34:35], 1.0
	v_mul_f64 v[42:43], v[38:39], v[24:25]
	v_fma_f64 v[32:33], v[32:33], v[52:53], v[32:33]
	v_mov_b32_e32 v53, s5
	v_mov_b32_e32 v52, s4
	v_fma_f64 v[34:35], v[34:35], v[40:41], v[34:35]
	v_cmp_gt_f64_e64 s[4:5], s[44:45], v[4:5]
	v_fma_f64 v[38:39], -v[20:21], v[42:43], v[38:39]
	v_mul_f64 v[40:41], v[50:51], v[32:33]
	v_mul_f64 v[58:59], v[54:55], v[34:35]
	v_cndmask_b32_e64 v20, 0, v46, s[4:5]
	v_mul_f64 v[46:47], v[22:23], 0.5
	v_div_fmas_f64 v[24:25], v[38:39], v[24:25], v[42:43]
	v_mul_f64 v[38:39], v[36:37], 0.5
	v_fma_f64 v[26:27], -v[26:27], v[40:41], v[50:51]
	v_fma_f64 v[50:51], v[36:37], s[26:27], v[44:45]
	v_ldexp_f64 v[20:21], v[4:5], v20
	v_fma_f64 v[44:45], v[22:23], v[56:57], s[28:29]
	v_fma_f64 v[42:43], v[22:23], s[18:19], v[52:53]
	;; [unrolled: 1-line block ×3, first 2 shown]
	v_add_f64 v[56:57], -v[46:47], 1.0
	v_fma_f64 v[28:29], -v[28:29], v[58:59], v[54:55]
	v_add_f64 v[54:55], -v[38:39], 1.0
	v_fma_f64 v[50:51], v[36:37], v[50:51], s[28:29]
	s_mov_b64 vcc, s[6:7]
	v_div_fmas_f64 v[32:33], v[26:27], v[32:33], v[40:41]
	v_rsq_f64_e32 v[26:27], v[20:21]
	v_fma_f64 v[40:41], v[22:23], v[44:45], s[40:41]
	s_mov_b64 vcc, s[8:9]
	v_add_f64 v[44:45], -v[56:57], 1.0
	v_div_fmas_f64 v[28:29], v[28:29], v[34:35], v[58:59]
	v_add_f64 v[34:35], -v[54:55], 1.0
	v_fma_f64 v[52:53], v[36:37], v[52:53], s[16:17]
	v_fma_f64 v[50:51], v[36:37], v[50:51], s[40:41]
	v_mul_f64 v[58:59], v[2:3], -v[22:23]
	v_fma_f64 v[40:41], v[22:23], v[40:41], s[42:43]
	v_fma_f64 v[42:43], v[22:23], v[42:43], s[16:17]
	v_add_f64 v[44:45], v[44:45], -v[46:47]
	v_mul_f64 v[46:47], v[10:11], 0.5
	v_add_f64 v[34:35], v[34:35], -v[38:39]
	v_mul_f64 v[38:39], v[8:9], -v[36:37]
	v_fma_f64 v[52:53], v[36:37], v[52:53], s[22:23]
	v_fma_f64 v[50:51], v[36:37], v[50:51], s[42:43]
	v_fma_f64 v[48:49], v[58:59], v[40:41], v[48:49]
	v_mul_f64 v[40:41], v[20:21], v[26:27]
	v_mul_f64 v[60:61], v[26:27], 0.5
	v_fma_f64 v[42:43], v[22:23], v[42:43], s[22:23]
	s_mov_b32 s6, 0x55555555
	s_mov_b32 s7, 0x3fa55555
	v_fma_f64 v[52:53], v[36:37], v[52:53], s[20:21]
	v_fma_f64 v[50:51], v[38:39], v[50:51], v[46:47]
	v_fma_f64 v[48:49], v[22:23], v[48:49], -v[6:7]
	s_mov_b32 s9, 0xbfc55555
	v_fma_f64 v[46:47], -v[60:61], v[40:41], 0.5
	v_fma_f64 v[42:43], v[22:23], v[42:43], s[20:21]
	s_mov_b32 s8, s6
	v_fma_f64 v[44:45], v[2:3], -v[6:7], v[44:45]
	v_fma_f64 v[52:53], v[36:37], v[52:53], s[6:7]
	v_fma_f64 v[50:51], v[36:37], v[50:51], -v[10:11]
	v_mul_f64 v[36:37], v[36:37], v[36:37]
	v_fma_f64 v[10:11], v[8:9], -v[10:11], v[34:35]
	v_fma_f64 v[40:41], v[40:41], v[46:47], v[40:41]
	v_fma_f64 v[42:43], v[22:23], v[42:43], s[6:7]
	v_mul_f64 v[22:23], v[22:23], v[22:23]
	v_fma_f64 v[6:7], v[60:61], v[46:47], v[60:61]
	v_fma_f64 v[34:35], v[58:59], s[8:9], v[48:49]
	v_div_fixup_f64 v[4:5], v[32:33], v[4:5], s[14:15]
	v_div_fixup_f64 v[12:13], v[28:29], v[18:19], v[12:13]
	v_fma_f64 v[10:11], v[36:37], v[52:53], v[10:11]
	v_fma_f64 v[36:37], v[38:39], s[8:9], v[50:51]
	v_fma_f64 v[48:49], -v[40:41], v[40:41], v[20:21]
	v_fma_f64 v[22:23], v[22:23], v[42:43], v[44:45]
	s_movk_i32 s16, 0x1f8
	v_add_f64 v[2:3], v[2:3], -v[34:35]
	v_cmp_class_f64_e64 s[6:7], v[0:1], s16
	v_mul_f64 v[4:5], v[4:5], v[12:13]
	v_add_f64 v[10:11], v[54:55], v[10:11]
	v_add_f64 v[8:9], v[8:9], -v[36:37]
	v_fma_f64 v[34:35], v[48:49], v[6:7], v[40:41]
	v_and_b32_e32 v42, 1, v31
	v_lshlrev_b32_e32 v31, 30, v31
	v_xor_b32_e32 v31, v31, v1
	v_cmp_eq_u32_e64 s[8:9], 0, v42
	v_add_f64 v[22:23], v[56:57], v[22:23]
	v_and_b32_e32 v18, 0x80000000, v31
	v_cndmask_b32_e64 v9, v11, v9, s[8:9]
	v_mov_b32_e32 v26, 0x7ff80000
	v_cndmask_b32_e64 v8, v10, v8, s[8:9]
	v_xor_b32_e32 v9, v9, v18
	v_fma_f64 v[0:1], -v[34:35], v[34:35], v[20:21]
	v_cndmask_b32_e64 v8, 0, v8, s[6:7]
	v_cndmask_b32_e64 v9, v26, v9, s[6:7]
	v_div_fixup_f64 v[10:11], v[24:25], v[14:15], v[16:17]
	v_mul_f64 v[4:5], v[4:5], v[8:9]
	v_and_b32_e32 v27, 1, v30
	v_cmp_eq_u32_e32 vcc, 0, v27
	v_lshlrev_b32_e32 v8, 30, v30
	v_xor_b32_e32 v3, 0x80000000, v3
	v_and_b32_e32 v8, 0x80000000, v8
	v_cndmask_b32_e32 v3, v3, v23, vcc
	v_cndmask_b32_e32 v2, v2, v22, vcc
	v_xor_b32_e32 v3, v3, v8
	v_cndmask_b32_e64 v2, 0, v2, s[6:7]
	v_fma_f64 v[0:1], v[0:1], v[6:7], v[34:35]
	v_cndmask_b32_e64 v3, v26, v3, s[6:7]
	v_fma_f64 v[2:3], v[10:11], v[2:3], v[4:5]
	v_mov_b32_e32 v4, 0xffffff80
	s_mov_b32 s6, 0x33d43651
	v_mov_b32_e32 v5, 0x260
	v_cndmask_b32_e64 v4, 0, v4, s[4:5]
	s_mov_b32 s7, 0x3fe98845
	v_ldexp_f64 v[0:1], v[0:1], v4
	v_cmp_class_f64_e32 vcc, v[20:21], v5
	v_mul_f64 v[2:3], v[2:3], s[6:7]
	v_cndmask_b32_e32 v1, v1, v21, vcc
	v_cndmask_b32_e32 v0, v0, v20, vcc
	v_div_scale_f64 v[4:5], s[4:5], v[0:1], v[0:1], v[2:3]
	v_div_scale_f64 v[10:11], vcc, v[2:3], v[0:1], v[2:3]
	v_rcp_f64_e32 v[6:7], v[4:5]
	v_fma_f64 v[8:9], -v[4:5], v[6:7], 1.0
	v_fma_f64 v[6:7], v[6:7], v[8:9], v[6:7]
	v_fma_f64 v[8:9], -v[4:5], v[6:7], 1.0
	v_fma_f64 v[6:7], v[6:7], v[8:9], v[6:7]
	v_mul_f64 v[8:9], v[10:11], v[6:7]
	v_fma_f64 v[4:5], -v[4:5], v[8:9], v[10:11]
	v_div_fmas_f64 v[4:5], v[4:5], v[6:7], v[8:9]
	v_div_fixup_f64 v[0:1], v[4:5], v[0:1], v[2:3]
.LBB8_129:
	s_or_b64 exec, exec, s[12:13]
.LBB8_130:
	s_or_b64 exec, exec, s[10:11]
	buffer_load_dword v61, off, s[0:3], s32 ; 4-byte Folded Reload
	buffer_load_dword v60, off, s[0:3], s32 offset:4 ; 4-byte Folded Reload
	buffer_load_dword v59, off, s[0:3], s32 offset:8 ; 4-byte Folded Reload
	;; [unrolled: 1-line block ×13, first 2 shown]
	s_waitcnt vmcnt(0) lgkmcnt(0)
	s_setpc_b64 s[30:31]
.Lfunc_end8:
	.size	_ZN2at6native6invokeIZZZNS0_12_GLOBAL__N_121bessel_j0_kernel_cudaERNS_18TensorIteratorBaseEENKUlvE_clEvENKUlvE_clEvEUldE_i15function_traitsIS7_EEENT1_11result_typeERKT_PrKPcPKT0_PKN3c1010ScalarTypeEi, .Lfunc_end8-_ZN2at6native6invokeIZZZNS0_12_GLOBAL__N_121bessel_j0_kernel_cudaERNS_18TensorIteratorBaseEENKUlvE_clEvENKUlvE_clEvEUldE_i15function_traitsIS7_EEENT1_11result_typeERKT_PrKPcPKT0_PKN3c1010ScalarTypeEi
                                        ; -- End function
	.set .L_ZN2at6native6invokeIZZZNS0_12_GLOBAL__N_121bessel_j0_kernel_cudaERNS_18TensorIteratorBaseEENKUlvE_clEvENKUlvE_clEvEUldE_i15function_traitsIS7_EEENT1_11result_typeERKT_PrKPcPKT0_PKN3c1010ScalarTypeEi.num_vgpr, 62
	.set .L_ZN2at6native6invokeIZZZNS0_12_GLOBAL__N_121bessel_j0_kernel_cudaERNS_18TensorIteratorBaseEENKUlvE_clEvENKUlvE_clEvEUldE_i15function_traitsIS7_EEENT1_11result_typeERKT_PrKPcPKT0_PKN3c1010ScalarTypeEi.num_agpr, 0
	.set .L_ZN2at6native6invokeIZZZNS0_12_GLOBAL__N_121bessel_j0_kernel_cudaERNS_18TensorIteratorBaseEENKUlvE_clEvENKUlvE_clEvEUldE_i15function_traitsIS7_EEENT1_11result_typeERKT_PrKPcPKT0_PKN3c1010ScalarTypeEi.numbered_sgpr, 46
	.set .L_ZN2at6native6invokeIZZZNS0_12_GLOBAL__N_121bessel_j0_kernel_cudaERNS_18TensorIteratorBaseEENKUlvE_clEvENKUlvE_clEvEUldE_i15function_traitsIS7_EEENT1_11result_typeERKT_PrKPcPKT0_PKN3c1010ScalarTypeEi.num_named_barrier, 0
	.set .L_ZN2at6native6invokeIZZZNS0_12_GLOBAL__N_121bessel_j0_kernel_cudaERNS_18TensorIteratorBaseEENKUlvE_clEvENKUlvE_clEvEUldE_i15function_traitsIS7_EEENT1_11result_typeERKT_PrKPcPKT0_PKN3c1010ScalarTypeEi.private_seg_size, 60
	.set .L_ZN2at6native6invokeIZZZNS0_12_GLOBAL__N_121bessel_j0_kernel_cudaERNS_18TensorIteratorBaseEENKUlvE_clEvENKUlvE_clEvEUldE_i15function_traitsIS7_EEENT1_11result_typeERKT_PrKPcPKT0_PKN3c1010ScalarTypeEi.uses_vcc, 1
	.set .L_ZN2at6native6invokeIZZZNS0_12_GLOBAL__N_121bessel_j0_kernel_cudaERNS_18TensorIteratorBaseEENKUlvE_clEvENKUlvE_clEvEUldE_i15function_traitsIS7_EEENT1_11result_typeERKT_PrKPcPKT0_PKN3c1010ScalarTypeEi.uses_flat_scratch, 0
	.set .L_ZN2at6native6invokeIZZZNS0_12_GLOBAL__N_121bessel_j0_kernel_cudaERNS_18TensorIteratorBaseEENKUlvE_clEvENKUlvE_clEvEUldE_i15function_traitsIS7_EEENT1_11result_typeERKT_PrKPcPKT0_PKN3c1010ScalarTypeEi.has_dyn_sized_stack, 0
	.set .L_ZN2at6native6invokeIZZZNS0_12_GLOBAL__N_121bessel_j0_kernel_cudaERNS_18TensorIteratorBaseEENKUlvE_clEvENKUlvE_clEvEUldE_i15function_traitsIS7_EEENT1_11result_typeERKT_PrKPcPKT0_PKN3c1010ScalarTypeEi.has_recursion, 0
	.set .L_ZN2at6native6invokeIZZZNS0_12_GLOBAL__N_121bessel_j0_kernel_cudaERNS_18TensorIteratorBaseEENKUlvE_clEvENKUlvE_clEvEUldE_i15function_traitsIS7_EEENT1_11result_typeERKT_PrKPcPKT0_PKN3c1010ScalarTypeEi.has_indirect_call, 0
	.section	.AMDGPU.csdata,"",@progbits
; Function info:
; codeLenInByte = 6936
; TotalNumSgprs: 50
; NumVgprs: 62
; ScratchSize: 60
; MemoryBound: 1
	.section	.text._ZN2at6native32elementwise_kernel_manual_unrollILi128ELi4EZNS0_15gpu_kernel_implIZZZNS0_12_GLOBAL__N_121bessel_j0_kernel_cudaERNS_18TensorIteratorBaseEENKUlvE_clEvENKUlvE_clEvEUldE_EEvS5_RKT_EUlibE_EEviT1_,"axG",@progbits,_ZN2at6native32elementwise_kernel_manual_unrollILi128ELi4EZNS0_15gpu_kernel_implIZZZNS0_12_GLOBAL__N_121bessel_j0_kernel_cudaERNS_18TensorIteratorBaseEENKUlvE_clEvENKUlvE_clEvEUldE_EEvS5_RKT_EUlibE_EEviT1_,comdat
	.globl	_ZN2at6native32elementwise_kernel_manual_unrollILi128ELi4EZNS0_15gpu_kernel_implIZZZNS0_12_GLOBAL__N_121bessel_j0_kernel_cudaERNS_18TensorIteratorBaseEENKUlvE_clEvENKUlvE_clEvEUldE_EEvS5_RKT_EUlibE_EEviT1_ ; -- Begin function _ZN2at6native32elementwise_kernel_manual_unrollILi128ELi4EZNS0_15gpu_kernel_implIZZZNS0_12_GLOBAL__N_121bessel_j0_kernel_cudaERNS_18TensorIteratorBaseEENKUlvE_clEvENKUlvE_clEvEUldE_EEvS5_RKT_EUlibE_EEviT1_
	.p2align	8
	.type	_ZN2at6native32elementwise_kernel_manual_unrollILi128ELi4EZNS0_15gpu_kernel_implIZZZNS0_12_GLOBAL__N_121bessel_j0_kernel_cudaERNS_18TensorIteratorBaseEENKUlvE_clEvENKUlvE_clEvEUldE_EEvS5_RKT_EUlibE_EEviT1_,@function
_ZN2at6native32elementwise_kernel_manual_unrollILi128ELi4EZNS0_15gpu_kernel_implIZZZNS0_12_GLOBAL__N_121bessel_j0_kernel_cudaERNS_18TensorIteratorBaseEENKUlvE_clEvENKUlvE_clEvEUldE_EEvS5_RKT_EUlibE_EEviT1_: ; @_ZN2at6native32elementwise_kernel_manual_unrollILi128ELi4EZNS0_15gpu_kernel_implIZZZNS0_12_GLOBAL__N_121bessel_j0_kernel_cudaERNS_18TensorIteratorBaseEENKUlvE_clEvENKUlvE_clEvEUldE_EEvS5_RKT_EUlibE_EEviT1_
; %bb.0:
	v_mov_b32_e32 v1, 0
	global_load_ushort v1, v1, s[4:5] offset:33
	s_load_dword s62, s[4:5], 0x0
	s_load_dwordx2 s[34:35], s[4:5], 0x18
	s_load_dwordx4 s[36:39], s[4:5], 0x8
	v_lshl_or_b32 v40, s6, 9, v0
	s_add_u32 s0, s0, s7
	v_mov_b32_e32 v2, 8
	v_or_b32_e32 v42, 0x180, v40
	s_addc_u32 s1, s1, 0
	s_mov_b64 s[46:47], 0
	s_waitcnt lgkmcnt(0)
	v_cmp_le_i32_e32 vcc, s62, v42
	s_mov_b64 s[50:51], 0
	s_movk_i32 s32, 0x1000
	s_waitcnt vmcnt(0)
	v_readfirstlane_b32 s33, v1
	v_lshrrev_b32_sdwa v41, v2, v1 dst_sel:DWORD dst_unused:UNUSED_PAD src0_sel:DWORD src1_sel:WORD_0
	s_and_saveexec_b64 s[4:5], vcc
	s_xor_b64 s[48:49], exec, s[4:5]
	s_cbranch_execz .LBB9_512
; %bb.1:
	v_cmp_gt_i32_e32 vcc, s62, v40
	s_mov_b64 s[4:5], -1
	s_mov_b64 s[56:57], 0
	s_and_saveexec_b64 s[52:53], vcc
                                        ; implicit-def: $vgpr2_vgpr3
	s_cbranch_execz .LBB9_124
; %bb.2:
	s_getpc_b64 s[4:5]
	s_add_u32 s4, s4, _ZN2at6native6invokeIZZZNS0_12_GLOBAL__N_121bessel_j0_kernel_cudaERNS_18TensorIteratorBaseEENKUlvE_clEvENKUlvE_clEvEUldE_i15function_traitsIS7_EEENT1_11result_typeERKT_PrKPcPKT0_PKN3c1010ScalarTypeEi@rel32@lo+4
	s_addc_u32 s5, s5, _ZN2at6native6invokeIZZZNS0_12_GLOBAL__N_121bessel_j0_kernel_cudaERNS_18TensorIteratorBaseEENKUlvE_clEvENKUlvE_clEvEUldE_i15function_traitsIS7_EEENT1_11result_typeERKT_PrKPcPKT0_PKN3c1010ScalarTypeEi@rel32@hi+12
	v_mov_b32_e32 v0, s38
	v_mov_b32_e32 v1, s39
	;; [unrolled: 1-line block ×5, first 2 shown]
	s_swappc_b64 s[30:31], s[4:5]
	v_mul_lo_u32 v2, v40, s34
	v_mov_b32_e32 v3, s37
	s_and_b32 s12, s33, 0xff
	s_cmp_lt_i32 s12, 11
	v_ashrrev_i32_e32 v5, 31, v2
	v_add_co_u32_e32 v4, vcc, s36, v2
	v_addc_co_u32_e32 v5, vcc, v3, v5, vcc
	s_cbranch_scc1 .LBB9_9
; %bb.3:
	s_and_b32 s13, 0xffff, s12
	s_cmp_gt_i32 s13, 25
	s_cbranch_scc0 .LBB9_12
; %bb.4:
	s_cmp_gt_i32 s13, 28
	s_cbranch_scc0 .LBB9_13
; %bb.5:
	;; [unrolled: 3-line block ×4, first 2 shown]
	s_mov_b64 s[8:9], 0
	s_mov_b64 s[4:5], -1
	s_cmp_eq_u32 s13, 46
	s_mov_b64 s[6:7], 0
	s_cbranch_scc0 .LBB9_16
; %bb.8:
	v_cvt_f32_f64_e32 v2, v[0:1]
	s_movk_i32 s4, 0x7fff
	v_mov_b32_e32 v3, 0x7fc0
	s_mov_b64 s[6:7], -1
	v_bfe_u32 v6, v2, 16, 1
	v_cmp_o_f32_e32 vcc, v2, v2
	v_add3_u32 v2, v2, v6, s4
	v_cndmask_b32_sdwa v2, v3, v2, vcc dst_sel:DWORD dst_unused:UNUSED_PAD src0_sel:DWORD src1_sel:WORD_1
	global_store_dword v[4:5], v2, off
	s_mov_b64 s[4:5], 0
	s_branch .LBB9_16
.LBB9_9:
	s_mov_b64 s[4:5], 0
	s_mov_b64 s[6:7], 0
	s_cbranch_execnz .LBB9_84
.LBB9_10:
	s_andn2_b64 vcc, exec, s[6:7]
	s_cbranch_vccnz .LBB9_122
.LBB9_11:
	v_add_u32_e32 v40, 0x80, v40
	s_mov_b64 s[6:7], -1
	s_branch .LBB9_123
.LBB9_12:
	s_mov_b64 s[4:5], 0
	s_mov_b64 s[6:7], 0
	s_cbranch_execnz .LBB9_43
	s_branch .LBB9_83
.LBB9_13:
	s_mov_b64 s[8:9], -1
	s_mov_b64 s[4:5], 0
	s_mov_b64 s[6:7], 0
	s_branch .LBB9_26
.LBB9_14:
	s_mov_b64 s[8:9], -1
	s_mov_b64 s[4:5], 0
	s_mov_b64 s[6:7], 0
	s_branch .LBB9_22
.LBB9_15:
	s_mov_b64 s[8:9], -1
	s_mov_b64 s[4:5], 0
	s_mov_b64 s[6:7], 0
.LBB9_16:
	s_and_b64 vcc, exec, s[8:9]
	s_cbranch_vccz .LBB9_21
; %bb.17:
	s_cmp_eq_u32 s13, 44
	s_mov_b64 s[4:5], -1
	s_cbranch_scc0 .LBB9_21
; %bb.18:
	v_cvt_f32_f64_e32 v2, v[0:1]
	s_movk_i32 s4, 0xff
	v_mov_b32_e32 v6, 0xff
	v_bfe_u32 v3, v2, 23, 8
	v_cmp_ne_u32_e32 vcc, s4, v3
	s_and_saveexec_b64 s[6:7], vcc
; %bb.19:
	s_mov_b32 s4, 0x3fffff
	v_lshrrev_b32_e32 v6, 23, v2
	v_and_b32_e32 v7, 0x400000, v2
	v_and_or_b32 v2, v2, s4, v3
	v_cmp_ne_u32_e32 vcc, 0, v7
	v_cmp_ne_u32_e64 s[4:5], 0, v2
	s_and_b64 s[4:5], vcc, s[4:5]
	v_cndmask_b32_e64 v2, 0, 1, s[4:5]
	v_add_u32_e32 v6, v6, v2
; %bb.20:
	s_or_b64 exec, exec, s[6:7]
	s_mov_b64 s[6:7], -1
	s_mov_b64 s[4:5], 0
	global_store_byte v[4:5], v6, off
.LBB9_21:
	s_mov_b64 s[8:9], 0
.LBB9_22:
	s_and_b64 vcc, exec, s[8:9]
	s_cbranch_vccz .LBB9_25
; %bb.23:
	s_cmp_eq_u32 s13, 29
	s_mov_b64 s[4:5], -1
	s_cbranch_scc0 .LBB9_25
; %bb.24:
	v_trunc_f64_e32 v[2:3], v[0:1]
	s_movk_i32 s4, 0xffe0
	s_mov_b64 s[6:7], -1
	s_mov_b64 s[8:9], 0
	v_ldexp_f64 v[6:7], v[2:3], s4
	s_mov_b32 s4, 0
	s_mov_b32 s5, 0xc1f00000
	v_floor_f64_e32 v[6:7], v[6:7]
	v_fma_f64 v[2:3], v[6:7], s[4:5], v[2:3]
	v_cvt_u32_f64_e32 v7, v[6:7]
	s_mov_b64 s[4:5], 0
	v_cvt_u32_f64_e32 v6, v[2:3]
	global_store_dwordx2 v[4:5], v[6:7], off
	s_branch .LBB9_26
.LBB9_25:
	s_mov_b64 s[8:9], 0
.LBB9_26:
	s_and_b64 vcc, exec, s[8:9]
	s_cbranch_vccz .LBB9_42
; %bb.27:
	s_cmp_lt_i32 s13, 27
	s_mov_b64 s[6:7], -1
	s_cbranch_scc1 .LBB9_33
; %bb.28:
	v_cvt_u32_f64_e32 v2, v[0:1]
	s_cmp_gt_i32 s13, 27
	s_cbranch_scc0 .LBB9_30
; %bb.29:
	s_mov_b64 s[6:7], 0
	global_store_dword v[4:5], v2, off
.LBB9_30:
	s_andn2_b64 vcc, exec, s[6:7]
	s_cbranch_vccnz .LBB9_32
; %bb.31:
	global_store_short v[4:5], v2, off
.LBB9_32:
	s_mov_b64 s[6:7], 0
.LBB9_33:
	s_andn2_b64 vcc, exec, s[6:7]
	s_cbranch_vccnz .LBB9_41
; %bb.34:
	v_cvt_f32_f64_e32 v2, v[0:1]
	s_mov_b32 s6, 0x43800000
	v_mov_b32_e32 v6, 0x80
	v_and_b32_e32 v3, 0x7fffffff, v2
	v_cmp_gt_u32_e32 vcc, s6, v3
	s_and_saveexec_b64 s[6:7], vcc
	s_cbranch_execz .LBB9_40
; %bb.35:
	s_mov_b32 s8, 0x3bffffff
	v_cmp_lt_u32_e32 vcc, s8, v3
	s_mov_b64 s[8:9], 0
                                        ; implicit-def: $vgpr3
	s_and_saveexec_b64 s[10:11], vcc
	s_xor_b64 s[10:11], exec, s[10:11]
	s_cbranch_execz .LBB9_141
; %bb.36:
	v_bfe_u32 v3, v2, 20, 1
	s_mov_b32 s14, 0x487ffff
	v_add3_u32 v3, v2, v3, s14
	s_mov_b64 s[8:9], exec
	v_lshrrev_b32_e32 v3, 20, v3
	s_andn2_saveexec_b64 s[10:11], s[10:11]
	s_cbranch_execnz .LBB9_142
.LBB9_37:
	s_or_b64 exec, exec, s[10:11]
	v_mov_b32_e32 v6, 0
	s_and_saveexec_b64 s[10:11], s[8:9]
.LBB9_38:
	v_lshrrev_b32_e32 v2, 24, v2
	s_movk_i32 s8, 0x80
	v_and_or_b32 v6, v2, s8, v3
.LBB9_39:
	s_or_b64 exec, exec, s[10:11]
.LBB9_40:
	s_or_b64 exec, exec, s[6:7]
	global_store_byte v[4:5], v6, off
.LBB9_41:
	s_mov_b64 s[6:7], -1
.LBB9_42:
	s_branch .LBB9_83
.LBB9_43:
	s_cmp_gt_i32 s13, 22
	s_mov_b64 s[8:9], -1
	s_cbranch_scc0 .LBB9_75
; %bb.44:
	s_cmp_lt_i32 s13, 24
	s_mov_b64 s[6:7], -1
	s_cbranch_scc1 .LBB9_64
; %bb.45:
	s_cmp_gt_i32 s13, 24
	s_cbranch_scc0 .LBB9_53
; %bb.46:
	v_cvt_f32_f64_e32 v2, v[0:1]
	s_mov_b32 s6, 0x47800000
	v_mov_b32_e32 v6, 0x80
	v_and_b32_e32 v3, 0x7fffffff, v2
	v_cmp_gt_u32_e32 vcc, s6, v3
	s_and_saveexec_b64 s[6:7], vcc
	s_cbranch_execz .LBB9_52
; %bb.47:
	s_mov_b32 s8, 0x37ffffff
	v_cmp_lt_u32_e32 vcc, s8, v3
	s_mov_b64 s[8:9], 0
                                        ; implicit-def: $vgpr3
	s_and_saveexec_b64 s[10:11], vcc
	s_xor_b64 s[10:11], exec, s[10:11]
	s_cbranch_execz .LBB9_144
; %bb.48:
	v_bfe_u32 v3, v2, 21, 1
	s_mov_b32 s14, 0x88fffff
	v_add3_u32 v3, v2, v3, s14
	s_mov_b64 s[8:9], exec
	v_lshrrev_b32_e32 v3, 21, v3
	s_andn2_saveexec_b64 s[10:11], s[10:11]
	s_cbranch_execnz .LBB9_145
.LBB9_49:
	s_or_b64 exec, exec, s[10:11]
	v_mov_b32_e32 v6, 0
	s_and_saveexec_b64 s[10:11], s[8:9]
.LBB9_50:
	v_lshrrev_b32_e32 v2, 24, v2
	s_movk_i32 s8, 0x80
	v_and_or_b32 v6, v2, s8, v3
.LBB9_51:
	s_or_b64 exec, exec, s[10:11]
.LBB9_52:
	s_or_b64 exec, exec, s[6:7]
	s_mov_b64 s[6:7], 0
	global_store_byte v[4:5], v6, off
.LBB9_53:
	s_and_b64 vcc, exec, s[6:7]
	s_cbranch_vccz .LBB9_63
; %bb.54:
	v_cvt_f32_f64_e32 v2, v[0:1]
	s_mov_b32 s6, 0x43f00000
                                        ; implicit-def: $vgpr3
	v_and_b32_e32 v6, 0x7fffffff, v2
	v_cmp_gt_u32_e32 vcc, s6, v6
	s_and_saveexec_b64 s[6:7], vcc
	s_xor_b64 s[6:7], exec, s[6:7]
	s_cbranch_execz .LBB9_60
; %bb.55:
	s_mov_b32 s8, 0x3c7fffff
	v_cmp_lt_u32_e32 vcc, s8, v6
                                        ; implicit-def: $vgpr3
	s_and_saveexec_b64 s[8:9], vcc
	s_xor_b64 s[8:9], exec, s[8:9]
; %bb.56:
	v_bfe_u32 v3, v2, 20, 1
	s_mov_b32 s10, 0x407ffff
	v_add3_u32 v3, v2, v3, s10
	v_lshrrev_b32_e32 v6, 20, v3
	v_and_b32_e32 v3, 0xff00000, v3
	s_mov_b32 s10, 0x7f00000
	v_mov_b32_e32 v7, 0x7e
	v_cmp_ne_u32_e32 vcc, s10, v3
	v_cndmask_b32_e32 v3, v7, v6, vcc
; %bb.57:
	s_andn2_saveexec_b64 s[8:9], s[8:9]
; %bb.58:
	s_mov_b32 s10, 0x46800000
	v_add_f32_e64 v3, |v2|, s10
; %bb.59:
	s_or_b64 exec, exec, s[8:9]
                                        ; implicit-def: $vgpr6
.LBB9_60:
	s_andn2_saveexec_b64 s[6:7], s[6:7]
; %bb.61:
	s_mov_b32 s8, 0x7f800000
	v_mov_b32_e32 v3, 0x7e
	v_mov_b32_e32 v7, 0x7f
	v_cmp_lt_u32_e32 vcc, s8, v6
	v_cndmask_b32_e32 v3, v3, v7, vcc
; %bb.62:
	s_or_b64 exec, exec, s[6:7]
	v_lshrrev_b32_e32 v2, 24, v2
	s_movk_i32 s6, 0x80
	v_and_or_b32 v2, v2, s6, v3
	global_store_byte v[4:5], v2, off
.LBB9_63:
	s_mov_b64 s[6:7], 0
.LBB9_64:
	s_andn2_b64 vcc, exec, s[6:7]
	s_cbranch_vccnz .LBB9_74
; %bb.65:
	v_cvt_f32_f64_e32 v2, v[0:1]
	s_mov_b32 s6, 0x47800000
                                        ; implicit-def: $vgpr3
	v_and_b32_e32 v6, 0x7fffffff, v2
	v_cmp_gt_u32_e32 vcc, s6, v6
	s_and_saveexec_b64 s[6:7], vcc
	s_xor_b64 s[6:7], exec, s[6:7]
	s_cbranch_execz .LBB9_71
; %bb.66:
	s_mov_b32 s8, 0x387fffff
	v_cmp_lt_u32_e32 vcc, s8, v6
                                        ; implicit-def: $vgpr3
	s_and_saveexec_b64 s[8:9], vcc
	s_xor_b64 s[8:9], exec, s[8:9]
; %bb.67:
	v_bfe_u32 v3, v2, 21, 1
	s_mov_b32 s10, 0x80fffff
	v_add3_u32 v3, v2, v3, s10
	v_lshrrev_b32_e32 v3, 21, v3
; %bb.68:
	s_andn2_saveexec_b64 s[8:9], s[8:9]
; %bb.69:
	s_mov_b32 s10, 0x43000000
	v_add_f32_e64 v3, |v2|, s10
; %bb.70:
	s_or_b64 exec, exec, s[8:9]
                                        ; implicit-def: $vgpr6
.LBB9_71:
	s_andn2_saveexec_b64 s[6:7], s[6:7]
; %bb.72:
	s_mov_b32 s8, 0x7f800000
	v_mov_b32_e32 v3, 0x7c
	v_mov_b32_e32 v7, 0x7f
	v_cmp_lt_u32_e32 vcc, s8, v6
	v_cndmask_b32_e32 v3, v3, v7, vcc
; %bb.73:
	s_or_b64 exec, exec, s[6:7]
	v_lshrrev_b32_e32 v2, 24, v2
	s_movk_i32 s6, 0x80
	v_and_or_b32 v2, v2, s6, v3
	global_store_byte v[4:5], v2, off
.LBB9_74:
	s_mov_b64 s[8:9], 0
	s_mov_b64 s[6:7], -1
.LBB9_75:
	s_andn2_b64 vcc, exec, s[8:9]
	s_cbranch_vccnz .LBB9_83
; %bb.76:
	s_cmp_gt_i32 s13, 14
	s_mov_b64 s[8:9], -1
	s_cbranch_scc0 .LBB9_80
; %bb.77:
	s_cmp_eq_u32 s13, 15
	s_mov_b64 s[4:5], -1
	s_cbranch_scc0 .LBB9_79
; %bb.78:
	v_cvt_f32_f64_e32 v2, v[0:1]
	s_movk_i32 s4, 0x7fff
	v_mov_b32_e32 v3, 0x7fc0
	s_mov_b64 s[6:7], -1
	v_bfe_u32 v6, v2, 16, 1
	v_cmp_o_f32_e32 vcc, v2, v2
	v_add3_u32 v2, v2, v6, s4
	v_cndmask_b32_sdwa v2, v3, v2, vcc dst_sel:DWORD dst_unused:UNUSED_PAD src0_sel:DWORD src1_sel:WORD_1
	global_store_short v[4:5], v2, off
	s_mov_b64 s[4:5], 0
.LBB9_79:
	s_mov_b64 s[8:9], 0
.LBB9_80:
	s_and_b64 vcc, exec, s[8:9]
	s_cbranch_vccz .LBB9_83
; %bb.81:
	s_cmp_eq_u32 s13, 11
	s_mov_b64 s[4:5], -1
	s_cbranch_scc0 .LBB9_83
; %bb.82:
	v_cmp_neq_f64_e32 vcc, 0, v[0:1]
	s_mov_b64 s[4:5], 0
	s_mov_b64 s[6:7], -1
	v_cndmask_b32_e64 v2, 0, 1, vcc
	global_store_byte v[4:5], v2, off
.LBB9_83:
	s_branch .LBB9_10
.LBB9_84:
	s_and_b32 s8, 0xffff, s12
	s_cmp_lt_i32 s8, 5
	s_mov_b64 s[6:7], -1
	s_cbranch_scc1 .LBB9_105
; %bb.85:
	s_cmp_lt_i32 s8, 8
	s_cbranch_scc1 .LBB9_95
; %bb.86:
	s_cmp_lt_i32 s8, 9
	s_cbranch_scc1 .LBB9_92
; %bb.87:
	s_cmp_gt_i32 s8, 9
	s_cbranch_scc0 .LBB9_89
; %bb.88:
	v_mov_b32_e32 v2, 0
	v_mov_b32_e32 v3, v2
	global_store_dwordx4 v[4:5], v[0:3], off
	s_mov_b64 s[6:7], 0
.LBB9_89:
	s_andn2_b64 vcc, exec, s[6:7]
	s_cbranch_vccnz .LBB9_91
; %bb.90:
	v_cvt_f32_f64_e32 v2, v[0:1]
	v_mov_b32_e32 v3, 0
	global_store_dwordx2 v[4:5], v[2:3], off
.LBB9_91:
	s_mov_b64 s[6:7], 0
.LBB9_92:
	s_andn2_b64 vcc, exec, s[6:7]
	s_cbranch_vccnz .LBB9_94
; %bb.93:
	s_movk_i32 s6, 0x1ff
	v_and_or_b32 v2, v1, s6, v0
	v_cmp_ne_u32_e32 vcc, 0, v2
	v_cndmask_b32_e64 v2, 0, 1, vcc
	v_lshrrev_b32_e32 v3, 8, v1
	s_movk_i32 s6, 0xffe
	v_bfe_u32 v6, v1, 20, 11
	v_and_or_b32 v2, v3, s6, v2
	v_sub_u32_e32 v7, 0x3f1, v6
	v_or_b32_e32 v3, 0x1000, v2
	v_med3_i32 v7, v7, 0, 13
	v_lshrrev_b32_e32 v8, v7, v3
	v_lshlrev_b32_e32 v7, v7, v8
	v_cmp_ne_u32_e32 vcc, v7, v3
	v_cndmask_b32_e64 v3, 0, 1, vcc
	v_add_u32_e32 v6, 0xfffffc10, v6
	v_or_b32_e32 v3, v8, v3
	v_lshl_or_b32 v7, v6, 12, v2
	v_cmp_gt_i32_e32 vcc, 1, v6
	v_cndmask_b32_e32 v3, v7, v3, vcc
	v_and_b32_e32 v7, 7, v3
	v_cmp_lt_i32_e32 vcc, 5, v7
	v_cndmask_b32_e64 v8, 0, 1, vcc
	v_cmp_eq_u32_e32 vcc, 3, v7
	v_cndmask_b32_e64 v7, 0, 1, vcc
	v_or_b32_e32 v7, v7, v8
	v_lshrrev_b32_e32 v3, 2, v3
	v_add_u32_e32 v3, v3, v7
	v_mov_b32_e32 v7, 0x7c00
	v_cmp_gt_i32_e32 vcc, 31, v6
	v_cndmask_b32_e32 v3, v7, v3, vcc
	v_mov_b32_e32 v8, 0x7e00
	v_cmp_ne_u32_e32 vcc, 0, v2
	s_movk_i32 s6, 0x40f
	v_cndmask_b32_e32 v2, v7, v8, vcc
	v_cmp_eq_u32_e32 vcc, s6, v6
	v_cndmask_b32_e32 v2, v3, v2, vcc
	v_lshrrev_b32_e32 v3, 16, v1
	s_mov_b32 s6, 0x8000
	v_and_or_b32 v2, v3, s6, v2
	v_and_b32_e32 v2, 0xffff, v2
	global_store_dword v[4:5], v2, off
.LBB9_94:
	s_mov_b64 s[6:7], 0
.LBB9_95:
	s_andn2_b64 vcc, exec, s[6:7]
	s_cbranch_vccnz .LBB9_104
; %bb.96:
	s_cmp_lt_i32 s8, 6
	s_mov_b64 s[6:7], -1
	s_cbranch_scc1 .LBB9_102
; %bb.97:
	s_cmp_gt_i32 s8, 6
	s_cbranch_scc0 .LBB9_99
; %bb.98:
	global_store_dwordx2 v[4:5], v[0:1], off
	s_mov_b64 s[6:7], 0
.LBB9_99:
	s_andn2_b64 vcc, exec, s[6:7]
	s_cbranch_vccnz .LBB9_101
; %bb.100:
	v_cvt_f32_f64_e32 v2, v[0:1]
	global_store_dword v[4:5], v2, off
.LBB9_101:
	s_mov_b64 s[6:7], 0
.LBB9_102:
	s_andn2_b64 vcc, exec, s[6:7]
	s_cbranch_vccnz .LBB9_104
; %bb.103:
	s_movk_i32 s6, 0x1ff
	v_and_or_b32 v2, v1, s6, v0
	v_cmp_ne_u32_e32 vcc, 0, v2
	v_cndmask_b32_e64 v2, 0, 1, vcc
	v_lshrrev_b32_e32 v3, 8, v1
	s_movk_i32 s6, 0xffe
	v_bfe_u32 v6, v1, 20, 11
	v_and_or_b32 v2, v3, s6, v2
	v_sub_u32_e32 v7, 0x3f1, v6
	v_or_b32_e32 v3, 0x1000, v2
	v_med3_i32 v7, v7, 0, 13
	v_lshrrev_b32_e32 v8, v7, v3
	v_lshlrev_b32_e32 v7, v7, v8
	v_cmp_ne_u32_e32 vcc, v7, v3
	v_cndmask_b32_e64 v3, 0, 1, vcc
	v_add_u32_e32 v6, 0xfffffc10, v6
	v_or_b32_e32 v3, v8, v3
	v_lshl_or_b32 v7, v6, 12, v2
	v_cmp_gt_i32_e32 vcc, 1, v6
	v_cndmask_b32_e32 v3, v7, v3, vcc
	v_and_b32_e32 v7, 7, v3
	v_cmp_lt_i32_e32 vcc, 5, v7
	v_cndmask_b32_e64 v8, 0, 1, vcc
	v_cmp_eq_u32_e32 vcc, 3, v7
	v_cndmask_b32_e64 v7, 0, 1, vcc
	v_or_b32_e32 v7, v7, v8
	v_lshrrev_b32_e32 v3, 2, v3
	v_add_u32_e32 v3, v3, v7
	v_mov_b32_e32 v7, 0x7c00
	v_cmp_gt_i32_e32 vcc, 31, v6
	v_cndmask_b32_e32 v3, v7, v3, vcc
	v_mov_b32_e32 v8, 0x7e00
	v_cmp_ne_u32_e32 vcc, 0, v2
	s_movk_i32 s6, 0x40f
	v_cndmask_b32_e32 v2, v7, v8, vcc
	v_cmp_eq_u32_e32 vcc, s6, v6
	v_cndmask_b32_e32 v2, v3, v2, vcc
	v_lshrrev_b32_e32 v3, 16, v1
	s_mov_b32 s6, 0x8000
	v_and_or_b32 v2, v3, s6, v2
	global_store_short v[4:5], v2, off
.LBB9_104:
	s_mov_b64 s[6:7], 0
.LBB9_105:
	s_andn2_b64 vcc, exec, s[6:7]
	s_cbranch_vccnz .LBB9_121
; %bb.106:
	s_cmp_lt_i32 s8, 2
	s_mov_b64 s[6:7], -1
	s_cbranch_scc1 .LBB9_116
; %bb.107:
	s_cmp_lt_i32 s8, 3
	s_cbranch_scc1 .LBB9_113
; %bb.108:
	s_cmp_gt_i32 s8, 3
	s_cbranch_scc0 .LBB9_110
; %bb.109:
	v_trunc_f64_e32 v[2:3], v[0:1]
	s_movk_i32 s6, 0xffe0
	v_ldexp_f64 v[6:7], v[2:3], s6
	s_mov_b32 s6, 0
	s_mov_b32 s7, 0xc1f00000
	v_floor_f64_e32 v[6:7], v[6:7]
	v_fma_f64 v[2:3], v[6:7], s[6:7], v[2:3]
	v_cvt_i32_f64_e32 v7, v[6:7]
	s_mov_b64 s[6:7], 0
	v_cvt_u32_f64_e32 v6, v[2:3]
	global_store_dwordx2 v[4:5], v[6:7], off
.LBB9_110:
	s_andn2_b64 vcc, exec, s[6:7]
	s_cbranch_vccnz .LBB9_112
; %bb.111:
	v_cvt_i32_f64_e32 v2, v[0:1]
	global_store_dword v[4:5], v2, off
.LBB9_112:
	s_mov_b64 s[6:7], 0
.LBB9_113:
	s_andn2_b64 vcc, exec, s[6:7]
	s_cbranch_vccnz .LBB9_115
; %bb.114:
	v_cvt_i32_f64_e32 v2, v[0:1]
	global_store_short v[4:5], v2, off
.LBB9_115:
	s_mov_b64 s[6:7], 0
.LBB9_116:
	s_andn2_b64 vcc, exec, s[6:7]
	s_cbranch_vccnz .LBB9_121
; %bb.117:
	s_cmp_gt_i32 s8, 0
	s_mov_b64 s[6:7], -1
	s_cbranch_scc0 .LBB9_119
; %bb.118:
	v_cvt_i32_f64_e32 v2, v[0:1]
	s_mov_b64 s[6:7], 0
	global_store_byte v[4:5], v2, off
.LBB9_119:
	s_andn2_b64 vcc, exec, s[6:7]
	s_cbranch_vccnz .LBB9_121
; %bb.120:
	v_trunc_f64_e32 v[0:1], v[0:1]
	s_movk_i32 s6, 0xffe0
	v_ldexp_f64 v[2:3], v[0:1], s6
	s_mov_b32 s6, 0
	s_mov_b32 s7, 0xc1f00000
	v_floor_f64_e32 v[2:3], v[2:3]
	v_fma_f64 v[0:1], v[2:3], s[6:7], v[0:1]
	v_cvt_u32_f64_e32 v0, v[0:1]
	global_store_byte v[4:5], v0, off
.LBB9_121:
	s_branch .LBB9_11
.LBB9_122:
	s_mov_b64 s[6:7], 0
                                        ; implicit-def: $vgpr40
.LBB9_123:
	s_and_b64 s[50:51], s[4:5], exec
	s_orn2_b64 s[4:5], s[6:7], exec
.LBB9_124:
	s_or_b64 exec, exec, s[52:53]
	s_mov_b64 s[6:7], 0
                                        ; implicit-def: $sgpr14
                                        ; implicit-def: $vgpr4_vgpr5
                                        ; implicit-def: $vgpr0_vgpr1
	s_and_saveexec_b64 s[52:53], s[4:5]
	s_cbranch_execz .LBB9_133
; %bb.125:
	v_cmp_gt_i32_e32 vcc, s62, v40
	s_mov_b64 s[8:9], -1
	s_mov_b64 s[54:55], s[50:51]
	s_and_saveexec_b64 s[56:57], vcc
	s_cbranch_execz .LBB9_256
; %bb.126:
	s_getpc_b64 s[4:5]
	s_add_u32 s4, s4, _ZN2at6native6invokeIZZZNS0_12_GLOBAL__N_121bessel_j0_kernel_cudaERNS_18TensorIteratorBaseEENKUlvE_clEvENKUlvE_clEvEUldE_i15function_traitsIS7_EEENT1_11result_typeERKT_PrKPcPKT0_PKN3c1010ScalarTypeEi@rel32@lo+4
	s_addc_u32 s5, s5, _ZN2at6native6invokeIZZZNS0_12_GLOBAL__N_121bessel_j0_kernel_cudaERNS_18TensorIteratorBaseEENKUlvE_clEvENKUlvE_clEvEUldE_i15function_traitsIS7_EEENT1_11result_typeERKT_PrKPcPKT0_PKN3c1010ScalarTypeEi@rel32@hi+12
	v_mov_b32_e32 v0, s38
	v_mov_b32_e32 v1, s39
	;; [unrolled: 1-line block ×5, first 2 shown]
	s_swappc_b64 s[30:31], s[4:5]
	v_mul_lo_u32 v2, v40, s34
	v_mov_b32_e32 v3, s37
	s_and_b32 s12, s33, 0xff
	s_cmp_lt_i32 s12, 11
	v_ashrrev_i32_e32 v5, 31, v2
	v_add_co_u32_e32 v4, vcc, s36, v2
	v_addc_co_u32_e32 v5, vcc, v3, v5, vcc
	s_cbranch_scc1 .LBB9_136
; %bb.127:
	s_and_b32 s13, 0xffff, s12
	s_cmp_gt_i32 s13, 25
	s_cbranch_scc0 .LBB9_139
; %bb.128:
	s_cmp_gt_i32 s13, 28
	s_cbranch_scc0 .LBB9_140
; %bb.129:
	;; [unrolled: 3-line block ×4, first 2 shown]
	s_mov_b64 s[8:9], 0
	s_mov_b64 s[4:5], -1
	s_cmp_eq_u32 s13, 46
	s_mov_b64 s[6:7], 0
	s_cbranch_scc0 .LBB9_147
; %bb.132:
	v_cvt_f32_f64_e32 v2, v[0:1]
	s_movk_i32 s4, 0x7fff
	v_mov_b32_e32 v3, 0x7fc0
	s_mov_b64 s[6:7], -1
	v_bfe_u32 v6, v2, 16, 1
	v_cmp_o_f32_e32 vcc, v2, v2
	v_add3_u32 v2, v2, v6, s4
	v_cndmask_b32_sdwa v2, v3, v2, vcc dst_sel:DWORD dst_unused:UNUSED_PAD src0_sel:DWORD src1_sel:WORD_1
	global_store_dword v[4:5], v2, off
	s_mov_b64 s[4:5], 0
	s_branch .LBB9_147
.LBB9_133:
	s_or_b64 exec, exec, s[52:53]
	s_mov_b64 s[4:5], 0
	s_and_saveexec_b64 s[8:9], s[50:51]
	s_cbranch_execnz .LBB9_472
.LBB9_134:
	s_or_b64 exec, exec, s[8:9]
	s_and_saveexec_b64 s[8:9], s[56:57]
	s_xor_b64 s[8:9], exec, s[8:9]
	s_cbranch_execz .LBB9_473
.LBB9_135:
	v_cmp_neq_f64_e32 vcc, 0, v[0:1]
	v_cndmask_b32_e64 v2, 0, 1, vcc
	global_store_byte v[4:5], v2, off
	s_or_b64 exec, exec, s[8:9]
	s_and_saveexec_b64 s[8:9], s[6:7]
	s_xor_b64 s[6:7], exec, s[8:9]
	s_cbranch_execz .LBB9_511
	s_branch .LBB9_474
.LBB9_136:
	s_mov_b64 s[6:7], 0
	s_mov_b64 s[4:5], s[50:51]
	s_cbranch_execnz .LBB9_216
.LBB9_137:
	s_andn2_b64 vcc, exec, s[6:7]
	s_cbranch_vccnz .LBB9_254
.LBB9_138:
	v_add_u32_e32 v40, 0x80, v40
	s_mov_b64 s[6:7], -1
	s_branch .LBB9_255
.LBB9_139:
	s_mov_b64 s[8:9], -1
	s_mov_b64 s[6:7], 0
	s_mov_b64 s[4:5], s[50:51]
	s_branch .LBB9_174
.LBB9_140:
	s_mov_b64 s[8:9], -1
	s_mov_b64 s[6:7], 0
	s_mov_b64 s[4:5], s[50:51]
	s_branch .LBB9_157
.LBB9_141:
	s_andn2_saveexec_b64 s[10:11], s[10:11]
	s_cbranch_execz .LBB9_37
.LBB9_142:
	s_mov_b32 s14, 0x46000000
	v_add_f32_e64 v3, |v2|, s14
	v_and_b32_e32 v3, 0xff, v3
	v_cmp_ne_u32_e32 vcc, 0, v3
	s_andn2_b64 s[8:9], s[8:9], exec
	s_and_b64 s[14:15], vcc, exec
	s_or_b64 s[8:9], s[8:9], s[14:15]
	s_or_b64 exec, exec, s[10:11]
	v_mov_b32_e32 v6, 0
	s_and_saveexec_b64 s[10:11], s[8:9]
	s_cbranch_execnz .LBB9_38
	s_branch .LBB9_39
.LBB9_143:
	s_mov_b64 s[8:9], -1
	s_mov_b64 s[6:7], 0
	s_mov_b64 s[4:5], s[50:51]
	s_branch .LBB9_153
.LBB9_144:
	s_andn2_saveexec_b64 s[10:11], s[10:11]
	s_cbranch_execz .LBB9_49
.LBB9_145:
	s_mov_b32 s14, 0x42800000
	v_add_f32_e64 v3, |v2|, s14
	v_and_b32_e32 v3, 0xff, v3
	v_cmp_ne_u32_e32 vcc, 0, v3
	s_andn2_b64 s[8:9], s[8:9], exec
	s_and_b64 s[14:15], vcc, exec
	s_or_b64 s[8:9], s[8:9], s[14:15]
	s_or_b64 exec, exec, s[10:11]
	v_mov_b32_e32 v6, 0
	s_and_saveexec_b64 s[10:11], s[8:9]
	s_cbranch_execnz .LBB9_50
	s_branch .LBB9_51
.LBB9_146:
	s_mov_b64 s[8:9], -1
	s_mov_b64 s[6:7], 0
	s_mov_b64 s[4:5], s[50:51]
.LBB9_147:
	s_and_b64 vcc, exec, s[8:9]
	s_cbranch_vccz .LBB9_152
; %bb.148:
	s_cmp_eq_u32 s13, 44
	s_mov_b64 s[4:5], -1
	s_cbranch_scc0 .LBB9_152
; %bb.149:
	v_cvt_f32_f64_e32 v2, v[0:1]
	s_movk_i32 s4, 0xff
	v_mov_b32_e32 v6, 0xff
	v_bfe_u32 v3, v2, 23, 8
	v_cmp_ne_u32_e32 vcc, s4, v3
	s_and_saveexec_b64 s[6:7], vcc
; %bb.150:
	s_mov_b32 s4, 0x3fffff
	v_lshrrev_b32_e32 v6, 23, v2
	v_and_b32_e32 v7, 0x400000, v2
	v_and_or_b32 v2, v2, s4, v3
	v_cmp_ne_u32_e32 vcc, 0, v7
	v_cmp_ne_u32_e64 s[4:5], 0, v2
	s_and_b64 s[4:5], vcc, s[4:5]
	v_cndmask_b32_e64 v2, 0, 1, s[4:5]
	v_add_u32_e32 v6, v6, v2
; %bb.151:
	s_or_b64 exec, exec, s[6:7]
	s_mov_b64 s[6:7], -1
	s_mov_b64 s[4:5], 0
	global_store_byte v[4:5], v6, off
.LBB9_152:
	s_mov_b64 s[8:9], 0
.LBB9_153:
	s_and_b64 vcc, exec, s[8:9]
	s_cbranch_vccz .LBB9_156
; %bb.154:
	s_cmp_eq_u32 s13, 29
	s_mov_b64 s[4:5], -1
	s_cbranch_scc0 .LBB9_156
; %bb.155:
	v_trunc_f64_e32 v[2:3], v[0:1]
	s_movk_i32 s4, 0xffe0
	s_mov_b64 s[6:7], -1
	s_mov_b64 s[8:9], 0
	v_ldexp_f64 v[6:7], v[2:3], s4
	s_mov_b32 s4, 0
	s_mov_b32 s5, 0xc1f00000
	v_floor_f64_e32 v[6:7], v[6:7]
	v_fma_f64 v[2:3], v[6:7], s[4:5], v[2:3]
	v_cvt_u32_f64_e32 v7, v[6:7]
	s_mov_b64 s[4:5], 0
	v_cvt_u32_f64_e32 v6, v[2:3]
	global_store_dwordx2 v[4:5], v[6:7], off
	s_branch .LBB9_157
.LBB9_156:
	s_mov_b64 s[8:9], 0
.LBB9_157:
	s_and_b64 vcc, exec, s[8:9]
	s_cbranch_vccz .LBB9_173
; %bb.158:
	s_cmp_lt_i32 s13, 27
	s_mov_b64 s[6:7], -1
	s_cbranch_scc1 .LBB9_164
; %bb.159:
	v_cvt_u32_f64_e32 v2, v[0:1]
	s_cmp_gt_i32 s13, 27
	s_cbranch_scc0 .LBB9_161
; %bb.160:
	s_mov_b64 s[6:7], 0
	global_store_dword v[4:5], v2, off
.LBB9_161:
	s_andn2_b64 vcc, exec, s[6:7]
	s_cbranch_vccnz .LBB9_163
; %bb.162:
	global_store_short v[4:5], v2, off
.LBB9_163:
	s_mov_b64 s[6:7], 0
.LBB9_164:
	s_andn2_b64 vcc, exec, s[6:7]
	s_cbranch_vccnz .LBB9_172
; %bb.165:
	v_cvt_f32_f64_e32 v2, v[0:1]
	s_mov_b32 s6, 0x43800000
	v_mov_b32_e32 v6, 0x80
	v_and_b32_e32 v3, 0x7fffffff, v2
	v_cmp_gt_u32_e32 vcc, s6, v3
	s_and_saveexec_b64 s[6:7], vcc
	s_cbranch_execz .LBB9_171
; %bb.166:
	s_mov_b32 s8, 0x3bffffff
	v_cmp_lt_u32_e32 vcc, s8, v3
	s_mov_b64 s[8:9], 0
                                        ; implicit-def: $vgpr3
	s_and_saveexec_b64 s[10:11], vcc
	s_xor_b64 s[10:11], exec, s[10:11]
	s_cbranch_execz .LBB9_268
; %bb.167:
	v_bfe_u32 v3, v2, 20, 1
	s_mov_b32 s14, 0x487ffff
	v_add3_u32 v3, v2, v3, s14
	s_mov_b64 s[8:9], exec
	v_lshrrev_b32_e32 v3, 20, v3
	s_andn2_saveexec_b64 s[10:11], s[10:11]
	s_cbranch_execnz .LBB9_269
.LBB9_168:
	s_or_b64 exec, exec, s[10:11]
	v_mov_b32_e32 v6, 0
	s_and_saveexec_b64 s[10:11], s[8:9]
.LBB9_169:
	v_lshrrev_b32_e32 v2, 24, v2
	s_movk_i32 s8, 0x80
	v_and_or_b32 v6, v2, s8, v3
.LBB9_170:
	s_or_b64 exec, exec, s[10:11]
.LBB9_171:
	s_or_b64 exec, exec, s[6:7]
	global_store_byte v[4:5], v6, off
.LBB9_172:
	s_mov_b64 s[6:7], -1
.LBB9_173:
	s_mov_b64 s[8:9], 0
.LBB9_174:
	s_and_b64 vcc, exec, s[8:9]
	s_cbranch_vccz .LBB9_215
; %bb.175:
	s_cmp_gt_i32 s13, 22
	s_mov_b64 s[8:9], -1
	s_cbranch_scc0 .LBB9_207
; %bb.176:
	s_cmp_lt_i32 s13, 24
	s_mov_b64 s[6:7], -1
	s_cbranch_scc1 .LBB9_196
; %bb.177:
	s_cmp_gt_i32 s13, 24
	s_cbranch_scc0 .LBB9_185
; %bb.178:
	v_cvt_f32_f64_e32 v2, v[0:1]
	s_mov_b32 s6, 0x47800000
	v_mov_b32_e32 v6, 0x80
	v_and_b32_e32 v3, 0x7fffffff, v2
	v_cmp_gt_u32_e32 vcc, s6, v3
	s_and_saveexec_b64 s[6:7], vcc
	s_cbranch_execz .LBB9_184
; %bb.179:
	s_mov_b32 s8, 0x37ffffff
	v_cmp_lt_u32_e32 vcc, s8, v3
	s_mov_b64 s[8:9], 0
                                        ; implicit-def: $vgpr3
	s_and_saveexec_b64 s[10:11], vcc
	s_xor_b64 s[10:11], exec, s[10:11]
	s_cbranch_execz .LBB9_271
; %bb.180:
	v_bfe_u32 v3, v2, 21, 1
	s_mov_b32 s14, 0x88fffff
	v_add3_u32 v3, v2, v3, s14
	s_mov_b64 s[8:9], exec
	v_lshrrev_b32_e32 v3, 21, v3
	s_andn2_saveexec_b64 s[10:11], s[10:11]
	s_cbranch_execnz .LBB9_272
.LBB9_181:
	s_or_b64 exec, exec, s[10:11]
	v_mov_b32_e32 v6, 0
	s_and_saveexec_b64 s[10:11], s[8:9]
.LBB9_182:
	v_lshrrev_b32_e32 v2, 24, v2
	s_movk_i32 s8, 0x80
	v_and_or_b32 v6, v2, s8, v3
.LBB9_183:
	s_or_b64 exec, exec, s[10:11]
.LBB9_184:
	s_or_b64 exec, exec, s[6:7]
	s_mov_b64 s[6:7], 0
	global_store_byte v[4:5], v6, off
.LBB9_185:
	s_and_b64 vcc, exec, s[6:7]
	s_cbranch_vccz .LBB9_195
; %bb.186:
	v_cvt_f32_f64_e32 v2, v[0:1]
	s_mov_b32 s6, 0x43f00000
                                        ; implicit-def: $vgpr3
	v_and_b32_e32 v6, 0x7fffffff, v2
	v_cmp_gt_u32_e32 vcc, s6, v6
	s_and_saveexec_b64 s[6:7], vcc
	s_xor_b64 s[6:7], exec, s[6:7]
	s_cbranch_execz .LBB9_192
; %bb.187:
	s_mov_b32 s8, 0x3c7fffff
	v_cmp_lt_u32_e32 vcc, s8, v6
                                        ; implicit-def: $vgpr3
	s_and_saveexec_b64 s[8:9], vcc
	s_xor_b64 s[8:9], exec, s[8:9]
; %bb.188:
	v_bfe_u32 v3, v2, 20, 1
	s_mov_b32 s10, 0x407ffff
	v_add3_u32 v3, v2, v3, s10
	v_lshrrev_b32_e32 v6, 20, v3
	v_and_b32_e32 v3, 0xff00000, v3
	s_mov_b32 s10, 0x7f00000
	v_mov_b32_e32 v7, 0x7e
	v_cmp_ne_u32_e32 vcc, s10, v3
	v_cndmask_b32_e32 v3, v7, v6, vcc
; %bb.189:
	s_andn2_saveexec_b64 s[8:9], s[8:9]
; %bb.190:
	s_mov_b32 s10, 0x46800000
	v_add_f32_e64 v3, |v2|, s10
; %bb.191:
	s_or_b64 exec, exec, s[8:9]
                                        ; implicit-def: $vgpr6
.LBB9_192:
	s_andn2_saveexec_b64 s[6:7], s[6:7]
; %bb.193:
	s_mov_b32 s8, 0x7f800000
	v_mov_b32_e32 v3, 0x7e
	v_mov_b32_e32 v7, 0x7f
	v_cmp_lt_u32_e32 vcc, s8, v6
	v_cndmask_b32_e32 v3, v3, v7, vcc
; %bb.194:
	s_or_b64 exec, exec, s[6:7]
	v_lshrrev_b32_e32 v2, 24, v2
	s_movk_i32 s6, 0x80
	v_and_or_b32 v2, v2, s6, v3
	global_store_byte v[4:5], v2, off
.LBB9_195:
	s_mov_b64 s[6:7], 0
.LBB9_196:
	s_andn2_b64 vcc, exec, s[6:7]
	s_cbranch_vccnz .LBB9_206
; %bb.197:
	v_cvt_f32_f64_e32 v2, v[0:1]
	s_mov_b32 s6, 0x47800000
                                        ; implicit-def: $vgpr3
	v_and_b32_e32 v6, 0x7fffffff, v2
	v_cmp_gt_u32_e32 vcc, s6, v6
	s_and_saveexec_b64 s[6:7], vcc
	s_xor_b64 s[6:7], exec, s[6:7]
	s_cbranch_execz .LBB9_203
; %bb.198:
	s_mov_b32 s8, 0x387fffff
	v_cmp_lt_u32_e32 vcc, s8, v6
                                        ; implicit-def: $vgpr3
	s_and_saveexec_b64 s[8:9], vcc
	s_xor_b64 s[8:9], exec, s[8:9]
; %bb.199:
	v_bfe_u32 v3, v2, 21, 1
	s_mov_b32 s10, 0x80fffff
	v_add3_u32 v3, v2, v3, s10
	v_lshrrev_b32_e32 v3, 21, v3
; %bb.200:
	s_andn2_saveexec_b64 s[8:9], s[8:9]
; %bb.201:
	s_mov_b32 s10, 0x43000000
	v_add_f32_e64 v3, |v2|, s10
; %bb.202:
	s_or_b64 exec, exec, s[8:9]
                                        ; implicit-def: $vgpr6
.LBB9_203:
	s_andn2_saveexec_b64 s[6:7], s[6:7]
; %bb.204:
	s_mov_b32 s8, 0x7f800000
	v_mov_b32_e32 v3, 0x7c
	v_mov_b32_e32 v7, 0x7f
	v_cmp_lt_u32_e32 vcc, s8, v6
	v_cndmask_b32_e32 v3, v3, v7, vcc
; %bb.205:
	s_or_b64 exec, exec, s[6:7]
	v_lshrrev_b32_e32 v2, 24, v2
	s_movk_i32 s6, 0x80
	v_and_or_b32 v2, v2, s6, v3
	global_store_byte v[4:5], v2, off
.LBB9_206:
	s_mov_b64 s[8:9], 0
	s_mov_b64 s[6:7], -1
.LBB9_207:
	s_andn2_b64 vcc, exec, s[8:9]
	s_cbranch_vccnz .LBB9_215
; %bb.208:
	s_cmp_gt_i32 s13, 14
	s_mov_b64 s[8:9], -1
	s_cbranch_scc0 .LBB9_212
; %bb.209:
	s_cmp_eq_u32 s13, 15
	s_mov_b64 s[4:5], -1
	s_cbranch_scc0 .LBB9_211
; %bb.210:
	v_cvt_f32_f64_e32 v2, v[0:1]
	s_movk_i32 s4, 0x7fff
	v_mov_b32_e32 v3, 0x7fc0
	s_mov_b64 s[6:7], -1
	v_bfe_u32 v6, v2, 16, 1
	v_cmp_o_f32_e32 vcc, v2, v2
	v_add3_u32 v2, v2, v6, s4
	v_cndmask_b32_sdwa v2, v3, v2, vcc dst_sel:DWORD dst_unused:UNUSED_PAD src0_sel:DWORD src1_sel:WORD_1
	global_store_short v[4:5], v2, off
	s_mov_b64 s[4:5], 0
.LBB9_211:
	s_mov_b64 s[8:9], 0
.LBB9_212:
	s_and_b64 vcc, exec, s[8:9]
	s_cbranch_vccz .LBB9_215
; %bb.213:
	s_cmp_eq_u32 s13, 11
	s_mov_b64 s[4:5], -1
	s_cbranch_scc0 .LBB9_215
; %bb.214:
	v_cmp_neq_f64_e32 vcc, 0, v[0:1]
	s_mov_b64 s[4:5], 0
	s_mov_b64 s[6:7], -1
	v_cndmask_b32_e64 v2, 0, 1, vcc
	global_store_byte v[4:5], v2, off
.LBB9_215:
	s_branch .LBB9_137
.LBB9_216:
	s_and_b32 s8, 0xffff, s12
	s_cmp_lt_i32 s8, 5
	s_mov_b64 s[6:7], -1
	s_cbranch_scc1 .LBB9_237
; %bb.217:
	s_cmp_lt_i32 s8, 8
	s_cbranch_scc1 .LBB9_227
; %bb.218:
	s_cmp_lt_i32 s8, 9
	s_cbranch_scc1 .LBB9_224
; %bb.219:
	s_cmp_gt_i32 s8, 9
	s_cbranch_scc0 .LBB9_221
; %bb.220:
	v_mov_b32_e32 v2, 0
	v_mov_b32_e32 v3, v2
	s_mov_b64 s[6:7], 0
	global_store_dwordx4 v[4:5], v[0:3], off
.LBB9_221:
	s_andn2_b64 vcc, exec, s[6:7]
	s_cbranch_vccnz .LBB9_223
; %bb.222:
	v_cvt_f32_f64_e32 v2, v[0:1]
	v_mov_b32_e32 v3, 0
	global_store_dwordx2 v[4:5], v[2:3], off
.LBB9_223:
	s_mov_b64 s[6:7], 0
.LBB9_224:
	s_andn2_b64 vcc, exec, s[6:7]
	s_cbranch_vccnz .LBB9_226
; %bb.225:
	s_movk_i32 s6, 0x1ff
	v_and_or_b32 v2, v1, s6, v0
	v_cmp_ne_u32_e32 vcc, 0, v2
	v_cndmask_b32_e64 v2, 0, 1, vcc
	v_lshrrev_b32_e32 v3, 8, v1
	s_movk_i32 s6, 0xffe
	v_bfe_u32 v6, v1, 20, 11
	v_and_or_b32 v2, v3, s6, v2
	v_sub_u32_e32 v7, 0x3f1, v6
	v_or_b32_e32 v3, 0x1000, v2
	v_med3_i32 v7, v7, 0, 13
	v_lshrrev_b32_e32 v8, v7, v3
	v_lshlrev_b32_e32 v7, v7, v8
	v_cmp_ne_u32_e32 vcc, v7, v3
	v_cndmask_b32_e64 v3, 0, 1, vcc
	v_add_u32_e32 v6, 0xfffffc10, v6
	v_or_b32_e32 v3, v8, v3
	v_lshl_or_b32 v7, v6, 12, v2
	v_cmp_gt_i32_e32 vcc, 1, v6
	v_cndmask_b32_e32 v3, v7, v3, vcc
	v_and_b32_e32 v7, 7, v3
	v_cmp_lt_i32_e32 vcc, 5, v7
	v_cndmask_b32_e64 v8, 0, 1, vcc
	v_cmp_eq_u32_e32 vcc, 3, v7
	v_cndmask_b32_e64 v7, 0, 1, vcc
	v_or_b32_e32 v7, v7, v8
	v_lshrrev_b32_e32 v3, 2, v3
	v_add_u32_e32 v3, v3, v7
	v_mov_b32_e32 v7, 0x7c00
	v_cmp_gt_i32_e32 vcc, 31, v6
	v_cndmask_b32_e32 v3, v7, v3, vcc
	v_mov_b32_e32 v8, 0x7e00
	v_cmp_ne_u32_e32 vcc, 0, v2
	s_movk_i32 s6, 0x40f
	v_cndmask_b32_e32 v2, v7, v8, vcc
	v_cmp_eq_u32_e32 vcc, s6, v6
	v_cndmask_b32_e32 v2, v3, v2, vcc
	v_lshrrev_b32_e32 v3, 16, v1
	s_mov_b32 s6, 0x8000
	v_and_or_b32 v2, v3, s6, v2
	v_and_b32_e32 v2, 0xffff, v2
	global_store_dword v[4:5], v2, off
.LBB9_226:
	s_mov_b64 s[6:7], 0
.LBB9_227:
	s_andn2_b64 vcc, exec, s[6:7]
	s_cbranch_vccnz .LBB9_236
; %bb.228:
	s_cmp_lt_i32 s8, 6
	s_mov_b64 s[6:7], -1
	s_cbranch_scc1 .LBB9_234
; %bb.229:
	s_cmp_gt_i32 s8, 6
	s_cbranch_scc0 .LBB9_231
; %bb.230:
	s_mov_b64 s[6:7], 0
	global_store_dwordx2 v[4:5], v[0:1], off
.LBB9_231:
	s_andn2_b64 vcc, exec, s[6:7]
	s_cbranch_vccnz .LBB9_233
; %bb.232:
	v_cvt_f32_f64_e32 v2, v[0:1]
	global_store_dword v[4:5], v2, off
.LBB9_233:
	s_mov_b64 s[6:7], 0
.LBB9_234:
	s_andn2_b64 vcc, exec, s[6:7]
	s_cbranch_vccnz .LBB9_236
; %bb.235:
	s_movk_i32 s6, 0x1ff
	v_and_or_b32 v2, v1, s6, v0
	v_cmp_ne_u32_e32 vcc, 0, v2
	v_cndmask_b32_e64 v2, 0, 1, vcc
	v_lshrrev_b32_e32 v3, 8, v1
	s_movk_i32 s6, 0xffe
	v_bfe_u32 v6, v1, 20, 11
	v_and_or_b32 v2, v3, s6, v2
	v_sub_u32_e32 v7, 0x3f1, v6
	v_or_b32_e32 v3, 0x1000, v2
	v_med3_i32 v7, v7, 0, 13
	v_lshrrev_b32_e32 v8, v7, v3
	v_lshlrev_b32_e32 v7, v7, v8
	v_cmp_ne_u32_e32 vcc, v7, v3
	v_cndmask_b32_e64 v3, 0, 1, vcc
	v_add_u32_e32 v6, 0xfffffc10, v6
	v_or_b32_e32 v3, v8, v3
	v_lshl_or_b32 v7, v6, 12, v2
	v_cmp_gt_i32_e32 vcc, 1, v6
	v_cndmask_b32_e32 v3, v7, v3, vcc
	v_and_b32_e32 v7, 7, v3
	v_cmp_lt_i32_e32 vcc, 5, v7
	v_cndmask_b32_e64 v8, 0, 1, vcc
	v_cmp_eq_u32_e32 vcc, 3, v7
	v_cndmask_b32_e64 v7, 0, 1, vcc
	v_or_b32_e32 v7, v7, v8
	v_lshrrev_b32_e32 v3, 2, v3
	v_add_u32_e32 v3, v3, v7
	v_mov_b32_e32 v7, 0x7c00
	v_cmp_gt_i32_e32 vcc, 31, v6
	v_cndmask_b32_e32 v3, v7, v3, vcc
	v_mov_b32_e32 v8, 0x7e00
	v_cmp_ne_u32_e32 vcc, 0, v2
	s_movk_i32 s6, 0x40f
	v_cndmask_b32_e32 v2, v7, v8, vcc
	v_cmp_eq_u32_e32 vcc, s6, v6
	v_cndmask_b32_e32 v2, v3, v2, vcc
	v_lshrrev_b32_e32 v3, 16, v1
	s_mov_b32 s6, 0x8000
	v_and_or_b32 v2, v3, s6, v2
	global_store_short v[4:5], v2, off
.LBB9_236:
	s_mov_b64 s[6:7], 0
.LBB9_237:
	s_andn2_b64 vcc, exec, s[6:7]
	s_cbranch_vccnz .LBB9_253
; %bb.238:
	s_cmp_lt_i32 s8, 2
	s_mov_b64 s[6:7], -1
	s_cbranch_scc1 .LBB9_248
; %bb.239:
	s_cmp_lt_i32 s8, 3
	s_cbranch_scc1 .LBB9_245
; %bb.240:
	s_cmp_gt_i32 s8, 3
	s_cbranch_scc0 .LBB9_242
; %bb.241:
	v_trunc_f64_e32 v[2:3], v[0:1]
	s_movk_i32 s6, 0xffe0
	v_ldexp_f64 v[6:7], v[2:3], s6
	s_mov_b32 s6, 0
	s_mov_b32 s7, 0xc1f00000
	v_floor_f64_e32 v[6:7], v[6:7]
	v_fma_f64 v[2:3], v[6:7], s[6:7], v[2:3]
	v_cvt_i32_f64_e32 v7, v[6:7]
	s_mov_b64 s[6:7], 0
	v_cvt_u32_f64_e32 v6, v[2:3]
	global_store_dwordx2 v[4:5], v[6:7], off
.LBB9_242:
	s_andn2_b64 vcc, exec, s[6:7]
	s_cbranch_vccnz .LBB9_244
; %bb.243:
	v_cvt_i32_f64_e32 v2, v[0:1]
	global_store_dword v[4:5], v2, off
.LBB9_244:
	s_mov_b64 s[6:7], 0
.LBB9_245:
	s_andn2_b64 vcc, exec, s[6:7]
	s_cbranch_vccnz .LBB9_247
; %bb.246:
	v_cvt_i32_f64_e32 v2, v[0:1]
	global_store_short v[4:5], v2, off
.LBB9_247:
	s_mov_b64 s[6:7], 0
.LBB9_248:
	s_andn2_b64 vcc, exec, s[6:7]
	s_cbranch_vccnz .LBB9_253
; %bb.249:
	s_cmp_gt_i32 s8, 0
	s_mov_b64 s[6:7], -1
	s_cbranch_scc0 .LBB9_251
; %bb.250:
	v_cvt_i32_f64_e32 v2, v[0:1]
	s_mov_b64 s[6:7], 0
	global_store_byte v[4:5], v2, off
.LBB9_251:
	s_andn2_b64 vcc, exec, s[6:7]
	s_cbranch_vccnz .LBB9_253
; %bb.252:
	v_trunc_f64_e32 v[0:1], v[0:1]
	s_movk_i32 s6, 0xffe0
	v_ldexp_f64 v[2:3], v[0:1], s6
	s_mov_b32 s6, 0
	s_mov_b32 s7, 0xc1f00000
	v_floor_f64_e32 v[2:3], v[2:3]
	v_fma_f64 v[0:1], v[2:3], s[6:7], v[0:1]
	v_cvt_u32_f64_e32 v0, v[0:1]
	global_store_byte v[4:5], v0, off
.LBB9_253:
	s_branch .LBB9_138
.LBB9_254:
	s_mov_b64 s[6:7], 0
                                        ; implicit-def: $vgpr40
.LBB9_255:
	s_andn2_b64 s[8:9], s[50:51], exec
	s_and_b64 s[4:5], s[4:5], exec
	s_or_b64 s[54:55], s[8:9], s[4:5]
	s_orn2_b64 s[8:9], s[6:7], exec
.LBB9_256:
	s_or_b64 exec, exec, s[56:57]
	s_mov_b64 s[4:5], 0
	s_mov_b64 s[6:7], 0
                                        ; implicit-def: $sgpr14
                                        ; implicit-def: $vgpr4_vgpr5
                                        ; implicit-def: $vgpr0_vgpr1
	s_and_saveexec_b64 s[56:57], s[8:9]
	s_cbranch_execz .LBB9_471
; %bb.257:
	v_cmp_gt_i32_e32 vcc, s62, v40
	s_mov_b64 s[6:7], -1
	s_mov_b64 s[60:61], s[54:55]
	s_and_saveexec_b64 s[58:59], vcc
	s_cbranch_execz .LBB9_386
; %bb.258:
	s_getpc_b64 s[4:5]
	s_add_u32 s4, s4, _ZN2at6native6invokeIZZZNS0_12_GLOBAL__N_121bessel_j0_kernel_cudaERNS_18TensorIteratorBaseEENKUlvE_clEvENKUlvE_clEvEUldE_i15function_traitsIS7_EEENT1_11result_typeERKT_PrKPcPKT0_PKN3c1010ScalarTypeEi@rel32@lo+4
	s_addc_u32 s5, s5, _ZN2at6native6invokeIZZZNS0_12_GLOBAL__N_121bessel_j0_kernel_cudaERNS_18TensorIteratorBaseEENKUlvE_clEvENKUlvE_clEvEUldE_i15function_traitsIS7_EEENT1_11result_typeERKT_PrKPcPKT0_PKN3c1010ScalarTypeEi@rel32@hi+12
	v_mov_b32_e32 v0, s38
	v_mov_b32_e32 v1, s39
	;; [unrolled: 1-line block ×5, first 2 shown]
	s_swappc_b64 s[30:31], s[4:5]
	v_mul_lo_u32 v2, v40, s34
	v_mov_b32_e32 v3, s37
	s_and_b32 s12, s33, 0xff
	s_cmp_lt_i32 s12, 11
	v_ashrrev_i32_e32 v5, 31, v2
	v_add_co_u32_e32 v4, vcc, s36, v2
	v_addc_co_u32_e32 v5, vcc, v3, v5, vcc
	s_cbranch_scc1 .LBB9_265
; %bb.259:
	s_and_b32 s13, 0xffff, s12
	s_cmp_gt_i32 s13, 25
	s_cbranch_scc0 .LBB9_266
; %bb.260:
	s_cmp_gt_i32 s13, 28
	s_cbranch_scc0 .LBB9_267
; %bb.261:
	;; [unrolled: 3-line block ×4, first 2 shown]
	s_mov_b64 s[8:9], 0
	s_mov_b64 s[4:5], -1
	s_cmp_eq_u32 s13, 46
	s_mov_b64 s[6:7], 0
	s_cbranch_scc0 .LBB9_274
; %bb.264:
	v_cvt_f32_f64_e32 v2, v[0:1]
	s_movk_i32 s4, 0x7fff
	v_mov_b32_e32 v3, 0x7fc0
	s_mov_b64 s[6:7], -1
	v_bfe_u32 v6, v2, 16, 1
	v_cmp_o_f32_e32 vcc, v2, v2
	v_add3_u32 v2, v2, v6, s4
	v_cndmask_b32_sdwa v2, v3, v2, vcc dst_sel:DWORD dst_unused:UNUSED_PAD src0_sel:DWORD src1_sel:WORD_1
	global_store_dword v[4:5], v2, off
	s_mov_b64 s[4:5], 0
	s_branch .LBB9_274
.LBB9_265:
	s_mov_b64 s[8:9], -1
	s_mov_b64 s[6:7], 0
	s_mov_b64 s[4:5], s[54:55]
	s_branch .LBB9_343
.LBB9_266:
	s_mov_b64 s[8:9], -1
	s_mov_b64 s[6:7], 0
	s_mov_b64 s[4:5], s[54:55]
	s_branch .LBB9_301
.LBB9_267:
	s_mov_b64 s[8:9], -1
	s_mov_b64 s[6:7], 0
	s_mov_b64 s[4:5], s[54:55]
	s_branch .LBB9_284
.LBB9_268:
	s_andn2_saveexec_b64 s[10:11], s[10:11]
	s_cbranch_execz .LBB9_168
.LBB9_269:
	s_mov_b32 s14, 0x46000000
	v_add_f32_e64 v3, |v2|, s14
	v_and_b32_e32 v3, 0xff, v3
	v_cmp_ne_u32_e32 vcc, 0, v3
	s_andn2_b64 s[8:9], s[8:9], exec
	s_and_b64 s[14:15], vcc, exec
	s_or_b64 s[8:9], s[8:9], s[14:15]
	s_or_b64 exec, exec, s[10:11]
	v_mov_b32_e32 v6, 0
	s_and_saveexec_b64 s[10:11], s[8:9]
	s_cbranch_execnz .LBB9_169
	s_branch .LBB9_170
.LBB9_270:
	s_mov_b64 s[8:9], -1
	s_mov_b64 s[6:7], 0
	s_mov_b64 s[4:5], s[54:55]
	s_branch .LBB9_280
.LBB9_271:
	s_andn2_saveexec_b64 s[10:11], s[10:11]
	s_cbranch_execz .LBB9_181
.LBB9_272:
	s_mov_b32 s14, 0x42800000
	v_add_f32_e64 v3, |v2|, s14
	v_and_b32_e32 v3, 0xff, v3
	v_cmp_ne_u32_e32 vcc, 0, v3
	s_andn2_b64 s[8:9], s[8:9], exec
	s_and_b64 s[14:15], vcc, exec
	s_or_b64 s[8:9], s[8:9], s[14:15]
	s_or_b64 exec, exec, s[10:11]
	v_mov_b32_e32 v6, 0
	s_and_saveexec_b64 s[10:11], s[8:9]
	s_cbranch_execnz .LBB9_182
	s_branch .LBB9_183
.LBB9_273:
	s_mov_b64 s[8:9], -1
	s_mov_b64 s[6:7], 0
	s_mov_b64 s[4:5], s[54:55]
.LBB9_274:
	s_and_b64 vcc, exec, s[8:9]
	s_cbranch_vccz .LBB9_279
; %bb.275:
	s_cmp_eq_u32 s13, 44
	s_mov_b64 s[4:5], -1
	s_cbranch_scc0 .LBB9_279
; %bb.276:
	v_cvt_f32_f64_e32 v2, v[0:1]
	s_movk_i32 s4, 0xff
	v_mov_b32_e32 v6, 0xff
	v_bfe_u32 v3, v2, 23, 8
	v_cmp_ne_u32_e32 vcc, s4, v3
	s_and_saveexec_b64 s[6:7], vcc
; %bb.277:
	s_mov_b32 s4, 0x3fffff
	v_lshrrev_b32_e32 v6, 23, v2
	v_and_b32_e32 v7, 0x400000, v2
	v_and_or_b32 v2, v2, s4, v3
	v_cmp_ne_u32_e32 vcc, 0, v7
	v_cmp_ne_u32_e64 s[4:5], 0, v2
	s_and_b64 s[4:5], vcc, s[4:5]
	v_cndmask_b32_e64 v2, 0, 1, s[4:5]
	v_add_u32_e32 v6, v6, v2
; %bb.278:
	s_or_b64 exec, exec, s[6:7]
	s_mov_b64 s[6:7], -1
	s_mov_b64 s[4:5], 0
	global_store_byte v[4:5], v6, off
.LBB9_279:
	s_mov_b64 s[8:9], 0
.LBB9_280:
	s_and_b64 vcc, exec, s[8:9]
	s_cbranch_vccz .LBB9_283
; %bb.281:
	s_cmp_eq_u32 s13, 29
	s_mov_b64 s[4:5], -1
	s_cbranch_scc0 .LBB9_283
; %bb.282:
	v_trunc_f64_e32 v[2:3], v[0:1]
	s_movk_i32 s4, 0xffe0
	s_mov_b64 s[6:7], -1
	s_mov_b64 s[8:9], 0
	v_ldexp_f64 v[6:7], v[2:3], s4
	s_mov_b32 s4, 0
	s_mov_b32 s5, 0xc1f00000
	v_floor_f64_e32 v[6:7], v[6:7]
	v_fma_f64 v[2:3], v[6:7], s[4:5], v[2:3]
	v_cvt_u32_f64_e32 v7, v[6:7]
	s_mov_b64 s[4:5], 0
	v_cvt_u32_f64_e32 v6, v[2:3]
	global_store_dwordx2 v[4:5], v[6:7], off
	s_branch .LBB9_284
.LBB9_283:
	s_mov_b64 s[8:9], 0
.LBB9_284:
	s_and_b64 vcc, exec, s[8:9]
	s_cbranch_vccz .LBB9_300
; %bb.285:
	s_cmp_lt_i32 s13, 27
	s_mov_b64 s[6:7], -1
	s_cbranch_scc1 .LBB9_291
; %bb.286:
	v_cvt_u32_f64_e32 v2, v[0:1]
	s_cmp_gt_i32 s13, 27
	s_cbranch_scc0 .LBB9_288
; %bb.287:
	s_mov_b64 s[6:7], 0
	global_store_dword v[4:5], v2, off
.LBB9_288:
	s_andn2_b64 vcc, exec, s[6:7]
	s_cbranch_vccnz .LBB9_290
; %bb.289:
	global_store_short v[4:5], v2, off
.LBB9_290:
	s_mov_b64 s[6:7], 0
.LBB9_291:
	s_andn2_b64 vcc, exec, s[6:7]
	s_cbranch_vccnz .LBB9_299
; %bb.292:
	v_cvt_f32_f64_e32 v2, v[0:1]
	s_mov_b32 s6, 0x43800000
	v_mov_b32_e32 v6, 0x80
	v_and_b32_e32 v3, 0x7fffffff, v2
	v_cmp_gt_u32_e32 vcc, s6, v3
	s_and_saveexec_b64 s[6:7], vcc
	s_cbranch_execz .LBB9_298
; %bb.293:
	s_mov_b32 s8, 0x3bffffff
	v_cmp_lt_u32_e32 vcc, s8, v3
	s_mov_b64 s[8:9], 0
                                        ; implicit-def: $vgpr3
	s_and_saveexec_b64 s[10:11], vcc
	s_xor_b64 s[10:11], exec, s[10:11]
	s_cbranch_execz .LBB9_396
; %bb.294:
	v_bfe_u32 v3, v2, 20, 1
	s_mov_b32 s14, 0x487ffff
	v_add3_u32 v3, v2, v3, s14
	s_mov_b64 s[8:9], exec
	v_lshrrev_b32_e32 v3, 20, v3
	s_andn2_saveexec_b64 s[10:11], s[10:11]
	s_cbranch_execnz .LBB9_397
.LBB9_295:
	s_or_b64 exec, exec, s[10:11]
	v_mov_b32_e32 v6, 0
	s_and_saveexec_b64 s[10:11], s[8:9]
.LBB9_296:
	v_lshrrev_b32_e32 v2, 24, v2
	s_movk_i32 s8, 0x80
	v_and_or_b32 v6, v2, s8, v3
.LBB9_297:
	s_or_b64 exec, exec, s[10:11]
.LBB9_298:
	s_or_b64 exec, exec, s[6:7]
	global_store_byte v[4:5], v6, off
.LBB9_299:
	s_mov_b64 s[6:7], -1
.LBB9_300:
	s_mov_b64 s[8:9], 0
.LBB9_301:
	s_and_b64 vcc, exec, s[8:9]
	s_cbranch_vccz .LBB9_342
; %bb.302:
	s_cmp_gt_i32 s13, 22
	s_mov_b64 s[8:9], -1
	s_cbranch_scc0 .LBB9_334
; %bb.303:
	s_cmp_lt_i32 s13, 24
	s_mov_b64 s[6:7], -1
	s_cbranch_scc1 .LBB9_323
; %bb.304:
	s_cmp_gt_i32 s13, 24
	s_cbranch_scc0 .LBB9_312
; %bb.305:
	v_cvt_f32_f64_e32 v2, v[0:1]
	s_mov_b32 s6, 0x47800000
	v_mov_b32_e32 v6, 0x80
	v_and_b32_e32 v3, 0x7fffffff, v2
	v_cmp_gt_u32_e32 vcc, s6, v3
	s_and_saveexec_b64 s[6:7], vcc
	s_cbranch_execz .LBB9_311
; %bb.306:
	s_mov_b32 s8, 0x37ffffff
	v_cmp_lt_u32_e32 vcc, s8, v3
	s_mov_b64 s[8:9], 0
                                        ; implicit-def: $vgpr3
	s_and_saveexec_b64 s[10:11], vcc
	s_xor_b64 s[10:11], exec, s[10:11]
	s_cbranch_execz .LBB9_398
; %bb.307:
	v_bfe_u32 v3, v2, 21, 1
	s_mov_b32 s14, 0x88fffff
	v_add3_u32 v3, v2, v3, s14
	s_mov_b64 s[8:9], exec
	v_lshrrev_b32_e32 v3, 21, v3
	s_andn2_saveexec_b64 s[10:11], s[10:11]
	s_cbranch_execnz .LBB9_399
.LBB9_308:
	s_or_b64 exec, exec, s[10:11]
	v_mov_b32_e32 v6, 0
	s_and_saveexec_b64 s[10:11], s[8:9]
.LBB9_309:
	v_lshrrev_b32_e32 v2, 24, v2
	s_movk_i32 s8, 0x80
	v_and_or_b32 v6, v2, s8, v3
.LBB9_310:
	s_or_b64 exec, exec, s[10:11]
.LBB9_311:
	s_or_b64 exec, exec, s[6:7]
	s_mov_b64 s[6:7], 0
	global_store_byte v[4:5], v6, off
.LBB9_312:
	s_and_b64 vcc, exec, s[6:7]
	s_cbranch_vccz .LBB9_322
; %bb.313:
	v_cvt_f32_f64_e32 v2, v[0:1]
	s_mov_b32 s6, 0x43f00000
                                        ; implicit-def: $vgpr3
	v_and_b32_e32 v6, 0x7fffffff, v2
	v_cmp_gt_u32_e32 vcc, s6, v6
	s_and_saveexec_b64 s[6:7], vcc
	s_xor_b64 s[6:7], exec, s[6:7]
	s_cbranch_execz .LBB9_319
; %bb.314:
	s_mov_b32 s8, 0x3c7fffff
	v_cmp_lt_u32_e32 vcc, s8, v6
                                        ; implicit-def: $vgpr3
	s_and_saveexec_b64 s[8:9], vcc
	s_xor_b64 s[8:9], exec, s[8:9]
; %bb.315:
	v_bfe_u32 v3, v2, 20, 1
	s_mov_b32 s10, 0x407ffff
	v_add3_u32 v3, v2, v3, s10
	v_lshrrev_b32_e32 v6, 20, v3
	v_and_b32_e32 v3, 0xff00000, v3
	s_mov_b32 s10, 0x7f00000
	v_mov_b32_e32 v7, 0x7e
	v_cmp_ne_u32_e32 vcc, s10, v3
	v_cndmask_b32_e32 v3, v7, v6, vcc
; %bb.316:
	s_andn2_saveexec_b64 s[8:9], s[8:9]
; %bb.317:
	s_mov_b32 s10, 0x46800000
	v_add_f32_e64 v3, |v2|, s10
; %bb.318:
	s_or_b64 exec, exec, s[8:9]
                                        ; implicit-def: $vgpr6
.LBB9_319:
	s_andn2_saveexec_b64 s[6:7], s[6:7]
; %bb.320:
	s_mov_b32 s8, 0x7f800000
	v_mov_b32_e32 v3, 0x7e
	v_mov_b32_e32 v7, 0x7f
	v_cmp_lt_u32_e32 vcc, s8, v6
	v_cndmask_b32_e32 v3, v3, v7, vcc
; %bb.321:
	s_or_b64 exec, exec, s[6:7]
	v_lshrrev_b32_e32 v2, 24, v2
	s_movk_i32 s6, 0x80
	v_and_or_b32 v2, v2, s6, v3
	global_store_byte v[4:5], v2, off
.LBB9_322:
	s_mov_b64 s[6:7], 0
.LBB9_323:
	s_andn2_b64 vcc, exec, s[6:7]
	s_cbranch_vccnz .LBB9_333
; %bb.324:
	v_cvt_f32_f64_e32 v2, v[0:1]
	s_mov_b32 s6, 0x47800000
                                        ; implicit-def: $vgpr3
	v_and_b32_e32 v6, 0x7fffffff, v2
	v_cmp_gt_u32_e32 vcc, s6, v6
	s_and_saveexec_b64 s[6:7], vcc
	s_xor_b64 s[6:7], exec, s[6:7]
	s_cbranch_execz .LBB9_330
; %bb.325:
	s_mov_b32 s8, 0x387fffff
	v_cmp_lt_u32_e32 vcc, s8, v6
                                        ; implicit-def: $vgpr3
	s_and_saveexec_b64 s[8:9], vcc
	s_xor_b64 s[8:9], exec, s[8:9]
; %bb.326:
	v_bfe_u32 v3, v2, 21, 1
	s_mov_b32 s10, 0x80fffff
	v_add3_u32 v3, v2, v3, s10
	v_lshrrev_b32_e32 v3, 21, v3
; %bb.327:
	s_andn2_saveexec_b64 s[8:9], s[8:9]
; %bb.328:
	s_mov_b32 s10, 0x43000000
	v_add_f32_e64 v3, |v2|, s10
; %bb.329:
	s_or_b64 exec, exec, s[8:9]
                                        ; implicit-def: $vgpr6
.LBB9_330:
	s_andn2_saveexec_b64 s[6:7], s[6:7]
; %bb.331:
	s_mov_b32 s8, 0x7f800000
	v_mov_b32_e32 v3, 0x7c
	v_mov_b32_e32 v7, 0x7f
	v_cmp_lt_u32_e32 vcc, s8, v6
	v_cndmask_b32_e32 v3, v3, v7, vcc
; %bb.332:
	s_or_b64 exec, exec, s[6:7]
	v_lshrrev_b32_e32 v2, 24, v2
	s_movk_i32 s6, 0x80
	v_and_or_b32 v2, v2, s6, v3
	global_store_byte v[4:5], v2, off
.LBB9_333:
	s_mov_b64 s[8:9], 0
	s_mov_b64 s[6:7], -1
.LBB9_334:
	s_andn2_b64 vcc, exec, s[8:9]
	s_cbranch_vccnz .LBB9_342
; %bb.335:
	s_cmp_gt_i32 s13, 14
	s_mov_b64 s[8:9], -1
	s_cbranch_scc0 .LBB9_339
; %bb.336:
	s_cmp_eq_u32 s13, 15
	s_mov_b64 s[4:5], -1
	s_cbranch_scc0 .LBB9_338
; %bb.337:
	v_cvt_f32_f64_e32 v2, v[0:1]
	s_movk_i32 s4, 0x7fff
	v_mov_b32_e32 v3, 0x7fc0
	s_mov_b64 s[6:7], -1
	v_bfe_u32 v6, v2, 16, 1
	v_cmp_o_f32_e32 vcc, v2, v2
	v_add3_u32 v2, v2, v6, s4
	v_cndmask_b32_sdwa v2, v3, v2, vcc dst_sel:DWORD dst_unused:UNUSED_PAD src0_sel:DWORD src1_sel:WORD_1
	global_store_short v[4:5], v2, off
	s_mov_b64 s[4:5], 0
.LBB9_338:
	s_mov_b64 s[8:9], 0
.LBB9_339:
	s_and_b64 vcc, exec, s[8:9]
	s_cbranch_vccz .LBB9_342
; %bb.340:
	s_cmp_eq_u32 s13, 11
	s_mov_b64 s[4:5], -1
	s_cbranch_scc0 .LBB9_342
; %bb.341:
	v_cmp_neq_f64_e32 vcc, 0, v[0:1]
	s_mov_b64 s[4:5], 0
	s_mov_b64 s[6:7], -1
	v_cndmask_b32_e64 v2, 0, 1, vcc
	global_store_byte v[4:5], v2, off
.LBB9_342:
	s_mov_b64 s[8:9], 0
.LBB9_343:
	s_and_b64 vcc, exec, s[8:9]
	s_cbranch_vccz .LBB9_382
; %bb.344:
	s_and_b32 s8, 0xffff, s12
	s_cmp_lt_i32 s8, 5
	s_mov_b64 s[6:7], -1
	s_cbranch_scc1 .LBB9_365
; %bb.345:
	s_cmp_lt_i32 s8, 8
	s_cbranch_scc1 .LBB9_355
; %bb.346:
	s_cmp_lt_i32 s8, 9
	s_cbranch_scc1 .LBB9_352
; %bb.347:
	s_cmp_gt_i32 s8, 9
	s_cbranch_scc0 .LBB9_349
; %bb.348:
	v_mov_b32_e32 v2, 0
	v_mov_b32_e32 v3, v2
	s_mov_b64 s[6:7], 0
	global_store_dwordx4 v[4:5], v[0:3], off
.LBB9_349:
	s_andn2_b64 vcc, exec, s[6:7]
	s_cbranch_vccnz .LBB9_351
; %bb.350:
	v_cvt_f32_f64_e32 v2, v[0:1]
	v_mov_b32_e32 v3, 0
	global_store_dwordx2 v[4:5], v[2:3], off
.LBB9_351:
	s_mov_b64 s[6:7], 0
.LBB9_352:
	s_andn2_b64 vcc, exec, s[6:7]
	s_cbranch_vccnz .LBB9_354
; %bb.353:
	s_movk_i32 s6, 0x1ff
	v_and_or_b32 v2, v1, s6, v0
	v_cmp_ne_u32_e32 vcc, 0, v2
	v_cndmask_b32_e64 v2, 0, 1, vcc
	v_lshrrev_b32_e32 v3, 8, v1
	s_movk_i32 s6, 0xffe
	v_bfe_u32 v6, v1, 20, 11
	v_and_or_b32 v2, v3, s6, v2
	v_sub_u32_e32 v7, 0x3f1, v6
	v_or_b32_e32 v3, 0x1000, v2
	v_med3_i32 v7, v7, 0, 13
	v_lshrrev_b32_e32 v8, v7, v3
	v_lshlrev_b32_e32 v7, v7, v8
	v_cmp_ne_u32_e32 vcc, v7, v3
	v_cndmask_b32_e64 v3, 0, 1, vcc
	v_add_u32_e32 v6, 0xfffffc10, v6
	v_or_b32_e32 v3, v8, v3
	v_lshl_or_b32 v7, v6, 12, v2
	v_cmp_gt_i32_e32 vcc, 1, v6
	v_cndmask_b32_e32 v3, v7, v3, vcc
	v_and_b32_e32 v7, 7, v3
	v_cmp_lt_i32_e32 vcc, 5, v7
	v_cndmask_b32_e64 v8, 0, 1, vcc
	v_cmp_eq_u32_e32 vcc, 3, v7
	v_cndmask_b32_e64 v7, 0, 1, vcc
	v_or_b32_e32 v7, v7, v8
	v_lshrrev_b32_e32 v3, 2, v3
	v_add_u32_e32 v3, v3, v7
	v_mov_b32_e32 v7, 0x7c00
	v_cmp_gt_i32_e32 vcc, 31, v6
	v_cndmask_b32_e32 v3, v7, v3, vcc
	v_mov_b32_e32 v8, 0x7e00
	v_cmp_ne_u32_e32 vcc, 0, v2
	s_movk_i32 s6, 0x40f
	v_cndmask_b32_e32 v2, v7, v8, vcc
	v_cmp_eq_u32_e32 vcc, s6, v6
	v_cndmask_b32_e32 v2, v3, v2, vcc
	v_lshrrev_b32_e32 v3, 16, v1
	s_mov_b32 s6, 0x8000
	v_and_or_b32 v2, v3, s6, v2
	v_and_b32_e32 v2, 0xffff, v2
	global_store_dword v[4:5], v2, off
.LBB9_354:
	s_mov_b64 s[6:7], 0
.LBB9_355:
	s_andn2_b64 vcc, exec, s[6:7]
	s_cbranch_vccnz .LBB9_364
; %bb.356:
	s_cmp_lt_i32 s8, 6
	s_mov_b64 s[6:7], -1
	s_cbranch_scc1 .LBB9_362
; %bb.357:
	s_cmp_gt_i32 s8, 6
	s_cbranch_scc0 .LBB9_359
; %bb.358:
	s_mov_b64 s[6:7], 0
	global_store_dwordx2 v[4:5], v[0:1], off
.LBB9_359:
	s_andn2_b64 vcc, exec, s[6:7]
	s_cbranch_vccnz .LBB9_361
; %bb.360:
	v_cvt_f32_f64_e32 v2, v[0:1]
	global_store_dword v[4:5], v2, off
.LBB9_361:
	s_mov_b64 s[6:7], 0
.LBB9_362:
	s_andn2_b64 vcc, exec, s[6:7]
	s_cbranch_vccnz .LBB9_364
; %bb.363:
	s_movk_i32 s6, 0x1ff
	v_and_or_b32 v2, v1, s6, v0
	v_cmp_ne_u32_e32 vcc, 0, v2
	v_cndmask_b32_e64 v2, 0, 1, vcc
	v_lshrrev_b32_e32 v3, 8, v1
	s_movk_i32 s6, 0xffe
	v_bfe_u32 v6, v1, 20, 11
	v_and_or_b32 v2, v3, s6, v2
	v_sub_u32_e32 v7, 0x3f1, v6
	v_or_b32_e32 v3, 0x1000, v2
	v_med3_i32 v7, v7, 0, 13
	v_lshrrev_b32_e32 v8, v7, v3
	v_lshlrev_b32_e32 v7, v7, v8
	v_cmp_ne_u32_e32 vcc, v7, v3
	v_cndmask_b32_e64 v3, 0, 1, vcc
	v_add_u32_e32 v6, 0xfffffc10, v6
	v_or_b32_e32 v3, v8, v3
	v_lshl_or_b32 v7, v6, 12, v2
	v_cmp_gt_i32_e32 vcc, 1, v6
	v_cndmask_b32_e32 v3, v7, v3, vcc
	v_and_b32_e32 v7, 7, v3
	v_cmp_lt_i32_e32 vcc, 5, v7
	v_cndmask_b32_e64 v8, 0, 1, vcc
	v_cmp_eq_u32_e32 vcc, 3, v7
	v_cndmask_b32_e64 v7, 0, 1, vcc
	v_or_b32_e32 v7, v7, v8
	v_lshrrev_b32_e32 v3, 2, v3
	v_add_u32_e32 v3, v3, v7
	v_mov_b32_e32 v7, 0x7c00
	v_cmp_gt_i32_e32 vcc, 31, v6
	v_cndmask_b32_e32 v3, v7, v3, vcc
	v_mov_b32_e32 v8, 0x7e00
	v_cmp_ne_u32_e32 vcc, 0, v2
	s_movk_i32 s6, 0x40f
	v_cndmask_b32_e32 v2, v7, v8, vcc
	v_cmp_eq_u32_e32 vcc, s6, v6
	v_cndmask_b32_e32 v2, v3, v2, vcc
	v_lshrrev_b32_e32 v3, 16, v1
	s_mov_b32 s6, 0x8000
	v_and_or_b32 v2, v3, s6, v2
	global_store_short v[4:5], v2, off
.LBB9_364:
	s_mov_b64 s[6:7], 0
.LBB9_365:
	s_andn2_b64 vcc, exec, s[6:7]
	s_cbranch_vccnz .LBB9_381
; %bb.366:
	s_cmp_lt_i32 s8, 2
	s_mov_b64 s[6:7], -1
	s_cbranch_scc1 .LBB9_376
; %bb.367:
	s_cmp_lt_i32 s8, 3
	s_cbranch_scc1 .LBB9_373
; %bb.368:
	s_cmp_gt_i32 s8, 3
	s_cbranch_scc0 .LBB9_370
; %bb.369:
	v_trunc_f64_e32 v[2:3], v[0:1]
	s_movk_i32 s6, 0xffe0
	v_ldexp_f64 v[6:7], v[2:3], s6
	s_mov_b32 s6, 0
	s_mov_b32 s7, 0xc1f00000
	v_floor_f64_e32 v[6:7], v[6:7]
	v_fma_f64 v[2:3], v[6:7], s[6:7], v[2:3]
	v_cvt_i32_f64_e32 v7, v[6:7]
	s_mov_b64 s[6:7], 0
	v_cvt_u32_f64_e32 v6, v[2:3]
	global_store_dwordx2 v[4:5], v[6:7], off
.LBB9_370:
	s_andn2_b64 vcc, exec, s[6:7]
	s_cbranch_vccnz .LBB9_372
; %bb.371:
	v_cvt_i32_f64_e32 v2, v[0:1]
	global_store_dword v[4:5], v2, off
.LBB9_372:
	s_mov_b64 s[6:7], 0
.LBB9_373:
	s_andn2_b64 vcc, exec, s[6:7]
	s_cbranch_vccnz .LBB9_375
; %bb.374:
	v_cvt_i32_f64_e32 v2, v[0:1]
	global_store_short v[4:5], v2, off
.LBB9_375:
	s_mov_b64 s[6:7], 0
.LBB9_376:
	s_andn2_b64 vcc, exec, s[6:7]
	s_cbranch_vccnz .LBB9_381
; %bb.377:
	s_cmp_gt_i32 s8, 0
	s_mov_b64 s[6:7], -1
	s_cbranch_scc0 .LBB9_379
; %bb.378:
	v_cvt_i32_f64_e32 v2, v[0:1]
	s_mov_b64 s[6:7], 0
	global_store_byte v[4:5], v2, off
.LBB9_379:
	s_andn2_b64 vcc, exec, s[6:7]
	s_cbranch_vccnz .LBB9_381
; %bb.380:
	v_trunc_f64_e32 v[0:1], v[0:1]
	s_movk_i32 s6, 0xffe0
	v_ldexp_f64 v[2:3], v[0:1], s6
	s_mov_b32 s6, 0
	s_mov_b32 s7, 0xc1f00000
	v_floor_f64_e32 v[2:3], v[2:3]
	v_fma_f64 v[0:1], v[2:3], s[6:7], v[0:1]
	v_cvt_u32_f64_e32 v0, v[0:1]
	global_store_byte v[4:5], v0, off
.LBB9_381:
	s_mov_b64 s[6:7], -1
.LBB9_382:
	s_andn2_b64 vcc, exec, s[6:7]
	s_cbranch_vccnz .LBB9_384
; %bb.383:
	v_add_u32_e32 v40, 0x80, v40
	s_mov_b64 s[6:7], -1
	s_branch .LBB9_385
.LBB9_384:
	s_mov_b64 s[6:7], 0
                                        ; implicit-def: $vgpr40
.LBB9_385:
	s_andn2_b64 s[8:9], s[54:55], exec
	s_and_b64 s[4:5], s[4:5], exec
	s_or_b64 s[60:61], s[8:9], s[4:5]
	s_orn2_b64 s[6:7], s[6:7], exec
.LBB9_386:
	s_or_b64 exec, exec, s[58:59]
	s_mov_b64 s[4:5], 0
	s_mov_b64 s[10:11], 0
                                        ; implicit-def: $sgpr14
                                        ; implicit-def: $vgpr4_vgpr5
                                        ; implicit-def: $vgpr0_vgpr1
	s_and_saveexec_b64 s[58:59], s[6:7]
	s_cbranch_execz .LBB9_470
; %bb.387:
	v_cmp_gt_i32_e32 vcc, s62, v40
	s_mov_b64 s[6:7], 0
	s_mov_b64 s[8:9], s[60:61]
                                        ; implicit-def: $sgpr14
                                        ; implicit-def: $vgpr4_vgpr5
                                        ; implicit-def: $vgpr0_vgpr1
	s_and_saveexec_b64 s[62:63], vcc
	s_cbranch_execz .LBB9_469
; %bb.388:
	s_getpc_b64 s[4:5]
	s_add_u32 s4, s4, _ZN2at6native6invokeIZZZNS0_12_GLOBAL__N_121bessel_j0_kernel_cudaERNS_18TensorIteratorBaseEENKUlvE_clEvENKUlvE_clEvEUldE_i15function_traitsIS7_EEENT1_11result_typeERKT_PrKPcPKT0_PKN3c1010ScalarTypeEi@rel32@lo+4
	s_addc_u32 s5, s5, _ZN2at6native6invokeIZZZNS0_12_GLOBAL__N_121bessel_j0_kernel_cudaERNS_18TensorIteratorBaseEENKUlvE_clEvENKUlvE_clEvEUldE_i15function_traitsIS7_EEENT1_11result_typeERKT_PrKPcPKT0_PKN3c1010ScalarTypeEi@rel32@hi+12
	v_mov_b32_e32 v0, s38
	v_mov_b32_e32 v1, s39
	;; [unrolled: 1-line block ×5, first 2 shown]
	s_swappc_b64 s[30:31], s[4:5]
	v_mul_lo_u32 v2, v40, s34
	v_mov_b32_e32 v3, s37
	s_and_b32 s14, s33, 0xff
	s_cmp_lt_i32 s14, 11
	v_ashrrev_i32_e32 v5, 31, v2
	v_add_co_u32_e32 v4, vcc, s36, v2
	v_addc_co_u32_e32 v5, vcc, v3, v5, vcc
	s_cbranch_scc1 .LBB9_395
; %bb.389:
	s_and_b32 s15, 0xffff, s14
	s_mov_b64 s[8:9], -1
	s_cmp_gt_i32 s15, 25
	s_mov_b64 s[4:5], s[60:61]
	s_cbranch_scc0 .LBB9_427
; %bb.390:
	s_mov_b64 s[6:7], -1
	s_cmp_gt_i32 s15, 28
	s_mov_b64 s[4:5], s[60:61]
	s_cbranch_scc0 .LBB9_411
; %bb.391:
	s_cmp_gt_i32 s15, 43
	s_mov_b64 s[4:5], s[60:61]
	s_cbranch_scc0 .LBB9_407
; %bb.392:
	;; [unrolled: 4-line block ×3, first 2 shown]
	s_cmp_eq_u32 s15, 46
	s_mov_b64 s[4:5], -1
	s_cbranch_scc0 .LBB9_400
; %bb.394:
	v_cvt_f32_f64_e32 v2, v[0:1]
	s_movk_i32 s4, 0x7fff
	v_mov_b32_e32 v3, 0x7fc0
	s_mov_b64 s[6:7], 0
	v_bfe_u32 v6, v2, 16, 1
	v_cmp_o_f32_e32 vcc, v2, v2
	v_add3_u32 v2, v2, v6, s4
	v_cndmask_b32_sdwa v2, v3, v2, vcc dst_sel:DWORD dst_unused:UNUSED_PAD src0_sel:DWORD src1_sel:WORD_1
	global_store_dword v[4:5], v2, off
	s_mov_b64 s[4:5], 0
	s_branch .LBB9_401
.LBB9_395:
	s_mov_b64 s[8:9], 0
	s_mov_b64 s[6:7], -1
	s_mov_b64 s[4:5], s[60:61]
	s_branch .LBB9_468
.LBB9_396:
	s_andn2_saveexec_b64 s[10:11], s[10:11]
	s_cbranch_execz .LBB9_295
.LBB9_397:
	s_mov_b32 s14, 0x46000000
	v_add_f32_e64 v3, |v2|, s14
	v_and_b32_e32 v3, 0xff, v3
	v_cmp_ne_u32_e32 vcc, 0, v3
	s_andn2_b64 s[8:9], s[8:9], exec
	s_and_b64 s[14:15], vcc, exec
	s_or_b64 s[8:9], s[8:9], s[14:15]
	s_or_b64 exec, exec, s[10:11]
	v_mov_b32_e32 v6, 0
	s_and_saveexec_b64 s[10:11], s[8:9]
	s_cbranch_execnz .LBB9_296
	s_branch .LBB9_297
.LBB9_398:
	s_andn2_saveexec_b64 s[10:11], s[10:11]
	s_cbranch_execz .LBB9_308
.LBB9_399:
	s_mov_b32 s14, 0x42800000
	v_add_f32_e64 v3, |v2|, s14
	v_and_b32_e32 v3, 0xff, v3
	v_cmp_ne_u32_e32 vcc, 0, v3
	s_andn2_b64 s[8:9], s[8:9], exec
	s_and_b64 s[14:15], vcc, exec
	s_or_b64 s[8:9], s[8:9], s[14:15]
	s_or_b64 exec, exec, s[10:11]
	v_mov_b32_e32 v6, 0
	s_and_saveexec_b64 s[10:11], s[8:9]
	s_cbranch_execnz .LBB9_309
	s_branch .LBB9_310
.LBB9_400:
	s_mov_b64 s[6:7], 0
.LBB9_401:
	s_and_b64 vcc, exec, s[6:7]
	s_cbranch_vccz .LBB9_406
; %bb.402:
	s_cmp_eq_u32 s15, 44
	s_mov_b64 s[4:5], -1
	s_cbranch_scc0 .LBB9_406
; %bb.403:
	v_cvt_f32_f64_e32 v2, v[0:1]
	s_movk_i32 s4, 0xff
	v_mov_b32_e32 v6, 0xff
	v_bfe_u32 v3, v2, 23, 8
	v_cmp_ne_u32_e32 vcc, s4, v3
	s_and_saveexec_b64 s[6:7], vcc
; %bb.404:
	s_mov_b32 s4, 0x3fffff
	v_lshrrev_b32_e32 v6, 23, v2
	v_and_b32_e32 v7, 0x400000, v2
	v_and_or_b32 v2, v2, s4, v3
	v_cmp_ne_u32_e32 vcc, 0, v7
	v_cmp_ne_u32_e64 s[4:5], 0, v2
	s_and_b64 s[4:5], vcc, s[4:5]
	v_cndmask_b32_e64 v2, 0, 1, s[4:5]
	v_add_u32_e32 v6, v6, v2
; %bb.405:
	s_or_b64 exec, exec, s[6:7]
	s_mov_b64 s[4:5], 0
	global_store_byte v[4:5], v6, off
.LBB9_406:
	s_mov_b64 s[6:7], 0
.LBB9_407:
	s_and_b64 vcc, exec, s[6:7]
	s_cbranch_vccz .LBB9_410
; %bb.408:
	s_cmp_eq_u32 s15, 29
	s_mov_b64 s[4:5], -1
	s_cbranch_scc0 .LBB9_410
; %bb.409:
	v_trunc_f64_e32 v[2:3], v[0:1]
	s_movk_i32 s4, 0xffe0
	s_mov_b64 s[6:7], 0
	v_ldexp_f64 v[6:7], v[2:3], s4
	s_mov_b32 s4, 0
	s_mov_b32 s5, 0xc1f00000
	v_floor_f64_e32 v[6:7], v[6:7]
	v_fma_f64 v[2:3], v[6:7], s[4:5], v[2:3]
	v_cvt_u32_f64_e32 v7, v[6:7]
	s_mov_b64 s[4:5], 0
	v_cvt_u32_f64_e32 v6, v[2:3]
	global_store_dwordx2 v[4:5], v[6:7], off
	s_branch .LBB9_411
.LBB9_410:
	s_mov_b64 s[6:7], 0
.LBB9_411:
	s_and_b64 vcc, exec, s[6:7]
	s_cbranch_vccz .LBB9_426
; %bb.412:
	s_cmp_lt_i32 s15, 27
	s_mov_b64 s[6:7], -1
	s_cbranch_scc1 .LBB9_418
; %bb.413:
	v_cvt_u32_f64_e32 v2, v[0:1]
	s_cmp_gt_i32 s15, 27
	s_cbranch_scc0 .LBB9_415
; %bb.414:
	s_mov_b64 s[6:7], 0
	global_store_dword v[4:5], v2, off
.LBB9_415:
	s_andn2_b64 vcc, exec, s[6:7]
	s_cbranch_vccnz .LBB9_417
; %bb.416:
	global_store_short v[4:5], v2, off
.LBB9_417:
	s_mov_b64 s[6:7], 0
.LBB9_418:
	s_andn2_b64 vcc, exec, s[6:7]
	s_cbranch_vccnz .LBB9_426
; %bb.419:
	v_cvt_f32_f64_e32 v2, v[0:1]
	s_mov_b32 s6, 0x43800000
	v_mov_b32_e32 v6, 0x80
	v_and_b32_e32 v3, 0x7fffffff, v2
	v_cmp_gt_u32_e32 vcc, s6, v3
	s_and_saveexec_b64 s[6:7], vcc
	s_cbranch_execz .LBB9_425
; %bb.420:
	s_mov_b32 s8, 0x3bffffff
	v_cmp_lt_u32_e32 vcc, s8, v3
	s_mov_b64 s[8:9], 0
                                        ; implicit-def: $vgpr3
	s_and_saveexec_b64 s[10:11], vcc
	s_xor_b64 s[10:11], exec, s[10:11]
	s_cbranch_execz .LBB9_1007
; %bb.421:
	v_bfe_u32 v3, v2, 20, 1
	s_mov_b32 s12, 0x487ffff
	v_add3_u32 v3, v2, v3, s12
	s_mov_b64 s[8:9], exec
	v_lshrrev_b32_e32 v3, 20, v3
	s_andn2_saveexec_b64 s[10:11], s[10:11]
	s_cbranch_execnz .LBB9_1008
.LBB9_422:
	s_or_b64 exec, exec, s[10:11]
	v_mov_b32_e32 v6, 0
	s_and_saveexec_b64 s[10:11], s[8:9]
.LBB9_423:
	v_lshrrev_b32_e32 v2, 24, v2
	s_movk_i32 s8, 0x80
	v_and_or_b32 v6, v2, s8, v3
.LBB9_424:
	s_or_b64 exec, exec, s[10:11]
.LBB9_425:
	s_or_b64 exec, exec, s[6:7]
	global_store_byte v[4:5], v6, off
.LBB9_426:
	s_mov_b64 s[8:9], 0
.LBB9_427:
	s_mov_b64 s[6:7], 0
	s_and_b64 vcc, exec, s[8:9]
	s_cbranch_vccz .LBB9_467
; %bb.428:
	s_cmp_gt_i32 s15, 22
	s_mov_b64 s[8:9], -1
	s_cbranch_scc0 .LBB9_460
; %bb.429:
	s_cmp_lt_i32 s15, 24
	s_cbranch_scc1 .LBB9_449
; %bb.430:
	s_cmp_gt_i32 s15, 24
	s_cbranch_scc0 .LBB9_438
; %bb.431:
	v_cvt_f32_f64_e32 v2, v[0:1]
	s_mov_b32 s8, 0x47800000
	v_mov_b32_e32 v6, 0x80
	v_and_b32_e32 v3, 0x7fffffff, v2
	v_cmp_gt_u32_e32 vcc, s8, v3
	s_and_saveexec_b64 s[8:9], vcc
	s_cbranch_execz .LBB9_437
; %bb.432:
	s_mov_b32 s10, 0x37ffffff
	v_cmp_lt_u32_e32 vcc, s10, v3
	s_mov_b64 s[10:11], 0
                                        ; implicit-def: $vgpr3
	s_and_saveexec_b64 s[12:13], vcc
	s_xor_b64 s[12:13], exec, s[12:13]
	s_cbranch_execz .LBB9_1011
; %bb.433:
	v_bfe_u32 v3, v2, 21, 1
	s_mov_b32 s16, 0x88fffff
	v_add3_u32 v3, v2, v3, s16
	s_mov_b64 s[10:11], exec
	v_lshrrev_b32_e32 v3, 21, v3
	s_andn2_saveexec_b64 s[12:13], s[12:13]
	s_cbranch_execnz .LBB9_1012
.LBB9_434:
	s_or_b64 exec, exec, s[12:13]
	v_mov_b32_e32 v6, 0
	s_and_saveexec_b64 s[12:13], s[10:11]
.LBB9_435:
	v_lshrrev_b32_e32 v2, 24, v2
	s_movk_i32 s10, 0x80
	v_and_or_b32 v6, v2, s10, v3
.LBB9_436:
	s_or_b64 exec, exec, s[12:13]
.LBB9_437:
	s_or_b64 exec, exec, s[8:9]
	s_mov_b64 s[8:9], 0
	global_store_byte v[4:5], v6, off
.LBB9_438:
	s_and_b64 vcc, exec, s[8:9]
	s_cbranch_vccz .LBB9_448
; %bb.439:
	v_cvt_f32_f64_e32 v2, v[0:1]
	s_mov_b32 s8, 0x43f00000
                                        ; implicit-def: $vgpr3
	v_and_b32_e32 v6, 0x7fffffff, v2
	v_cmp_gt_u32_e32 vcc, s8, v6
	s_and_saveexec_b64 s[8:9], vcc
	s_xor_b64 s[8:9], exec, s[8:9]
	s_cbranch_execz .LBB9_445
; %bb.440:
	s_mov_b32 s10, 0x3c7fffff
	v_cmp_lt_u32_e32 vcc, s10, v6
                                        ; implicit-def: $vgpr3
	s_and_saveexec_b64 s[10:11], vcc
	s_xor_b64 s[10:11], exec, s[10:11]
; %bb.441:
	v_bfe_u32 v3, v2, 20, 1
	s_mov_b32 s12, 0x407ffff
	v_add3_u32 v3, v2, v3, s12
	v_lshrrev_b32_e32 v6, 20, v3
	v_and_b32_e32 v3, 0xff00000, v3
	s_mov_b32 s12, 0x7f00000
	v_mov_b32_e32 v7, 0x7e
	v_cmp_ne_u32_e32 vcc, s12, v3
	v_cndmask_b32_e32 v3, v7, v6, vcc
; %bb.442:
	s_andn2_saveexec_b64 s[10:11], s[10:11]
; %bb.443:
	s_mov_b32 s12, 0x46800000
	v_add_f32_e64 v3, |v2|, s12
; %bb.444:
	s_or_b64 exec, exec, s[10:11]
                                        ; implicit-def: $vgpr6
.LBB9_445:
	s_andn2_saveexec_b64 s[8:9], s[8:9]
; %bb.446:
	s_mov_b32 s10, 0x7f800000
	v_mov_b32_e32 v3, 0x7e
	v_mov_b32_e32 v7, 0x7f
	v_cmp_lt_u32_e32 vcc, s10, v6
	v_cndmask_b32_e32 v3, v3, v7, vcc
; %bb.447:
	s_or_b64 exec, exec, s[8:9]
	v_lshrrev_b32_e32 v2, 24, v2
	s_movk_i32 s8, 0x80
	v_and_or_b32 v2, v2, s8, v3
	global_store_byte v[4:5], v2, off
.LBB9_448:
	s_mov_b64 s[8:9], 0
.LBB9_449:
	s_andn2_b64 vcc, exec, s[8:9]
	s_cbranch_vccnz .LBB9_459
; %bb.450:
	v_cvt_f32_f64_e32 v2, v[0:1]
	s_mov_b32 s8, 0x47800000
                                        ; implicit-def: $vgpr3
	v_and_b32_e32 v6, 0x7fffffff, v2
	v_cmp_gt_u32_e32 vcc, s8, v6
	s_and_saveexec_b64 s[8:9], vcc
	s_xor_b64 s[8:9], exec, s[8:9]
	s_cbranch_execz .LBB9_456
; %bb.451:
	s_mov_b32 s10, 0x387fffff
	v_cmp_lt_u32_e32 vcc, s10, v6
                                        ; implicit-def: $vgpr3
	s_and_saveexec_b64 s[10:11], vcc
	s_xor_b64 s[10:11], exec, s[10:11]
; %bb.452:
	v_bfe_u32 v3, v2, 21, 1
	s_mov_b32 s12, 0x80fffff
	v_add3_u32 v3, v2, v3, s12
	v_lshrrev_b32_e32 v3, 21, v3
; %bb.453:
	s_andn2_saveexec_b64 s[10:11], s[10:11]
; %bb.454:
	s_mov_b32 s12, 0x43000000
	v_add_f32_e64 v3, |v2|, s12
; %bb.455:
	s_or_b64 exec, exec, s[10:11]
                                        ; implicit-def: $vgpr6
.LBB9_456:
	s_andn2_saveexec_b64 s[8:9], s[8:9]
; %bb.457:
	s_mov_b32 s10, 0x7f800000
	v_mov_b32_e32 v3, 0x7c
	v_mov_b32_e32 v7, 0x7f
	v_cmp_lt_u32_e32 vcc, s10, v6
	v_cndmask_b32_e32 v3, v3, v7, vcc
; %bb.458:
	s_or_b64 exec, exec, s[8:9]
	v_lshrrev_b32_e32 v2, 24, v2
	s_movk_i32 s8, 0x80
	v_and_or_b32 v2, v2, s8, v3
	global_store_byte v[4:5], v2, off
.LBB9_459:
	s_mov_b64 s[8:9], 0
.LBB9_460:
	s_andn2_b64 vcc, exec, s[8:9]
	s_mov_b64 s[8:9], 0
	s_cbranch_vccnz .LBB9_468
; %bb.461:
	s_cmp_gt_i32 s15, 14
	s_mov_b64 s[10:11], -1
	s_cbranch_scc0 .LBB9_465
; %bb.462:
	s_cmp_eq_u32 s15, 15
	s_mov_b64 s[4:5], -1
	s_cbranch_scc0 .LBB9_464
; %bb.463:
	v_cvt_f32_f64_e32 v2, v[0:1]
	s_movk_i32 s4, 0x7fff
	v_mov_b32_e32 v3, 0x7fc0
	v_bfe_u32 v6, v2, 16, 1
	v_cmp_o_f32_e32 vcc, v2, v2
	v_add3_u32 v2, v2, v6, s4
	v_cndmask_b32_sdwa v2, v3, v2, vcc dst_sel:DWORD dst_unused:UNUSED_PAD src0_sel:DWORD src1_sel:WORD_1
	global_store_short v[4:5], v2, off
	s_mov_b64 s[4:5], 0
.LBB9_464:
	s_mov_b64 s[10:11], 0
.LBB9_465:
	s_and_b64 vcc, exec, s[10:11]
	s_cbranch_vccz .LBB9_468
; %bb.466:
	s_cmp_lg_u32 s15, 11
	s_cselect_b64 s[10:11], -1, 0
	s_andn2_b64 s[4:5], s[4:5], exec
	s_and_b64 s[10:11], s[10:11], exec
	s_mov_b64 s[8:9], -1
	s_or_b64 s[4:5], s[4:5], s[10:11]
	s_branch .LBB9_468
.LBB9_467:
	s_mov_b64 s[8:9], 0
.LBB9_468:
	s_and_b64 s[10:11], s[6:7], exec
	s_and_b64 s[6:7], s[8:9], exec
	s_andn2_b64 s[8:9], s[60:61], exec
	s_and_b64 s[4:5], s[4:5], exec
	s_or_b64 s[8:9], s[8:9], s[4:5]
.LBB9_469:
	s_or_b64 exec, exec, s[62:63]
	s_and_b64 s[4:5], s[6:7], exec
	s_andn2_b64 s[6:7], s[60:61], exec
	s_and_b64 s[8:9], s[8:9], exec
	s_and_b64 s[10:11], s[10:11], exec
	s_or_b64 s[60:61], s[6:7], s[8:9]
.LBB9_470:
	s_or_b64 exec, exec, s[58:59]
	s_and_b64 s[6:7], s[10:11], exec
	s_andn2_b64 s[8:9], s[54:55], exec
	s_and_b64 s[10:11], s[60:61], exec
	s_and_b64 s[4:5], s[4:5], exec
	s_or_b64 s[54:55], s[8:9], s[10:11]
.LBB9_471:
	s_or_b64 exec, exec, s[56:57]
	s_and_b64 s[56:57], s[4:5], exec
	s_andn2_b64 s[4:5], s[50:51], exec
	s_and_b64 s[8:9], s[54:55], exec
	s_and_b64 s[6:7], s[6:7], exec
	s_or_b64 s[50:51], s[4:5], s[8:9]
	s_or_b64 exec, exec, s[52:53]
	s_mov_b64 s[4:5], 0
	s_and_saveexec_b64 s[8:9], s[50:51]
	s_cbranch_execz .LBB9_134
.LBB9_472:
	s_mov_b64 s[4:5], exec
	s_andn2_b64 s[56:57], s[56:57], exec
	s_trap 2
	s_or_b64 exec, exec, s[8:9]
	s_and_saveexec_b64 s[8:9], s[56:57]
	s_xor_b64 s[8:9], exec, s[8:9]
	s_cbranch_execnz .LBB9_135
.LBB9_473:
	s_or_b64 exec, exec, s[8:9]
	s_and_saveexec_b64 s[8:9], s[6:7]
	s_xor_b64 s[6:7], exec, s[8:9]
	s_cbranch_execz .LBB9_511
.LBB9_474:
	s_sext_i32_i16 s10, s14
	s_cmp_lt_i32 s10, 5
	s_mov_b64 s[8:9], -1
	s_cbranch_scc1 .LBB9_495
; %bb.475:
	s_cmp_lt_i32 s10, 8
	s_cbranch_scc1 .LBB9_485
; %bb.476:
	s_cmp_lt_i32 s10, 9
	s_cbranch_scc1 .LBB9_482
; %bb.477:
	s_cmp_gt_i32 s10, 9
	s_cbranch_scc0 .LBB9_479
; %bb.478:
	v_mov_b32_e32 v2, 0
	v_mov_b32_e32 v3, v2
	s_mov_b64 s[8:9], 0
	global_store_dwordx4 v[4:5], v[0:3], off
.LBB9_479:
	s_andn2_b64 vcc, exec, s[8:9]
	s_cbranch_vccnz .LBB9_481
; %bb.480:
	v_cvt_f32_f64_e32 v2, v[0:1]
	v_mov_b32_e32 v3, 0
	global_store_dwordx2 v[4:5], v[2:3], off
.LBB9_481:
	s_mov_b64 s[8:9], 0
.LBB9_482:
	s_andn2_b64 vcc, exec, s[8:9]
	s_cbranch_vccnz .LBB9_484
; %bb.483:
	s_movk_i32 s8, 0x1ff
	v_and_or_b32 v2, v1, s8, v0
	v_cmp_ne_u32_e32 vcc, 0, v2
	v_cndmask_b32_e64 v2, 0, 1, vcc
	v_lshrrev_b32_e32 v3, 8, v1
	s_movk_i32 s8, 0xffe
	v_bfe_u32 v6, v1, 20, 11
	v_and_or_b32 v2, v3, s8, v2
	v_sub_u32_e32 v7, 0x3f1, v6
	v_or_b32_e32 v3, 0x1000, v2
	v_med3_i32 v7, v7, 0, 13
	v_lshrrev_b32_e32 v8, v7, v3
	v_lshlrev_b32_e32 v7, v7, v8
	v_cmp_ne_u32_e32 vcc, v7, v3
	v_cndmask_b32_e64 v3, 0, 1, vcc
	v_add_u32_e32 v6, 0xfffffc10, v6
	v_or_b32_e32 v3, v8, v3
	v_lshl_or_b32 v7, v6, 12, v2
	v_cmp_gt_i32_e32 vcc, 1, v6
	v_cndmask_b32_e32 v3, v7, v3, vcc
	v_and_b32_e32 v7, 7, v3
	v_cmp_lt_i32_e32 vcc, 5, v7
	v_cndmask_b32_e64 v8, 0, 1, vcc
	v_cmp_eq_u32_e32 vcc, 3, v7
	v_cndmask_b32_e64 v7, 0, 1, vcc
	v_or_b32_e32 v7, v7, v8
	v_lshrrev_b32_e32 v3, 2, v3
	v_add_u32_e32 v3, v3, v7
	v_mov_b32_e32 v7, 0x7c00
	v_cmp_gt_i32_e32 vcc, 31, v6
	v_cndmask_b32_e32 v3, v7, v3, vcc
	v_mov_b32_e32 v8, 0x7e00
	v_cmp_ne_u32_e32 vcc, 0, v2
	s_movk_i32 s8, 0x40f
	v_cndmask_b32_e32 v2, v7, v8, vcc
	v_cmp_eq_u32_e32 vcc, s8, v6
	v_cndmask_b32_e32 v2, v3, v2, vcc
	v_lshrrev_b32_e32 v3, 16, v1
	s_mov_b32 s8, 0x8000
	v_and_or_b32 v2, v3, s8, v2
	v_and_b32_e32 v2, 0xffff, v2
	global_store_dword v[4:5], v2, off
.LBB9_484:
	s_mov_b64 s[8:9], 0
.LBB9_485:
	s_andn2_b64 vcc, exec, s[8:9]
	s_cbranch_vccnz .LBB9_494
; %bb.486:
	s_sext_i32_i16 s10, s14
	s_cmp_lt_i32 s10, 6
	s_mov_b64 s[8:9], -1
	s_cbranch_scc1 .LBB9_492
; %bb.487:
	s_cmp_gt_i32 s10, 6
	s_cbranch_scc0 .LBB9_489
; %bb.488:
	s_mov_b64 s[8:9], 0
	global_store_dwordx2 v[4:5], v[0:1], off
.LBB9_489:
	s_andn2_b64 vcc, exec, s[8:9]
	s_cbranch_vccnz .LBB9_491
; %bb.490:
	v_cvt_f32_f64_e32 v2, v[0:1]
	global_store_dword v[4:5], v2, off
.LBB9_491:
	s_mov_b64 s[8:9], 0
.LBB9_492:
	s_andn2_b64 vcc, exec, s[8:9]
	s_cbranch_vccnz .LBB9_494
; %bb.493:
	s_movk_i32 s8, 0x1ff
	v_and_or_b32 v2, v1, s8, v0
	v_cmp_ne_u32_e32 vcc, 0, v2
	v_cndmask_b32_e64 v2, 0, 1, vcc
	v_lshrrev_b32_e32 v3, 8, v1
	s_movk_i32 s8, 0xffe
	v_bfe_u32 v6, v1, 20, 11
	v_and_or_b32 v2, v3, s8, v2
	v_sub_u32_e32 v7, 0x3f1, v6
	v_or_b32_e32 v3, 0x1000, v2
	v_med3_i32 v7, v7, 0, 13
	v_lshrrev_b32_e32 v8, v7, v3
	v_lshlrev_b32_e32 v7, v7, v8
	v_cmp_ne_u32_e32 vcc, v7, v3
	v_cndmask_b32_e64 v3, 0, 1, vcc
	v_add_u32_e32 v6, 0xfffffc10, v6
	v_or_b32_e32 v3, v8, v3
	v_lshl_or_b32 v7, v6, 12, v2
	v_cmp_gt_i32_e32 vcc, 1, v6
	v_cndmask_b32_e32 v3, v7, v3, vcc
	v_and_b32_e32 v7, 7, v3
	v_cmp_lt_i32_e32 vcc, 5, v7
	v_cndmask_b32_e64 v8, 0, 1, vcc
	v_cmp_eq_u32_e32 vcc, 3, v7
	v_cndmask_b32_e64 v7, 0, 1, vcc
	v_or_b32_e32 v7, v7, v8
	v_lshrrev_b32_e32 v3, 2, v3
	v_add_u32_e32 v3, v3, v7
	v_mov_b32_e32 v7, 0x7c00
	v_cmp_gt_i32_e32 vcc, 31, v6
	v_cndmask_b32_e32 v3, v7, v3, vcc
	v_mov_b32_e32 v8, 0x7e00
	v_cmp_ne_u32_e32 vcc, 0, v2
	s_movk_i32 s8, 0x40f
	v_cndmask_b32_e32 v2, v7, v8, vcc
	v_cmp_eq_u32_e32 vcc, s8, v6
	v_cndmask_b32_e32 v2, v3, v2, vcc
	v_lshrrev_b32_e32 v3, 16, v1
	s_mov_b32 s8, 0x8000
	v_and_or_b32 v2, v3, s8, v2
	global_store_short v[4:5], v2, off
.LBB9_494:
	s_mov_b64 s[8:9], 0
.LBB9_495:
	s_andn2_b64 vcc, exec, s[8:9]
	s_cbranch_vccnz .LBB9_511
; %bb.496:
	s_sext_i32_i16 s10, s14
	s_cmp_lt_i32 s10, 2
	s_mov_b64 s[8:9], -1
	s_cbranch_scc1 .LBB9_506
; %bb.497:
	s_cmp_lt_i32 s10, 3
	s_cbranch_scc1 .LBB9_503
; %bb.498:
	s_cmp_gt_i32 s10, 3
	s_cbranch_scc0 .LBB9_500
; %bb.499:
	v_trunc_f64_e32 v[2:3], v[0:1]
	s_movk_i32 s8, 0xffe0
	v_ldexp_f64 v[6:7], v[2:3], s8
	s_mov_b32 s8, 0
	s_mov_b32 s9, 0xc1f00000
	v_floor_f64_e32 v[6:7], v[6:7]
	v_fma_f64 v[2:3], v[6:7], s[8:9], v[2:3]
	v_cvt_i32_f64_e32 v7, v[6:7]
	s_mov_b64 s[8:9], 0
	v_cvt_u32_f64_e32 v6, v[2:3]
	global_store_dwordx2 v[4:5], v[6:7], off
.LBB9_500:
	s_andn2_b64 vcc, exec, s[8:9]
	s_cbranch_vccnz .LBB9_502
; %bb.501:
	v_cvt_i32_f64_e32 v2, v[0:1]
	global_store_dword v[4:5], v2, off
.LBB9_502:
	s_mov_b64 s[8:9], 0
.LBB9_503:
	s_andn2_b64 vcc, exec, s[8:9]
	s_cbranch_vccnz .LBB9_505
; %bb.504:
	v_cvt_i32_f64_e32 v2, v[0:1]
	global_store_short v[4:5], v2, off
.LBB9_505:
	s_mov_b64 s[8:9], 0
.LBB9_506:
	s_andn2_b64 vcc, exec, s[8:9]
	s_cbranch_vccnz .LBB9_511
; %bb.507:
	s_sext_i32_i16 s8, s14
	s_cmp_gt_i32 s8, 0
	s_mov_b64 s[8:9], -1
	s_cbranch_scc0 .LBB9_509
; %bb.508:
	v_cvt_i32_f64_e32 v2, v[0:1]
	s_mov_b64 s[8:9], 0
	global_store_byte v[4:5], v2, off
.LBB9_509:
	s_andn2_b64 vcc, exec, s[8:9]
	s_cbranch_vccnz .LBB9_511
; %bb.510:
	v_trunc_f64_e32 v[0:1], v[0:1]
	s_movk_i32 s8, 0xffe0
	v_ldexp_f64 v[2:3], v[0:1], s8
	s_mov_b32 s8, 0
	s_mov_b32 s9, 0xc1f00000
	v_floor_f64_e32 v[2:3], v[2:3]
	v_fma_f64 v[0:1], v[2:3], s[8:9], v[0:1]
	v_cvt_u32_f64_e32 v0, v[0:1]
	global_store_byte v[4:5], v0, off
.LBB9_511:
	s_or_b64 exec, exec, s[6:7]
	s_and_b64 s[50:51], s[4:5], exec
                                        ; implicit-def: $vgpr40
                                        ; implicit-def: $vgpr41
                                        ; implicit-def: $vgpr42
.LBB9_512:
	s_or_saveexec_b64 s[48:49], s[48:49]
	s_mov_b64 s[4:5], 0
                                        ; implicit-def: $sgpr16
                                        ; implicit-def: $vgpr4_vgpr5
                                        ; implicit-def: $vgpr0_vgpr1
	s_xor_b64 exec, exec, s[48:49]
	s_cbranch_execz .LBB9_945
; %bb.513:
	s_getpc_b64 s[46:47]
	s_add_u32 s46, s46, _ZN2at6native6invokeIZZZNS0_12_GLOBAL__N_121bessel_j0_kernel_cudaERNS_18TensorIteratorBaseEENKUlvE_clEvENKUlvE_clEvEUldE_i15function_traitsIS7_EEENT1_11result_typeERKT_PrKPcPKT0_PKN3c1010ScalarTypeEi@rel32@lo+4
	s_addc_u32 s47, s47, _ZN2at6native6invokeIZZZNS0_12_GLOBAL__N_121bessel_j0_kernel_cudaERNS_18TensorIteratorBaseEENKUlvE_clEvENKUlvE_clEvEUldE_i15function_traitsIS7_EEENT1_11result_typeERKT_PrKPcPKT0_PKN3c1010ScalarTypeEi@rel32@hi+12
	v_mov_b32_e32 v0, s38
	v_mov_b32_e32 v1, s39
	;; [unrolled: 1-line block ×5, first 2 shown]
	v_add_u32_e32 v43, 0x80, v40
	v_add_u32_e32 v44, 0x100, v40
	s_swappc_b64 s[30:31], s[46:47]
	buffer_store_dword v0, off, s[0:3], 0   ; 4-byte Folded Spill
	s_nop 0
	buffer_store_dword v1, off, s[0:3], 0 offset:4 ; 4-byte Folded Spill
	buffer_store_dword v2, off, s[0:3], 0 offset:8 ; 4-byte Folded Spill
	;; [unrolled: 1-line block ×3, first 2 shown]
	v_mov_b32_e32 v0, s38
	v_mov_b32_e32 v1, s39
	;; [unrolled: 1-line block ×5, first 2 shown]
	s_swappc_b64 s[30:31], s[46:47]
	buffer_store_dword v0, off, s[0:3], 0 offset:16 ; 4-byte Folded Spill
	s_nop 0
	buffer_store_dword v1, off, s[0:3], 0 offset:20 ; 4-byte Folded Spill
	buffer_store_dword v2, off, s[0:3], 0 offset:24 ; 4-byte Folded Spill
	;; [unrolled: 1-line block ×3, first 2 shown]
	v_mov_b32_e32 v0, s38
	v_mov_b32_e32 v1, s39
	;; [unrolled: 1-line block ×5, first 2 shown]
	s_swappc_b64 s[30:31], s[46:47]
	buffer_store_dword v0, off, s[0:3], 0 offset:32 ; 4-byte Folded Spill
	s_nop 0
	buffer_store_dword v1, off, s[0:3], 0 offset:36 ; 4-byte Folded Spill
	buffer_store_dword v2, off, s[0:3], 0 offset:40 ; 4-byte Folded Spill
	;; [unrolled: 1-line block ×3, first 2 shown]
	v_mov_b32_e32 v0, s38
	v_mov_b32_e32 v1, s39
	;; [unrolled: 1-line block ×5, first 2 shown]
	s_swappc_b64 s[30:31], s[46:47]
	buffer_load_dword v10, off, s[0:3], 0   ; 4-byte Folded Reload
	buffer_load_dword v11, off, s[0:3], 0 offset:4 ; 4-byte Folded Reload
	buffer_load_dword v12, off, s[0:3], 0 offset:8 ; 4-byte Folded Reload
	;; [unrolled: 1-line block ×3, first 2 shown]
	v_mul_lo_u32 v4, s34, v40
	v_mov_b32_e32 v3, s37
	s_and_b32 s16, s33, 0xff
	s_cmp_lt_i32 s16, 11
	v_ashrrev_i32_e32 v5, 31, v4
	v_add_co_u32_e32 v2, vcc, s36, v4
	v_addc_co_u32_e32 v3, vcc, v3, v5, vcc
	s_cbranch_scc1 .LBB9_592
; %bb.514:
	s_and_b32 s14, 0xffff, s16
	s_mov_b64 s[6:7], -1
	s_mov_b64 s[8:9], 0
	s_cmp_gt_i32 s14, 25
	s_mov_b64 s[10:11], 0
	s_mov_b64 s[4:5], 0
	s_cbranch_scc0 .LBB9_547
; %bb.515:
	s_cmp_gt_i32 s14, 28
	s_cbranch_scc0 .LBB9_530
; %bb.516:
	s_cmp_gt_i32 s14, 43
	;; [unrolled: 3-line block ×3, first 2 shown]
	s_cbranch_scc0 .LBB9_520
; %bb.518:
	s_mov_b64 s[4:5], -1
	s_mov_b64 s[6:7], 0
	s_cmp_eq_u32 s14, 46
	s_cbranch_scc0 .LBB9_520
; %bb.519:
	s_waitcnt vmcnt(2)
	v_cvt_f32_f64_e32 v5, v[10:11]
	s_movk_i32 s4, 0x7fff
	v_mov_b32_e32 v6, 0x7fc0
	s_mov_b64 s[10:11], -1
	v_bfe_u32 v7, v5, 16, 1
	v_cmp_o_f32_e32 vcc, v5, v5
	v_add3_u32 v5, v5, v7, s4
	v_cndmask_b32_sdwa v5, v6, v5, vcc dst_sel:DWORD dst_unused:UNUSED_PAD src0_sel:DWORD src1_sel:WORD_1
	global_store_dword v[2:3], v5, off
	s_mov_b64 s[4:5], 0
.LBB9_520:
	s_and_b64 vcc, exec, s[6:7]
	s_cbranch_vccz .LBB9_525
; %bb.521:
	s_cmp_eq_u32 s14, 44
	s_mov_b64 s[4:5], -1
	s_cbranch_scc0 .LBB9_525
; %bb.522:
	s_waitcnt vmcnt(2)
	v_cvt_f32_f64_e32 v5, v[10:11]
	s_movk_i32 s4, 0xff
	v_mov_b32_e32 v7, 0xff
	v_bfe_u32 v6, v5, 23, 8
	v_cmp_ne_u32_e32 vcc, s4, v6
	s_and_saveexec_b64 s[6:7], vcc
; %bb.523:
	s_mov_b32 s4, 0x3fffff
	v_lshrrev_b32_e32 v7, 23, v5
	v_and_b32_e32 v8, 0x400000, v5
	v_and_or_b32 v5, v5, s4, v6
	v_cmp_ne_u32_e32 vcc, 0, v8
	v_cmp_ne_u32_e64 s[4:5], 0, v5
	s_and_b64 s[4:5], vcc, s[4:5]
	v_cndmask_b32_e64 v5, 0, 1, s[4:5]
	v_add_u32_e32 v7, v7, v5
; %bb.524:
	s_or_b64 exec, exec, s[6:7]
	s_mov_b64 s[4:5], 0
	s_mov_b64 s[10:11], -1
	global_store_byte v[2:3], v7, off
.LBB9_525:
	s_mov_b64 s[6:7], 0
.LBB9_526:
	s_and_b64 vcc, exec, s[6:7]
	s_cbranch_vccz .LBB9_529
; %bb.527:
	s_cmp_eq_u32 s14, 29
	s_mov_b64 s[4:5], -1
	s_cbranch_scc0 .LBB9_529
; %bb.528:
	s_waitcnt vmcnt(2)
	v_trunc_f64_e32 v[5:6], v[10:11]
	s_movk_i32 s4, 0xffe0
	s_mov_b64 s[10:11], -1
	v_ldexp_f64 v[7:8], v[5:6], s4
	s_mov_b32 s4, 0
	s_mov_b32 s5, 0xc1f00000
	v_floor_f64_e32 v[7:8], v[7:8]
	v_fma_f64 v[5:6], v[7:8], s[4:5], v[5:6]
	v_cvt_u32_f64_e32 v7, v[7:8]
	s_mov_b64 s[4:5], 0
	v_cvt_u32_f64_e32 v6, v[5:6]
	global_store_dwordx2 v[2:3], v[6:7], off
.LBB9_529:
	s_mov_b64 s[6:7], 0
.LBB9_530:
	s_and_b64 vcc, exec, s[6:7]
	s_cbranch_vccz .LBB9_546
; %bb.531:
	s_cmp_lt_i32 s14, 27
	s_mov_b64 s[6:7], -1
	s_cbranch_scc1 .LBB9_537
; %bb.532:
	s_waitcnt vmcnt(2)
	v_cvt_u32_f64_e32 v5, v[10:11]
	s_cmp_gt_i32 s14, 27
	s_cbranch_scc0 .LBB9_534
; %bb.533:
	s_mov_b64 s[6:7], 0
	global_store_dword v[2:3], v5, off
.LBB9_534:
	s_andn2_b64 vcc, exec, s[6:7]
	s_cbranch_vccnz .LBB9_536
; %bb.535:
	global_store_short v[2:3], v5, off
.LBB9_536:
	s_mov_b64 s[6:7], 0
.LBB9_537:
	s_andn2_b64 vcc, exec, s[6:7]
	s_cbranch_vccnz .LBB9_545
; %bb.538:
	s_waitcnt vmcnt(2)
	v_cvt_f32_f64_e32 v5, v[10:11]
	s_mov_b32 s6, 0x43800000
	v_mov_b32_e32 v7, 0x80
	v_and_b32_e32 v6, 0x7fffffff, v5
	v_cmp_gt_u32_e32 vcc, s6, v6
	s_and_saveexec_b64 s[6:7], vcc
	s_cbranch_execz .LBB9_544
; %bb.539:
	s_mov_b32 s10, 0x3bffffff
	v_cmp_lt_u32_e32 vcc, s10, v6
	s_mov_b64 s[10:11], 0
                                        ; implicit-def: $vgpr6
	s_and_saveexec_b64 s[12:13], vcc
	s_xor_b64 s[12:13], exec, s[12:13]
	s_cbranch_execz .LBB9_989
; %bb.540:
	v_bfe_u32 v6, v5, 20, 1
	s_mov_b32 s15, 0x487ffff
	v_add3_u32 v6, v5, v6, s15
	s_mov_b64 s[10:11], exec
	v_lshrrev_b32_e32 v6, 20, v6
	s_andn2_saveexec_b64 s[12:13], s[12:13]
	s_cbranch_execnz .LBB9_990
.LBB9_541:
	s_or_b64 exec, exec, s[12:13]
	v_mov_b32_e32 v7, 0
	s_and_saveexec_b64 s[12:13], s[10:11]
.LBB9_542:
	v_lshrrev_b32_e32 v5, 24, v5
	s_movk_i32 s10, 0x80
	v_and_or_b32 v7, v5, s10, v6
.LBB9_543:
	s_or_b64 exec, exec, s[12:13]
.LBB9_544:
	s_or_b64 exec, exec, s[6:7]
	global_store_byte v[2:3], v7, off
.LBB9_545:
	s_mov_b64 s[10:11], -1
.LBB9_546:
	s_mov_b64 s[6:7], 0
.LBB9_547:
	s_and_b64 vcc, exec, s[6:7]
	s_cbranch_vccz .LBB9_587
; %bb.548:
	s_cmp_gt_i32 s14, 22
	s_mov_b64 s[6:7], -1
	s_cbranch_scc0 .LBB9_580
; %bb.549:
	s_cmp_lt_i32 s14, 24
	s_cbranch_scc1 .LBB9_569
; %bb.550:
	s_cmp_gt_i32 s14, 24
	s_cbranch_scc0 .LBB9_558
; %bb.551:
	s_waitcnt vmcnt(2)
	v_cvt_f32_f64_e32 v5, v[10:11]
	s_mov_b32 s6, 0x47800000
	v_mov_b32_e32 v7, 0x80
	v_and_b32_e32 v6, 0x7fffffff, v5
	v_cmp_gt_u32_e32 vcc, s6, v6
	s_and_saveexec_b64 s[6:7], vcc
	s_cbranch_execz .LBB9_557
; %bb.552:
	s_mov_b32 s8, 0x37ffffff
	v_cmp_lt_u32_e32 vcc, s8, v6
	s_mov_b64 s[8:9], 0
                                        ; implicit-def: $vgpr6
	s_and_saveexec_b64 s[10:11], vcc
	s_xor_b64 s[10:11], exec, s[10:11]
	s_cbranch_execz .LBB9_992
; %bb.553:
	v_bfe_u32 v6, v5, 21, 1
	s_mov_b32 s12, 0x88fffff
	v_add3_u32 v6, v5, v6, s12
	s_mov_b64 s[8:9], exec
	v_lshrrev_b32_e32 v6, 21, v6
	s_andn2_saveexec_b64 s[10:11], s[10:11]
	s_cbranch_execnz .LBB9_993
.LBB9_554:
	s_or_b64 exec, exec, s[10:11]
	v_mov_b32_e32 v7, 0
	s_and_saveexec_b64 s[10:11], s[8:9]
.LBB9_555:
	v_lshrrev_b32_e32 v5, 24, v5
	s_movk_i32 s8, 0x80
	v_and_or_b32 v7, v5, s8, v6
.LBB9_556:
	s_or_b64 exec, exec, s[10:11]
.LBB9_557:
	s_or_b64 exec, exec, s[6:7]
	s_mov_b64 s[6:7], 0
	global_store_byte v[2:3], v7, off
.LBB9_558:
	s_and_b64 vcc, exec, s[6:7]
	s_cbranch_vccz .LBB9_568
; %bb.559:
	s_waitcnt vmcnt(2)
	v_cvt_f32_f64_e32 v5, v[10:11]
	s_mov_b32 s6, 0x43f00000
                                        ; implicit-def: $vgpr6
	v_and_b32_e32 v7, 0x7fffffff, v5
	v_cmp_gt_u32_e32 vcc, s6, v7
	s_and_saveexec_b64 s[6:7], vcc
	s_xor_b64 s[6:7], exec, s[6:7]
	s_cbranch_execz .LBB9_565
; %bb.560:
	s_mov_b32 s8, 0x3c7fffff
	v_cmp_lt_u32_e32 vcc, s8, v7
                                        ; implicit-def: $vgpr6
	s_and_saveexec_b64 s[8:9], vcc
	s_xor_b64 s[8:9], exec, s[8:9]
; %bb.561:
	v_bfe_u32 v6, v5, 20, 1
	s_mov_b32 s10, 0x407ffff
	v_add3_u32 v6, v5, v6, s10
	v_lshrrev_b32_e32 v7, 20, v6
	v_and_b32_e32 v6, 0xff00000, v6
	s_mov_b32 s10, 0x7f00000
	v_mov_b32_e32 v8, 0x7e
	v_cmp_ne_u32_e32 vcc, s10, v6
	v_cndmask_b32_e32 v6, v8, v7, vcc
; %bb.562:
	s_andn2_saveexec_b64 s[8:9], s[8:9]
; %bb.563:
	s_mov_b32 s10, 0x46800000
	v_add_f32_e64 v6, |v5|, s10
; %bb.564:
	s_or_b64 exec, exec, s[8:9]
                                        ; implicit-def: $vgpr7
.LBB9_565:
	s_andn2_saveexec_b64 s[6:7], s[6:7]
; %bb.566:
	s_mov_b32 s8, 0x7f800000
	v_mov_b32_e32 v6, 0x7e
	v_mov_b32_e32 v8, 0x7f
	v_cmp_lt_u32_e32 vcc, s8, v7
	v_cndmask_b32_e32 v6, v6, v8, vcc
; %bb.567:
	s_or_b64 exec, exec, s[6:7]
	v_lshrrev_b32_e32 v5, 24, v5
	s_movk_i32 s6, 0x80
	v_and_or_b32 v5, v5, s6, v6
	global_store_byte v[2:3], v5, off
.LBB9_568:
	s_mov_b64 s[6:7], 0
.LBB9_569:
	s_andn2_b64 vcc, exec, s[6:7]
	s_cbranch_vccnz .LBB9_579
; %bb.570:
	s_waitcnt vmcnt(2)
	v_cvt_f32_f64_e32 v5, v[10:11]
	s_mov_b32 s6, 0x47800000
                                        ; implicit-def: $vgpr6
	v_and_b32_e32 v7, 0x7fffffff, v5
	v_cmp_gt_u32_e32 vcc, s6, v7
	s_and_saveexec_b64 s[6:7], vcc
	s_xor_b64 s[6:7], exec, s[6:7]
	s_cbranch_execz .LBB9_576
; %bb.571:
	s_mov_b32 s8, 0x387fffff
	v_cmp_lt_u32_e32 vcc, s8, v7
                                        ; implicit-def: $vgpr6
	s_and_saveexec_b64 s[8:9], vcc
	s_xor_b64 s[8:9], exec, s[8:9]
; %bb.572:
	v_bfe_u32 v6, v5, 21, 1
	s_mov_b32 s10, 0x80fffff
	v_add3_u32 v6, v5, v6, s10
	v_lshrrev_b32_e32 v6, 21, v6
; %bb.573:
	s_andn2_saveexec_b64 s[8:9], s[8:9]
; %bb.574:
	s_mov_b32 s10, 0x43000000
	v_add_f32_e64 v6, |v5|, s10
; %bb.575:
	s_or_b64 exec, exec, s[8:9]
                                        ; implicit-def: $vgpr7
.LBB9_576:
	s_andn2_saveexec_b64 s[6:7], s[6:7]
; %bb.577:
	s_mov_b32 s8, 0x7f800000
	v_mov_b32_e32 v6, 0x7c
	v_mov_b32_e32 v8, 0x7f
	v_cmp_lt_u32_e32 vcc, s8, v7
	v_cndmask_b32_e32 v6, v6, v8, vcc
; %bb.578:
	s_or_b64 exec, exec, s[6:7]
	v_lshrrev_b32_e32 v5, 24, v5
	s_movk_i32 s6, 0x80
	v_and_or_b32 v5, v5, s6, v6
	global_store_byte v[2:3], v5, off
.LBB9_579:
	s_mov_b64 s[6:7], 0
	s_mov_b64 s[10:11], -1
.LBB9_580:
	s_andn2_b64 vcc, exec, s[6:7]
	s_mov_b64 s[8:9], 0
	s_cbranch_vccnz .LBB9_587
; %bb.581:
	s_cmp_gt_i32 s14, 14
	s_mov_b64 s[6:7], -1
	s_cbranch_scc0 .LBB9_585
; %bb.582:
	s_cmp_eq_u32 s14, 15
	s_mov_b64 s[4:5], -1
	s_cbranch_scc0 .LBB9_584
; %bb.583:
	s_waitcnt vmcnt(2)
	v_cvt_f32_f64_e32 v5, v[10:11]
	s_movk_i32 s4, 0x7fff
	v_mov_b32_e32 v6, 0x7fc0
	s_mov_b64 s[10:11], -1
	v_bfe_u32 v7, v5, 16, 1
	v_cmp_o_f32_e32 vcc, v5, v5
	v_add3_u32 v5, v5, v7, s4
	v_cndmask_b32_sdwa v5, v6, v5, vcc dst_sel:DWORD dst_unused:UNUSED_PAD src0_sel:DWORD src1_sel:WORD_1
	global_store_short v[2:3], v5, off
	s_mov_b64 s[4:5], 0
.LBB9_584:
	s_mov_b64 s[6:7], 0
.LBB9_585:
	s_and_b64 vcc, exec, s[6:7]
	s_cbranch_vccz .LBB9_587
; %bb.586:
	s_cmp_lg_u32 s14, 11
	s_mov_b64 s[8:9], -1
	s_cselect_b64 s[4:5], -1, 0
.LBB9_587:
	s_and_b64 vcc, exec, s[4:5]
	s_mov_b64 s[6:7], s[50:51]
	s_cbranch_vccnz .LBB9_991
; %bb.588:
	s_andn2_b64 vcc, exec, s[8:9]
	s_cbranch_vccnz .LBB9_590
.LBB9_589:
	s_waitcnt vmcnt(2)
	v_cmp_neq_f64_e32 vcc, 0, v[10:11]
	s_mov_b64 s[10:11], -1
	v_cndmask_b32_e64 v5, 0, 1, vcc
	global_store_byte v[2:3], v5, off
.LBB9_590:
.LBB9_591:
	s_andn2_b64 vcc, exec, s[10:11]
	s_cbranch_vccz .LBB9_631
	s_branch .LBB9_943
.LBB9_592:
	s_mov_b64 s[10:11], 0
	s_mov_b64 s[6:7], s[50:51]
	s_cbranch_execz .LBB9_591
; %bb.593:
	s_and_b32 s8, 0xffff, s16
	s_cmp_lt_i32 s8, 5
	s_mov_b64 s[4:5], -1
	s_cbranch_scc1 .LBB9_614
; %bb.594:
	s_cmp_lt_i32 s8, 8
	s_cbranch_scc1 .LBB9_604
; %bb.595:
	s_cmp_lt_i32 s8, 9
	s_cbranch_scc1 .LBB9_601
; %bb.596:
	s_cmp_gt_i32 s8, 9
	s_cbranch_scc0 .LBB9_598
; %bb.597:
	s_waitcnt vmcnt(1)
	v_mov_b32_e32 v12, 0
	s_waitcnt vmcnt(0)
	v_mov_b32_e32 v13, v12
	global_store_dwordx4 v[2:3], v[10:13], off
	s_mov_b64 s[4:5], 0
.LBB9_598:
	s_andn2_b64 vcc, exec, s[4:5]
	s_cbranch_vccnz .LBB9_600
; %bb.599:
	s_waitcnt vmcnt(2)
	v_cvt_f32_f64_e32 v5, v[10:11]
	v_mov_b32_e32 v6, 0
	global_store_dwordx2 v[2:3], v[5:6], off
.LBB9_600:
	s_mov_b64 s[4:5], 0
.LBB9_601:
	s_andn2_b64 vcc, exec, s[4:5]
	s_cbranch_vccnz .LBB9_603
; %bb.602:
	s_movk_i32 s4, 0x1ff
	s_waitcnt vmcnt(2)
	v_and_or_b32 v5, v11, s4, v10
	v_cmp_ne_u32_e32 vcc, 0, v5
	v_cndmask_b32_e64 v5, 0, 1, vcc
	v_lshrrev_b32_e32 v6, 8, v11
	s_movk_i32 s4, 0xffe
	v_bfe_u32 v7, v11, 20, 11
	v_and_or_b32 v5, v6, s4, v5
	v_sub_u32_e32 v8, 0x3f1, v7
	v_or_b32_e32 v6, 0x1000, v5
	v_med3_i32 v8, v8, 0, 13
	v_lshrrev_b32_e32 v9, v8, v6
	v_lshlrev_b32_e32 v8, v8, v9
	v_cmp_ne_u32_e32 vcc, v8, v6
	v_cndmask_b32_e64 v6, 0, 1, vcc
	v_add_u32_e32 v7, 0xfffffc10, v7
	v_or_b32_e32 v6, v9, v6
	v_lshl_or_b32 v8, v7, 12, v5
	v_cmp_gt_i32_e32 vcc, 1, v7
	v_cndmask_b32_e32 v6, v8, v6, vcc
	v_and_b32_e32 v8, 7, v6
	v_cmp_lt_i32_e32 vcc, 5, v8
	v_cndmask_b32_e64 v9, 0, 1, vcc
	v_cmp_eq_u32_e32 vcc, 3, v8
	v_cndmask_b32_e64 v8, 0, 1, vcc
	v_or_b32_e32 v8, v8, v9
	v_lshrrev_b32_e32 v6, 2, v6
	v_add_u32_e32 v6, v6, v8
	v_mov_b32_e32 v8, 0x7c00
	v_cmp_gt_i32_e32 vcc, 31, v7
	v_cndmask_b32_e32 v6, v8, v6, vcc
	v_mov_b32_e32 v9, 0x7e00
	v_cmp_ne_u32_e32 vcc, 0, v5
	s_movk_i32 s4, 0x40f
	v_cndmask_b32_e32 v5, v8, v9, vcc
	v_cmp_eq_u32_e32 vcc, s4, v7
	v_cndmask_b32_e32 v5, v6, v5, vcc
	v_lshrrev_b32_e32 v6, 16, v11
	s_mov_b32 s4, 0x8000
	v_and_or_b32 v5, v6, s4, v5
	v_and_b32_e32 v5, 0xffff, v5
	global_store_dword v[2:3], v5, off
.LBB9_603:
	s_mov_b64 s[4:5], 0
.LBB9_604:
	s_andn2_b64 vcc, exec, s[4:5]
	s_cbranch_vccnz .LBB9_613
; %bb.605:
	s_cmp_lt_i32 s8, 6
	s_mov_b64 s[4:5], -1
	s_cbranch_scc1 .LBB9_611
; %bb.606:
	s_cmp_gt_i32 s8, 6
	s_cbranch_scc0 .LBB9_608
; %bb.607:
	s_waitcnt vmcnt(2)
	global_store_dwordx2 v[2:3], v[10:11], off
	s_mov_b64 s[4:5], 0
.LBB9_608:
	s_andn2_b64 vcc, exec, s[4:5]
	s_cbranch_vccnz .LBB9_610
; %bb.609:
	s_waitcnt vmcnt(2)
	v_cvt_f32_f64_e32 v5, v[10:11]
	global_store_dword v[2:3], v5, off
.LBB9_610:
	s_mov_b64 s[4:5], 0
.LBB9_611:
	s_andn2_b64 vcc, exec, s[4:5]
	s_cbranch_vccnz .LBB9_613
; %bb.612:
	s_movk_i32 s4, 0x1ff
	s_waitcnt vmcnt(2)
	v_and_or_b32 v5, v11, s4, v10
	v_cmp_ne_u32_e32 vcc, 0, v5
	v_cndmask_b32_e64 v5, 0, 1, vcc
	v_lshrrev_b32_e32 v6, 8, v11
	s_movk_i32 s4, 0xffe
	v_bfe_u32 v7, v11, 20, 11
	v_and_or_b32 v5, v6, s4, v5
	v_sub_u32_e32 v8, 0x3f1, v7
	v_or_b32_e32 v6, 0x1000, v5
	v_med3_i32 v8, v8, 0, 13
	v_lshrrev_b32_e32 v9, v8, v6
	v_lshlrev_b32_e32 v8, v8, v9
	v_cmp_ne_u32_e32 vcc, v8, v6
	v_cndmask_b32_e64 v6, 0, 1, vcc
	v_add_u32_e32 v7, 0xfffffc10, v7
	v_or_b32_e32 v6, v9, v6
	v_lshl_or_b32 v8, v7, 12, v5
	v_cmp_gt_i32_e32 vcc, 1, v7
	v_cndmask_b32_e32 v6, v8, v6, vcc
	v_and_b32_e32 v8, 7, v6
	v_cmp_lt_i32_e32 vcc, 5, v8
	v_cndmask_b32_e64 v9, 0, 1, vcc
	v_cmp_eq_u32_e32 vcc, 3, v8
	v_cndmask_b32_e64 v8, 0, 1, vcc
	v_or_b32_e32 v8, v8, v9
	v_lshrrev_b32_e32 v6, 2, v6
	v_add_u32_e32 v6, v6, v8
	v_mov_b32_e32 v8, 0x7c00
	v_cmp_gt_i32_e32 vcc, 31, v7
	v_cndmask_b32_e32 v6, v8, v6, vcc
	v_mov_b32_e32 v9, 0x7e00
	v_cmp_ne_u32_e32 vcc, 0, v5
	s_movk_i32 s4, 0x40f
	v_cndmask_b32_e32 v5, v8, v9, vcc
	v_cmp_eq_u32_e32 vcc, s4, v7
	v_cndmask_b32_e32 v5, v6, v5, vcc
	v_lshrrev_b32_e32 v6, 16, v11
	s_mov_b32 s4, 0x8000
	v_and_or_b32 v5, v6, s4, v5
	global_store_short v[2:3], v5, off
.LBB9_613:
	s_mov_b64 s[4:5], 0
.LBB9_614:
	s_andn2_b64 vcc, exec, s[4:5]
	s_cbranch_vccnz .LBB9_630
; %bb.615:
	s_cmp_lt_i32 s8, 2
	s_mov_b64 s[4:5], -1
	s_cbranch_scc1 .LBB9_625
; %bb.616:
	s_cmp_lt_i32 s8, 3
	s_cbranch_scc1 .LBB9_622
; %bb.617:
	s_cmp_gt_i32 s8, 3
	s_cbranch_scc0 .LBB9_619
; %bb.618:
	s_waitcnt vmcnt(2)
	v_trunc_f64_e32 v[5:6], v[10:11]
	s_movk_i32 s4, 0xffe0
	v_ldexp_f64 v[7:8], v[5:6], s4
	s_mov_b32 s4, 0
	s_mov_b32 s5, 0xc1f00000
	v_floor_f64_e32 v[7:8], v[7:8]
	v_fma_f64 v[5:6], v[7:8], s[4:5], v[5:6]
	v_cvt_i32_f64_e32 v7, v[7:8]
	s_mov_b64 s[4:5], 0
	v_cvt_u32_f64_e32 v6, v[5:6]
	global_store_dwordx2 v[2:3], v[6:7], off
.LBB9_619:
	s_andn2_b64 vcc, exec, s[4:5]
	s_cbranch_vccnz .LBB9_621
; %bb.620:
	s_waitcnt vmcnt(2)
	v_cvt_i32_f64_e32 v5, v[10:11]
	global_store_dword v[2:3], v5, off
.LBB9_621:
	s_mov_b64 s[4:5], 0
.LBB9_622:
	s_andn2_b64 vcc, exec, s[4:5]
	s_cbranch_vccnz .LBB9_624
; %bb.623:
	s_waitcnt vmcnt(2)
	v_cvt_i32_f64_e32 v5, v[10:11]
	global_store_short v[2:3], v5, off
.LBB9_624:
	s_mov_b64 s[4:5], 0
.LBB9_625:
	s_andn2_b64 vcc, exec, s[4:5]
	s_cbranch_vccnz .LBB9_630
; %bb.626:
	s_cmp_gt_i32 s8, 0
	s_mov_b64 s[4:5], -1
	s_cbranch_scc0 .LBB9_628
; %bb.627:
	s_waitcnt vmcnt(2)
	v_cvt_i32_f64_e32 v5, v[10:11]
	s_mov_b64 s[4:5], 0
	global_store_byte v[2:3], v5, off
.LBB9_628:
	s_andn2_b64 vcc, exec, s[4:5]
	s_cbranch_vccnz .LBB9_630
; %bb.629:
	s_waitcnt vmcnt(2)
	v_trunc_f64_e32 v[5:6], v[10:11]
	s_movk_i32 s4, 0xffe0
	v_ldexp_f64 v[7:8], v[5:6], s4
	s_mov_b32 s4, 0
	s_mov_b32 s5, 0xc1f00000
	v_floor_f64_e32 v[7:8], v[7:8]
	v_fma_f64 v[5:6], v[7:8], s[4:5], v[5:6]
	v_cvt_u32_f64_e32 v5, v[5:6]
	global_store_byte v[2:3], v5, off
.LBB9_630:
.LBB9_631:
	s_lshl_b32 s17, s34, 7
	v_add_u32_e32 v4, s17, v4
	v_ashrrev_i32_e32 v3, 31, v4
	v_mov_b32_e32 v5, s37
	v_add_co_u32_e32 v2, vcc, s36, v4
	s_cmp_lt_i32 s16, 11
	v_addc_co_u32_e32 v3, vcc, v5, v3, vcc
	s_cbranch_scc1 .LBB9_710
; %bb.632:
	s_and_b32 s18, 0xffff, s16
	s_mov_b64 s[12:13], -1
	s_mov_b64 s[8:9], 0
	s_cmp_gt_i32 s18, 25
	s_mov_b64 s[10:11], 0
	s_mov_b64 s[4:5], 0
	s_cbranch_scc0 .LBB9_665
; %bb.633:
	s_cmp_gt_i32 s18, 28
	s_cbranch_scc0 .LBB9_648
; %bb.634:
	s_cmp_gt_i32 s18, 43
	;; [unrolled: 3-line block ×3, first 2 shown]
	s_cbranch_scc0 .LBB9_638
; %bb.636:
	s_mov_b64 s[4:5], -1
	s_mov_b64 s[12:13], 0
	s_cmp_eq_u32 s18, 46
	s_cbranch_scc0 .LBB9_638
; %bb.637:
	buffer_load_dword v5, off, s[0:3], 0 offset:16 ; 4-byte Folded Reload
	buffer_load_dword v6, off, s[0:3], 0 offset:20 ; 4-byte Folded Reload
	buffer_load_dword v7, off, s[0:3], 0 offset:24 ; 4-byte Folded Reload
	buffer_load_dword v8, off, s[0:3], 0 offset:28 ; 4-byte Folded Reload
	s_movk_i32 s4, 0x7fff
	s_mov_b64 s[10:11], -1
	s_waitcnt vmcnt(2)
	v_cvt_f32_f64_e32 v5, v[5:6]
	v_mov_b32_e32 v6, 0x7fc0
	s_waitcnt vmcnt(1)
	v_bfe_u32 v7, v5, 16, 1
	v_cmp_o_f32_e32 vcc, v5, v5
	v_add3_u32 v5, v5, v7, s4
	v_cndmask_b32_sdwa v5, v6, v5, vcc dst_sel:DWORD dst_unused:UNUSED_PAD src0_sel:DWORD src1_sel:WORD_1
	global_store_dword v[2:3], v5, off
	s_mov_b64 s[4:5], 0
.LBB9_638:
	s_and_b64 vcc, exec, s[12:13]
	s_cbranch_vccz .LBB9_643
; %bb.639:
	s_cmp_eq_u32 s18, 44
	s_mov_b64 s[4:5], -1
	s_cbranch_scc0 .LBB9_643
; %bb.640:
	buffer_load_dword v5, off, s[0:3], 0 offset:16 ; 4-byte Folded Reload
	buffer_load_dword v6, off, s[0:3], 0 offset:20 ; 4-byte Folded Reload
	;; [unrolled: 1-line block ×4, first 2 shown]
	s_movk_i32 s4, 0xff
	s_waitcnt vmcnt(1)
	v_mov_b32_e32 v7, 0xff
	v_cvt_f32_f64_e32 v5, v[5:6]
	v_bfe_u32 v6, v5, 23, 8
	v_cmp_ne_u32_e32 vcc, s4, v6
	s_and_saveexec_b64 s[10:11], vcc
	s_cbranch_execz .LBB9_642
; %bb.641:
	s_mov_b32 s4, 0x3fffff
	v_lshrrev_b32_e32 v7, 23, v5
	s_waitcnt vmcnt(0)
	v_and_b32_e32 v8, 0x400000, v5
	v_and_or_b32 v5, v5, s4, v6
	v_cmp_ne_u32_e32 vcc, 0, v8
	v_cmp_ne_u32_e64 s[4:5], 0, v5
	s_and_b64 s[4:5], vcc, s[4:5]
	v_cndmask_b32_e64 v5, 0, 1, s[4:5]
	v_add_u32_e32 v7, v7, v5
.LBB9_642:
	s_or_b64 exec, exec, s[10:11]
	s_mov_b64 s[4:5], 0
	s_mov_b64 s[10:11], -1
	global_store_byte v[2:3], v7, off
.LBB9_643:
	s_mov_b64 s[12:13], 0
.LBB9_644:
	s_and_b64 vcc, exec, s[12:13]
	s_cbranch_vccz .LBB9_647
; %bb.645:
	s_cmp_eq_u32 s18, 29
	s_mov_b64 s[4:5], -1
	s_cbranch_scc0 .LBB9_647
; %bb.646:
	buffer_load_dword v5, off, s[0:3], 0 offset:16 ; 4-byte Folded Reload
	buffer_load_dword v6, off, s[0:3], 0 offset:20 ; 4-byte Folded Reload
	;; [unrolled: 1-line block ×4, first 2 shown]
	s_movk_i32 s4, 0xffe0
	s_mov_b64 s[10:11], -1
	s_waitcnt vmcnt(2)
	v_trunc_f64_e32 v[5:6], v[5:6]
	s_waitcnt vmcnt(0)
	v_ldexp_f64 v[7:8], v[5:6], s4
	s_mov_b32 s4, 0
	s_mov_b32 s5, 0xc1f00000
	v_floor_f64_e32 v[7:8], v[7:8]
	v_fma_f64 v[5:6], v[7:8], s[4:5], v[5:6]
	v_cvt_u32_f64_e32 v7, v[7:8]
	s_mov_b64 s[4:5], 0
	v_cvt_u32_f64_e32 v6, v[5:6]
	global_store_dwordx2 v[2:3], v[6:7], off
.LBB9_647:
	s_mov_b64 s[12:13], 0
.LBB9_648:
	s_and_b64 vcc, exec, s[12:13]
	s_cbranch_vccz .LBB9_664
; %bb.649:
	s_cmp_lt_i32 s18, 27
	s_mov_b64 s[10:11], -1
	s_cbranch_scc1 .LBB9_655
; %bb.650:
	buffer_load_dword v5, off, s[0:3], 0 offset:16 ; 4-byte Folded Reload
	buffer_load_dword v6, off, s[0:3], 0 offset:20 ; 4-byte Folded Reload
	;; [unrolled: 1-line block ×4, first 2 shown]
	s_cmp_gt_i32 s18, 27
	s_waitcnt vmcnt(2)
	v_cvt_u32_f64_e32 v5, v[5:6]
	s_cbranch_scc0 .LBB9_652
; %bb.651:
	s_mov_b64 s[10:11], 0
	global_store_dword v[2:3], v5, off
.LBB9_652:
	s_andn2_b64 vcc, exec, s[10:11]
	s_cbranch_vccnz .LBB9_654
; %bb.653:
	global_store_short v[2:3], v5, off
.LBB9_654:
	s_mov_b64 s[10:11], 0
.LBB9_655:
	s_andn2_b64 vcc, exec, s[10:11]
	s_cbranch_vccnz .LBB9_663
; %bb.656:
	buffer_load_dword v5, off, s[0:3], 0 offset:16 ; 4-byte Folded Reload
	buffer_load_dword v6, off, s[0:3], 0 offset:20 ; 4-byte Folded Reload
	;; [unrolled: 1-line block ×4, first 2 shown]
	s_mov_b32 s10, 0x43800000
	s_waitcnt vmcnt(1)
	v_mov_b32_e32 v7, 0x80
	v_cvt_f32_f64_e32 v5, v[5:6]
	v_and_b32_e32 v6, 0x7fffffff, v5
	v_cmp_gt_u32_e32 vcc, s10, v6
	s_and_saveexec_b64 s[10:11], vcc
	s_cbranch_execz .LBB9_662
; %bb.657:
	s_mov_b32 s12, 0x3bffffff
	v_cmp_lt_u32_e32 vcc, s12, v6
	s_mov_b64 s[12:13], 0
                                        ; implicit-def: $vgpr6
	s_and_saveexec_b64 s[14:15], vcc
	s_xor_b64 s[14:15], exec, s[14:15]
	s_cbranch_execz .LBB9_994
; %bb.658:
	v_bfe_u32 v6, v5, 20, 1
	s_mov_b32 s19, 0x487ffff
	v_add3_u32 v6, v5, v6, s19
	s_mov_b64 s[12:13], exec
	v_lshrrev_b32_e32 v6, 20, v6
	s_andn2_saveexec_b64 s[14:15], s[14:15]
	s_cbranch_execnz .LBB9_995
.LBB9_659:
	s_or_b64 exec, exec, s[14:15]
	v_mov_b32_e32 v7, 0
	s_and_saveexec_b64 s[14:15], s[12:13]
.LBB9_660:
	v_lshrrev_b32_e32 v5, 24, v5
	s_movk_i32 s12, 0x80
	v_and_or_b32 v7, v5, s12, v6
.LBB9_661:
	s_or_b64 exec, exec, s[14:15]
.LBB9_662:
	s_or_b64 exec, exec, s[10:11]
	global_store_byte v[2:3], v7, off
.LBB9_663:
	s_mov_b64 s[10:11], -1
.LBB9_664:
	s_mov_b64 s[12:13], 0
.LBB9_665:
	s_and_b64 vcc, exec, s[12:13]
	s_cbranch_vccz .LBB9_705
; %bb.666:
	s_cmp_gt_i32 s18, 22
	s_mov_b64 s[8:9], -1
	s_cbranch_scc0 .LBB9_698
; %bb.667:
	s_cmp_lt_i32 s18, 24
	s_cbranch_scc1 .LBB9_687
; %bb.668:
	s_cmp_gt_i32 s18, 24
	s_cbranch_scc0 .LBB9_676
; %bb.669:
	buffer_load_dword v5, off, s[0:3], 0 offset:16 ; 4-byte Folded Reload
	buffer_load_dword v6, off, s[0:3], 0 offset:20 ; 4-byte Folded Reload
	;; [unrolled: 1-line block ×4, first 2 shown]
	s_mov_b32 s8, 0x47800000
	s_waitcnt vmcnt(1)
	v_mov_b32_e32 v7, 0x80
	v_cvt_f32_f64_e32 v5, v[5:6]
	v_and_b32_e32 v6, 0x7fffffff, v5
	v_cmp_gt_u32_e32 vcc, s8, v6
	s_and_saveexec_b64 s[8:9], vcc
	s_cbranch_execz .LBB9_675
; %bb.670:
	s_mov_b32 s10, 0x37ffffff
	v_cmp_lt_u32_e32 vcc, s10, v6
	s_mov_b64 s[10:11], 0
                                        ; implicit-def: $vgpr6
	s_and_saveexec_b64 s[12:13], vcc
	s_xor_b64 s[12:13], exec, s[12:13]
	s_cbranch_execz .LBB9_997
; %bb.671:
	v_bfe_u32 v6, v5, 21, 1
	s_mov_b32 s14, 0x88fffff
	v_add3_u32 v6, v5, v6, s14
	s_mov_b64 s[10:11], exec
	v_lshrrev_b32_e32 v6, 21, v6
	s_andn2_saveexec_b64 s[12:13], s[12:13]
	s_cbranch_execnz .LBB9_998
.LBB9_672:
	s_or_b64 exec, exec, s[12:13]
	v_mov_b32_e32 v7, 0
	s_and_saveexec_b64 s[12:13], s[10:11]
.LBB9_673:
	v_lshrrev_b32_e32 v5, 24, v5
	s_movk_i32 s10, 0x80
	v_and_or_b32 v7, v5, s10, v6
.LBB9_674:
	s_or_b64 exec, exec, s[12:13]
.LBB9_675:
	s_or_b64 exec, exec, s[8:9]
	s_mov_b64 s[8:9], 0
	global_store_byte v[2:3], v7, off
.LBB9_676:
	s_and_b64 vcc, exec, s[8:9]
	s_cbranch_vccz .LBB9_686
; %bb.677:
	buffer_load_dword v5, off, s[0:3], 0 offset:16 ; 4-byte Folded Reload
	buffer_load_dword v6, off, s[0:3], 0 offset:20 ; 4-byte Folded Reload
	;; [unrolled: 1-line block ×4, first 2 shown]
	s_mov_b32 s8, 0x43f00000
	s_waitcnt vmcnt(2)
	v_cvt_f32_f64_e32 v5, v[5:6]
                                        ; implicit-def: $vgpr6
	s_waitcnt vmcnt(1)
	v_and_b32_e32 v7, 0x7fffffff, v5
	v_cmp_gt_u32_e32 vcc, s8, v7
	s_and_saveexec_b64 s[8:9], vcc
	s_xor_b64 s[8:9], exec, s[8:9]
	s_cbranch_execz .LBB9_683
; %bb.678:
	s_mov_b32 s10, 0x3c7fffff
	v_cmp_lt_u32_e32 vcc, s10, v7
                                        ; implicit-def: $vgpr6
	s_and_saveexec_b64 s[10:11], vcc
	s_xor_b64 s[10:11], exec, s[10:11]
	s_cbranch_execz .LBB9_680
; %bb.679:
	v_bfe_u32 v6, v5, 20, 1
	s_mov_b32 s12, 0x407ffff
	v_add3_u32 v6, v5, v6, s12
	v_lshrrev_b32_e32 v7, 20, v6
	v_and_b32_e32 v6, 0xff00000, v6
	s_mov_b32 s12, 0x7f00000
	s_waitcnt vmcnt(0)
	v_mov_b32_e32 v8, 0x7e
	v_cmp_ne_u32_e32 vcc, s12, v6
	v_cndmask_b32_e32 v6, v8, v7, vcc
.LBB9_680:
	s_andn2_saveexec_b64 s[10:11], s[10:11]
; %bb.681:
	s_mov_b32 s12, 0x46800000
	v_add_f32_e64 v6, |v5|, s12
; %bb.682:
	s_or_b64 exec, exec, s[10:11]
                                        ; implicit-def: $vgpr7
.LBB9_683:
	s_andn2_saveexec_b64 s[8:9], s[8:9]
	s_cbranch_execz .LBB9_685
; %bb.684:
	s_mov_b32 s10, 0x7f800000
	v_mov_b32_e32 v6, 0x7e
	s_waitcnt vmcnt(0)
	v_mov_b32_e32 v8, 0x7f
	v_cmp_lt_u32_e32 vcc, s10, v7
	v_cndmask_b32_e32 v6, v6, v8, vcc
.LBB9_685:
	s_or_b64 exec, exec, s[8:9]
	v_lshrrev_b32_e32 v5, 24, v5
	s_movk_i32 s8, 0x80
	v_and_or_b32 v5, v5, s8, v6
	global_store_byte v[2:3], v5, off
.LBB9_686:
	s_mov_b64 s[8:9], 0
.LBB9_687:
	s_andn2_b64 vcc, exec, s[8:9]
	s_cbranch_vccnz .LBB9_697
; %bb.688:
	buffer_load_dword v5, off, s[0:3], 0 offset:16 ; 4-byte Folded Reload
	buffer_load_dword v6, off, s[0:3], 0 offset:20 ; 4-byte Folded Reload
	;; [unrolled: 1-line block ×4, first 2 shown]
	s_mov_b32 s8, 0x47800000
	s_waitcnt vmcnt(2)
	v_cvt_f32_f64_e32 v5, v[5:6]
                                        ; implicit-def: $vgpr6
	s_waitcnt vmcnt(1)
	v_and_b32_e32 v7, 0x7fffffff, v5
	v_cmp_gt_u32_e32 vcc, s8, v7
	s_and_saveexec_b64 s[8:9], vcc
	s_xor_b64 s[8:9], exec, s[8:9]
	s_cbranch_execz .LBB9_694
; %bb.689:
	s_mov_b32 s10, 0x387fffff
	v_cmp_lt_u32_e32 vcc, s10, v7
                                        ; implicit-def: $vgpr6
	s_and_saveexec_b64 s[10:11], vcc
	s_xor_b64 s[10:11], exec, s[10:11]
; %bb.690:
	v_bfe_u32 v6, v5, 21, 1
	s_mov_b32 s12, 0x80fffff
	v_add3_u32 v6, v5, v6, s12
	v_lshrrev_b32_e32 v6, 21, v6
; %bb.691:
	s_andn2_saveexec_b64 s[10:11], s[10:11]
; %bb.692:
	s_mov_b32 s12, 0x43000000
	v_add_f32_e64 v6, |v5|, s12
; %bb.693:
	s_or_b64 exec, exec, s[10:11]
                                        ; implicit-def: $vgpr7
.LBB9_694:
	s_andn2_saveexec_b64 s[8:9], s[8:9]
	s_cbranch_execz .LBB9_696
; %bb.695:
	s_mov_b32 s10, 0x7f800000
	v_mov_b32_e32 v6, 0x7c
	s_waitcnt vmcnt(0)
	v_mov_b32_e32 v8, 0x7f
	v_cmp_lt_u32_e32 vcc, s10, v7
	v_cndmask_b32_e32 v6, v6, v8, vcc
.LBB9_696:
	s_or_b64 exec, exec, s[8:9]
	v_lshrrev_b32_e32 v5, 24, v5
	s_movk_i32 s8, 0x80
	v_and_or_b32 v5, v5, s8, v6
	global_store_byte v[2:3], v5, off
.LBB9_697:
	s_mov_b64 s[8:9], 0
	s_mov_b64 s[10:11], -1
.LBB9_698:
	s_andn2_b64 vcc, exec, s[8:9]
	s_mov_b64 s[8:9], 0
	s_cbranch_vccnz .LBB9_705
; %bb.699:
	s_cmp_gt_i32 s18, 14
	s_mov_b64 s[12:13], -1
	s_cbranch_scc0 .LBB9_703
; %bb.700:
	s_cmp_eq_u32 s18, 15
	s_mov_b64 s[4:5], -1
	s_cbranch_scc0 .LBB9_702
; %bb.701:
	buffer_load_dword v5, off, s[0:3], 0 offset:16 ; 4-byte Folded Reload
	buffer_load_dword v6, off, s[0:3], 0 offset:20 ; 4-byte Folded Reload
	;; [unrolled: 1-line block ×4, first 2 shown]
	s_movk_i32 s4, 0x7fff
	s_mov_b64 s[10:11], -1
	s_waitcnt vmcnt(2)
	v_cvt_f32_f64_e32 v5, v[5:6]
	v_mov_b32_e32 v6, 0x7fc0
	s_waitcnt vmcnt(1)
	v_bfe_u32 v7, v5, 16, 1
	v_cmp_o_f32_e32 vcc, v5, v5
	v_add3_u32 v5, v5, v7, s4
	v_cndmask_b32_sdwa v5, v6, v5, vcc dst_sel:DWORD dst_unused:UNUSED_PAD src0_sel:DWORD src1_sel:WORD_1
	global_store_short v[2:3], v5, off
	s_mov_b64 s[4:5], 0
.LBB9_702:
	s_mov_b64 s[12:13], 0
.LBB9_703:
	s_and_b64 vcc, exec, s[12:13]
	s_cbranch_vccz .LBB9_705
; %bb.704:
	s_cmp_lg_u32 s18, 11
	s_mov_b64 s[8:9], -1
	s_cselect_b64 s[4:5], -1, 0
.LBB9_705:
	s_and_b64 vcc, exec, s[4:5]
	s_cbranch_vccnz .LBB9_996
; %bb.706:
	s_andn2_b64 vcc, exec, s[8:9]
	s_cbranch_vccnz .LBB9_708
.LBB9_707:
	buffer_load_dword v5, off, s[0:3], 0 offset:16 ; 4-byte Folded Reload
	buffer_load_dword v6, off, s[0:3], 0 offset:20 ; 4-byte Folded Reload
	;; [unrolled: 1-line block ×4, first 2 shown]
	s_mov_b64 s[10:11], -1
	s_waitcnt vmcnt(2)
	v_cmp_neq_f64_e32 vcc, 0, v[5:6]
	v_cndmask_b32_e64 v5, 0, 1, vcc
	global_store_byte v[2:3], v5, off
.LBB9_708:
.LBB9_709:
	s_andn2_b64 vcc, exec, s[10:11]
	s_cbranch_vccz .LBB9_749
	s_branch .LBB9_943
.LBB9_710:
	s_mov_b64 s[10:11], 0
	s_cbranch_execz .LBB9_709
; %bb.711:
	s_and_b32 s8, 0xffff, s16
	s_cmp_lt_i32 s8, 5
	s_mov_b64 s[4:5], -1
	s_cbranch_scc1 .LBB9_732
; %bb.712:
	s_cmp_lt_i32 s8, 8
	s_cbranch_scc1 .LBB9_722
; %bb.713:
	s_cmp_lt_i32 s8, 9
	s_cbranch_scc1 .LBB9_719
; %bb.714:
	s_cmp_gt_i32 s8, 9
	s_cbranch_scc0 .LBB9_716
; %bb.715:
	buffer_load_dword v5, off, s[0:3], 0 offset:16 ; 4-byte Folded Reload
	buffer_load_dword v6, off, s[0:3], 0 offset:20 ; 4-byte Folded Reload
	;; [unrolled: 1-line block ×4, first 2 shown]
	v_mov_b32_e32 v9, 0
	s_waitcnt vmcnt(7)
	v_mov_b32_e32 v10, v9
	s_mov_b64 s[4:5], 0
	s_waitcnt vmcnt(0)
	v_mov_b32_e32 v8, v6
	v_mov_b32_e32 v7, v5
	buffer_store_dword v5, off, s[0:3], 0 offset:16 ; 4-byte Folded Spill
	s_nop 0
	buffer_store_dword v6, off, s[0:3], 0 offset:20 ; 4-byte Folded Spill
	buffer_store_dword v7, off, s[0:3], 0 offset:24 ; 4-byte Folded Spill
	;; [unrolled: 1-line block ×3, first 2 shown]
	global_store_dwordx4 v[2:3], v[7:10], off
.LBB9_716:
	s_andn2_b64 vcc, exec, s[4:5]
	s_cbranch_vccnz .LBB9_718
; %bb.717:
	buffer_load_dword v5, off, s[0:3], 0 offset:16 ; 4-byte Folded Reload
	buffer_load_dword v6, off, s[0:3], 0 offset:20 ; 4-byte Folded Reload
	;; [unrolled: 1-line block ×4, first 2 shown]
	s_waitcnt vmcnt(2)
	v_cvt_f32_f64_e32 v5, v[5:6]
	v_mov_b32_e32 v6, 0
	global_store_dwordx2 v[2:3], v[5:6], off
.LBB9_718:
	s_mov_b64 s[4:5], 0
.LBB9_719:
	s_andn2_b64 vcc, exec, s[4:5]
	s_cbranch_vccnz .LBB9_721
; %bb.720:
	buffer_load_dword v5, off, s[0:3], 0 offset:16 ; 4-byte Folded Reload
	buffer_load_dword v6, off, s[0:3], 0 offset:20 ; 4-byte Folded Reload
	;; [unrolled: 1-line block ×4, first 2 shown]
	s_movk_i32 s4, 0x1ff
	s_waitcnt vmcnt(2)
	v_mov_b32_e32 v10, v6
	v_mov_b32_e32 v9, v5
	v_and_or_b32 v5, v10, s4, v9
	v_cmp_ne_u32_e32 vcc, 0, v5
	v_cndmask_b32_e64 v5, 0, 1, vcc
	v_lshrrev_b32_e32 v6, 8, v10
	s_movk_i32 s4, 0xffe
	s_waitcnt vmcnt(1)
	v_bfe_u32 v7, v10, 20, 11
	v_and_or_b32 v5, v6, s4, v5
	s_waitcnt vmcnt(0)
	v_sub_u32_e32 v8, 0x3f1, v7
	v_or_b32_e32 v6, 0x1000, v5
	v_med3_i32 v8, v8, 0, 13
	v_lshrrev_b32_e32 v9, v8, v6
	v_lshlrev_b32_e32 v8, v8, v9
	v_cmp_ne_u32_e32 vcc, v8, v6
	v_cndmask_b32_e64 v6, 0, 1, vcc
	v_add_u32_e32 v7, 0xfffffc10, v7
	v_or_b32_e32 v6, v9, v6
	v_lshl_or_b32 v8, v7, 12, v5
	v_cmp_gt_i32_e32 vcc, 1, v7
	v_cndmask_b32_e32 v6, v8, v6, vcc
	v_and_b32_e32 v8, 7, v6
	v_cmp_lt_i32_e32 vcc, 5, v8
	v_cndmask_b32_e64 v9, 0, 1, vcc
	v_cmp_eq_u32_e32 vcc, 3, v8
	v_cndmask_b32_e64 v8, 0, 1, vcc
	v_or_b32_e32 v8, v8, v9
	v_lshrrev_b32_e32 v6, 2, v6
	v_add_u32_e32 v6, v6, v8
	v_mov_b32_e32 v8, 0x7c00
	v_cmp_gt_i32_e32 vcc, 31, v7
	v_cndmask_b32_e32 v6, v8, v6, vcc
	v_mov_b32_e32 v9, 0x7e00
	v_cmp_ne_u32_e32 vcc, 0, v5
	s_movk_i32 s4, 0x40f
	v_cndmask_b32_e32 v5, v8, v9, vcc
	v_cmp_eq_u32_e32 vcc, s4, v7
	v_cndmask_b32_e32 v5, v6, v5, vcc
	v_lshrrev_b32_e32 v6, 16, v10
	s_mov_b32 s4, 0x8000
	v_and_or_b32 v5, v6, s4, v5
	v_and_b32_e32 v5, 0xffff, v5
	global_store_dword v[2:3], v5, off
.LBB9_721:
	s_mov_b64 s[4:5], 0
.LBB9_722:
	s_andn2_b64 vcc, exec, s[4:5]
	s_cbranch_vccnz .LBB9_731
; %bb.723:
	s_cmp_lt_i32 s8, 6
	s_mov_b64 s[4:5], -1
	s_cbranch_scc1 .LBB9_729
; %bb.724:
	s_cmp_gt_i32 s8, 6
	s_cbranch_scc0 .LBB9_726
; %bb.725:
	buffer_load_dword v5, off, s[0:3], 0 offset:16 ; 4-byte Folded Reload
	buffer_load_dword v6, off, s[0:3], 0 offset:20 ; 4-byte Folded Reload
	;; [unrolled: 1-line block ×4, first 2 shown]
	s_mov_b64 s[4:5], 0
	s_waitcnt vmcnt(2)
	global_store_dwordx2 v[2:3], v[5:6], off
.LBB9_726:
	s_andn2_b64 vcc, exec, s[4:5]
	s_cbranch_vccnz .LBB9_728
; %bb.727:
	buffer_load_dword v5, off, s[0:3], 0 offset:16 ; 4-byte Folded Reload
	buffer_load_dword v6, off, s[0:3], 0 offset:20 ; 4-byte Folded Reload
	;; [unrolled: 1-line block ×4, first 2 shown]
	s_waitcnt vmcnt(2)
	v_cvt_f32_f64_e32 v5, v[5:6]
	global_store_dword v[2:3], v5, off
.LBB9_728:
	s_mov_b64 s[4:5], 0
.LBB9_729:
	s_andn2_b64 vcc, exec, s[4:5]
	s_cbranch_vccnz .LBB9_731
; %bb.730:
	buffer_load_dword v5, off, s[0:3], 0 offset:16 ; 4-byte Folded Reload
	buffer_load_dword v6, off, s[0:3], 0 offset:20 ; 4-byte Folded Reload
	;; [unrolled: 1-line block ×4, first 2 shown]
	s_movk_i32 s4, 0x1ff
	s_waitcnt vmcnt(2)
	v_mov_b32_e32 v10, v6
	v_mov_b32_e32 v9, v5
	v_and_or_b32 v5, v10, s4, v9
	v_cmp_ne_u32_e32 vcc, 0, v5
	v_cndmask_b32_e64 v5, 0, 1, vcc
	v_lshrrev_b32_e32 v6, 8, v10
	s_movk_i32 s4, 0xffe
	s_waitcnt vmcnt(1)
	v_bfe_u32 v7, v10, 20, 11
	v_and_or_b32 v5, v6, s4, v5
	s_waitcnt vmcnt(0)
	v_sub_u32_e32 v8, 0x3f1, v7
	v_or_b32_e32 v6, 0x1000, v5
	v_med3_i32 v8, v8, 0, 13
	v_lshrrev_b32_e32 v9, v8, v6
	v_lshlrev_b32_e32 v8, v8, v9
	v_cmp_ne_u32_e32 vcc, v8, v6
	v_cndmask_b32_e64 v6, 0, 1, vcc
	v_add_u32_e32 v7, 0xfffffc10, v7
	v_or_b32_e32 v6, v9, v6
	v_lshl_or_b32 v8, v7, 12, v5
	v_cmp_gt_i32_e32 vcc, 1, v7
	v_cndmask_b32_e32 v6, v8, v6, vcc
	v_and_b32_e32 v8, 7, v6
	v_cmp_lt_i32_e32 vcc, 5, v8
	v_cndmask_b32_e64 v9, 0, 1, vcc
	v_cmp_eq_u32_e32 vcc, 3, v8
	v_cndmask_b32_e64 v8, 0, 1, vcc
	v_or_b32_e32 v8, v8, v9
	v_lshrrev_b32_e32 v6, 2, v6
	v_add_u32_e32 v6, v6, v8
	v_mov_b32_e32 v8, 0x7c00
	v_cmp_gt_i32_e32 vcc, 31, v7
	v_cndmask_b32_e32 v6, v8, v6, vcc
	v_mov_b32_e32 v9, 0x7e00
	v_cmp_ne_u32_e32 vcc, 0, v5
	s_movk_i32 s4, 0x40f
	v_cndmask_b32_e32 v5, v8, v9, vcc
	v_cmp_eq_u32_e32 vcc, s4, v7
	v_cndmask_b32_e32 v5, v6, v5, vcc
	v_lshrrev_b32_e32 v6, 16, v10
	s_mov_b32 s4, 0x8000
	v_and_or_b32 v5, v6, s4, v5
	global_store_short v[2:3], v5, off
.LBB9_731:
	s_mov_b64 s[4:5], 0
.LBB9_732:
	s_andn2_b64 vcc, exec, s[4:5]
	s_cbranch_vccnz .LBB9_748
; %bb.733:
	s_cmp_lt_i32 s8, 2
	s_mov_b64 s[4:5], -1
	s_cbranch_scc1 .LBB9_743
; %bb.734:
	s_cmp_lt_i32 s8, 3
	s_cbranch_scc1 .LBB9_740
; %bb.735:
	s_cmp_gt_i32 s8, 3
	s_cbranch_scc0 .LBB9_737
; %bb.736:
	buffer_load_dword v5, off, s[0:3], 0 offset:16 ; 4-byte Folded Reload
	buffer_load_dword v6, off, s[0:3], 0 offset:20 ; 4-byte Folded Reload
	;; [unrolled: 1-line block ×4, first 2 shown]
	s_movk_i32 s4, 0xffe0
	s_waitcnt vmcnt(2)
	v_trunc_f64_e32 v[5:6], v[5:6]
	s_waitcnt vmcnt(0)
	v_ldexp_f64 v[7:8], v[5:6], s4
	s_mov_b32 s4, 0
	s_mov_b32 s5, 0xc1f00000
	v_floor_f64_e32 v[7:8], v[7:8]
	v_fma_f64 v[5:6], v[7:8], s[4:5], v[5:6]
	v_cvt_i32_f64_e32 v7, v[7:8]
	s_mov_b64 s[4:5], 0
	v_cvt_u32_f64_e32 v6, v[5:6]
	global_store_dwordx2 v[2:3], v[6:7], off
.LBB9_737:
	s_andn2_b64 vcc, exec, s[4:5]
	s_cbranch_vccnz .LBB9_739
; %bb.738:
	buffer_load_dword v5, off, s[0:3], 0 offset:16 ; 4-byte Folded Reload
	buffer_load_dword v6, off, s[0:3], 0 offset:20 ; 4-byte Folded Reload
	;; [unrolled: 1-line block ×4, first 2 shown]
	s_waitcnt vmcnt(2)
	v_cvt_i32_f64_e32 v5, v[5:6]
	global_store_dword v[2:3], v5, off
.LBB9_739:
	s_mov_b64 s[4:5], 0
.LBB9_740:
	s_andn2_b64 vcc, exec, s[4:5]
	s_cbranch_vccnz .LBB9_742
; %bb.741:
	buffer_load_dword v5, off, s[0:3], 0 offset:16 ; 4-byte Folded Reload
	buffer_load_dword v6, off, s[0:3], 0 offset:20 ; 4-byte Folded Reload
	;; [unrolled: 1-line block ×4, first 2 shown]
	s_waitcnt vmcnt(2)
	v_cvt_i32_f64_e32 v5, v[5:6]
	global_store_short v[2:3], v5, off
.LBB9_742:
	s_mov_b64 s[4:5], 0
.LBB9_743:
	s_andn2_b64 vcc, exec, s[4:5]
	s_cbranch_vccnz .LBB9_748
; %bb.744:
	s_cmp_gt_i32 s8, 0
	s_mov_b64 s[4:5], -1
	s_cbranch_scc0 .LBB9_746
; %bb.745:
	buffer_load_dword v5, off, s[0:3], 0 offset:16 ; 4-byte Folded Reload
	buffer_load_dword v6, off, s[0:3], 0 offset:20 ; 4-byte Folded Reload
	;; [unrolled: 1-line block ×4, first 2 shown]
	s_mov_b64 s[4:5], 0
	s_waitcnt vmcnt(2)
	v_cvt_i32_f64_e32 v5, v[5:6]
	global_store_byte v[2:3], v5, off
.LBB9_746:
	s_andn2_b64 vcc, exec, s[4:5]
	s_cbranch_vccnz .LBB9_748
; %bb.747:
	buffer_load_dword v5, off, s[0:3], 0 offset:16 ; 4-byte Folded Reload
	buffer_load_dword v6, off, s[0:3], 0 offset:20 ; 4-byte Folded Reload
	;; [unrolled: 1-line block ×4, first 2 shown]
	s_movk_i32 s4, 0xffe0
	s_waitcnt vmcnt(2)
	v_trunc_f64_e32 v[5:6], v[5:6]
	s_waitcnt vmcnt(0)
	v_ldexp_f64 v[7:8], v[5:6], s4
	s_mov_b32 s4, 0
	s_mov_b32 s5, 0xc1f00000
	v_floor_f64_e32 v[7:8], v[7:8]
	v_fma_f64 v[5:6], v[7:8], s[4:5], v[5:6]
	v_cvt_u32_f64_e32 v5, v[5:6]
	global_store_byte v[2:3], v5, off
.LBB9_748:
.LBB9_749:
	v_add_u32_e32 v4, s17, v4
	v_ashrrev_i32_e32 v3, 31, v4
	v_mov_b32_e32 v5, s37
	v_add_co_u32_e32 v2, vcc, s36, v4
	s_cmp_lt_i32 s16, 11
	v_addc_co_u32_e32 v3, vcc, v5, v3, vcc
	s_cbranch_scc1 .LBB9_904
; %bb.750:
	s_and_b32 s18, 0xffff, s16
	s_mov_b64 s[12:13], -1
	s_mov_b64 s[8:9], 0
	s_cmp_gt_i32 s18, 25
	s_mov_b64 s[10:11], 0
	s_mov_b64 s[4:5], 0
	s_cbranch_scc0 .LBB9_783
; %bb.751:
	s_cmp_gt_i32 s18, 28
	s_cbranch_scc0 .LBB9_766
; %bb.752:
	s_cmp_gt_i32 s18, 43
	;; [unrolled: 3-line block ×3, first 2 shown]
	s_cbranch_scc0 .LBB9_756
; %bb.754:
	s_mov_b64 s[4:5], -1
	s_mov_b64 s[12:13], 0
	s_cmp_eq_u32 s18, 46
	s_cbranch_scc0 .LBB9_756
; %bb.755:
	buffer_load_dword v5, off, s[0:3], 0 offset:32 ; 4-byte Folded Reload
	buffer_load_dword v6, off, s[0:3], 0 offset:36 ; 4-byte Folded Reload
	;; [unrolled: 1-line block ×4, first 2 shown]
	s_movk_i32 s4, 0x7fff
	s_mov_b64 s[10:11], -1
	s_waitcnt vmcnt(2)
	v_cvt_f32_f64_e32 v5, v[5:6]
	v_mov_b32_e32 v6, 0x7fc0
	s_waitcnt vmcnt(1)
	v_bfe_u32 v7, v5, 16, 1
	v_cmp_o_f32_e32 vcc, v5, v5
	v_add3_u32 v5, v5, v7, s4
	v_cndmask_b32_sdwa v5, v6, v5, vcc dst_sel:DWORD dst_unused:UNUSED_PAD src0_sel:DWORD src1_sel:WORD_1
	global_store_dword v[2:3], v5, off
	s_mov_b64 s[4:5], 0
.LBB9_756:
	s_and_b64 vcc, exec, s[12:13]
	s_cbranch_vccz .LBB9_761
; %bb.757:
	s_cmp_eq_u32 s18, 44
	s_mov_b64 s[4:5], -1
	s_cbranch_scc0 .LBB9_761
; %bb.758:
	buffer_load_dword v5, off, s[0:3], 0 offset:32 ; 4-byte Folded Reload
	buffer_load_dword v6, off, s[0:3], 0 offset:36 ; 4-byte Folded Reload
	;; [unrolled: 1-line block ×4, first 2 shown]
	s_movk_i32 s4, 0xff
	s_waitcnt vmcnt(1)
	v_mov_b32_e32 v7, 0xff
	v_cvt_f32_f64_e32 v5, v[5:6]
	v_bfe_u32 v6, v5, 23, 8
	v_cmp_ne_u32_e32 vcc, s4, v6
	s_and_saveexec_b64 s[10:11], vcc
	s_cbranch_execz .LBB9_760
; %bb.759:
	s_mov_b32 s4, 0x3fffff
	v_lshrrev_b32_e32 v7, 23, v5
	s_waitcnt vmcnt(0)
	v_and_b32_e32 v8, 0x400000, v5
	v_and_or_b32 v5, v5, s4, v6
	v_cmp_ne_u32_e32 vcc, 0, v8
	v_cmp_ne_u32_e64 s[4:5], 0, v5
	s_and_b64 s[4:5], vcc, s[4:5]
	v_cndmask_b32_e64 v5, 0, 1, s[4:5]
	v_add_u32_e32 v7, v7, v5
.LBB9_760:
	s_or_b64 exec, exec, s[10:11]
	s_mov_b64 s[4:5], 0
	s_mov_b64 s[10:11], -1
	global_store_byte v[2:3], v7, off
.LBB9_761:
	s_mov_b64 s[12:13], 0
.LBB9_762:
	s_and_b64 vcc, exec, s[12:13]
	s_cbranch_vccz .LBB9_765
; %bb.763:
	s_cmp_eq_u32 s18, 29
	s_mov_b64 s[4:5], -1
	s_cbranch_scc0 .LBB9_765
; %bb.764:
	buffer_load_dword v5, off, s[0:3], 0 offset:32 ; 4-byte Folded Reload
	buffer_load_dword v6, off, s[0:3], 0 offset:36 ; 4-byte Folded Reload
	;; [unrolled: 1-line block ×4, first 2 shown]
	s_movk_i32 s4, 0xffe0
	s_mov_b64 s[10:11], -1
	s_waitcnt vmcnt(2)
	v_trunc_f64_e32 v[5:6], v[5:6]
	s_waitcnt vmcnt(0)
	v_ldexp_f64 v[7:8], v[5:6], s4
	s_mov_b32 s4, 0
	s_mov_b32 s5, 0xc1f00000
	v_floor_f64_e32 v[7:8], v[7:8]
	v_fma_f64 v[5:6], v[7:8], s[4:5], v[5:6]
	v_cvt_u32_f64_e32 v7, v[7:8]
	s_mov_b64 s[4:5], 0
	v_cvt_u32_f64_e32 v6, v[5:6]
	global_store_dwordx2 v[2:3], v[6:7], off
.LBB9_765:
	s_mov_b64 s[12:13], 0
.LBB9_766:
	s_and_b64 vcc, exec, s[12:13]
	s_cbranch_vccz .LBB9_782
; %bb.767:
	s_cmp_lt_i32 s18, 27
	s_mov_b64 s[10:11], -1
	s_cbranch_scc1 .LBB9_773
; %bb.768:
	buffer_load_dword v5, off, s[0:3], 0 offset:32 ; 4-byte Folded Reload
	buffer_load_dword v6, off, s[0:3], 0 offset:36 ; 4-byte Folded Reload
	;; [unrolled: 1-line block ×4, first 2 shown]
	s_cmp_gt_i32 s18, 27
	s_waitcnt vmcnt(2)
	v_cvt_u32_f64_e32 v5, v[5:6]
	s_cbranch_scc0 .LBB9_770
; %bb.769:
	s_mov_b64 s[10:11], 0
	global_store_dword v[2:3], v5, off
.LBB9_770:
	s_andn2_b64 vcc, exec, s[10:11]
	s_cbranch_vccnz .LBB9_772
; %bb.771:
	global_store_short v[2:3], v5, off
.LBB9_772:
	s_mov_b64 s[10:11], 0
.LBB9_773:
	s_andn2_b64 vcc, exec, s[10:11]
	s_cbranch_vccnz .LBB9_781
; %bb.774:
	buffer_load_dword v5, off, s[0:3], 0 offset:32 ; 4-byte Folded Reload
	buffer_load_dword v6, off, s[0:3], 0 offset:36 ; 4-byte Folded Reload
	;; [unrolled: 1-line block ×4, first 2 shown]
	s_mov_b32 s10, 0x43800000
	s_waitcnt vmcnt(1)
	v_mov_b32_e32 v7, 0x80
	v_cvt_f32_f64_e32 v5, v[5:6]
	v_and_b32_e32 v6, 0x7fffffff, v5
	v_cmp_gt_u32_e32 vcc, s10, v6
	s_and_saveexec_b64 s[10:11], vcc
	s_cbranch_execz .LBB9_780
; %bb.775:
	s_mov_b32 s12, 0x3bffffff
	v_cmp_lt_u32_e32 vcc, s12, v6
	s_mov_b64 s[12:13], 0
                                        ; implicit-def: $vgpr6
	s_and_saveexec_b64 s[14:15], vcc
	s_xor_b64 s[14:15], exec, s[14:15]
	s_cbranch_execz .LBB9_999
; %bb.776:
	v_bfe_u32 v6, v5, 20, 1
	s_mov_b32 s19, 0x487ffff
	v_add3_u32 v6, v5, v6, s19
	s_mov_b64 s[12:13], exec
	v_lshrrev_b32_e32 v6, 20, v6
	s_andn2_saveexec_b64 s[14:15], s[14:15]
	s_cbranch_execnz .LBB9_1000
.LBB9_777:
	s_or_b64 exec, exec, s[14:15]
	v_mov_b32_e32 v7, 0
	s_and_saveexec_b64 s[14:15], s[12:13]
.LBB9_778:
	v_lshrrev_b32_e32 v5, 24, v5
	s_movk_i32 s12, 0x80
	v_and_or_b32 v7, v5, s12, v6
.LBB9_779:
	s_or_b64 exec, exec, s[14:15]
.LBB9_780:
	s_or_b64 exec, exec, s[10:11]
	global_store_byte v[2:3], v7, off
.LBB9_781:
	s_mov_b64 s[10:11], -1
.LBB9_782:
	s_mov_b64 s[12:13], 0
.LBB9_783:
	s_and_b64 vcc, exec, s[12:13]
	s_cbranch_vccz .LBB9_823
; %bb.784:
	s_cmp_gt_i32 s18, 22
	s_mov_b64 s[8:9], -1
	s_cbranch_scc0 .LBB9_816
; %bb.785:
	s_cmp_lt_i32 s18, 24
	s_cbranch_scc1 .LBB9_805
; %bb.786:
	s_cmp_gt_i32 s18, 24
	s_cbranch_scc0 .LBB9_794
; %bb.787:
	buffer_load_dword v5, off, s[0:3], 0 offset:32 ; 4-byte Folded Reload
	buffer_load_dword v6, off, s[0:3], 0 offset:36 ; 4-byte Folded Reload
	;; [unrolled: 1-line block ×4, first 2 shown]
	s_mov_b32 s8, 0x47800000
	s_waitcnt vmcnt(1)
	v_mov_b32_e32 v7, 0x80
	v_cvt_f32_f64_e32 v5, v[5:6]
	v_and_b32_e32 v6, 0x7fffffff, v5
	v_cmp_gt_u32_e32 vcc, s8, v6
	s_and_saveexec_b64 s[8:9], vcc
	s_cbranch_execz .LBB9_793
; %bb.788:
	s_mov_b32 s10, 0x37ffffff
	v_cmp_lt_u32_e32 vcc, s10, v6
	s_mov_b64 s[10:11], 0
                                        ; implicit-def: $vgpr6
	s_and_saveexec_b64 s[12:13], vcc
	s_xor_b64 s[12:13], exec, s[12:13]
	s_cbranch_execz .LBB9_1002
; %bb.789:
	v_bfe_u32 v6, v5, 21, 1
	s_mov_b32 s14, 0x88fffff
	v_add3_u32 v6, v5, v6, s14
	s_mov_b64 s[10:11], exec
	v_lshrrev_b32_e32 v6, 21, v6
	s_andn2_saveexec_b64 s[12:13], s[12:13]
	s_cbranch_execnz .LBB9_1003
.LBB9_790:
	s_or_b64 exec, exec, s[12:13]
	v_mov_b32_e32 v7, 0
	s_and_saveexec_b64 s[12:13], s[10:11]
.LBB9_791:
	v_lshrrev_b32_e32 v5, 24, v5
	s_movk_i32 s10, 0x80
	v_and_or_b32 v7, v5, s10, v6
.LBB9_792:
	s_or_b64 exec, exec, s[12:13]
.LBB9_793:
	s_or_b64 exec, exec, s[8:9]
	s_mov_b64 s[8:9], 0
	global_store_byte v[2:3], v7, off
.LBB9_794:
	s_and_b64 vcc, exec, s[8:9]
	s_cbranch_vccz .LBB9_804
; %bb.795:
	buffer_load_dword v5, off, s[0:3], 0 offset:32 ; 4-byte Folded Reload
	buffer_load_dword v6, off, s[0:3], 0 offset:36 ; 4-byte Folded Reload
	;; [unrolled: 1-line block ×4, first 2 shown]
	s_mov_b32 s8, 0x43f00000
	s_waitcnt vmcnt(2)
	v_cvt_f32_f64_e32 v5, v[5:6]
                                        ; implicit-def: $vgpr6
	s_waitcnt vmcnt(1)
	v_and_b32_e32 v7, 0x7fffffff, v5
	v_cmp_gt_u32_e32 vcc, s8, v7
	s_and_saveexec_b64 s[8:9], vcc
	s_xor_b64 s[8:9], exec, s[8:9]
	s_cbranch_execz .LBB9_801
; %bb.796:
	s_mov_b32 s10, 0x3c7fffff
	v_cmp_lt_u32_e32 vcc, s10, v7
                                        ; implicit-def: $vgpr6
	s_and_saveexec_b64 s[10:11], vcc
	s_xor_b64 s[10:11], exec, s[10:11]
	s_cbranch_execz .LBB9_798
; %bb.797:
	v_bfe_u32 v6, v5, 20, 1
	s_mov_b32 s12, 0x407ffff
	v_add3_u32 v6, v5, v6, s12
	v_lshrrev_b32_e32 v7, 20, v6
	v_and_b32_e32 v6, 0xff00000, v6
	s_mov_b32 s12, 0x7f00000
	s_waitcnt vmcnt(0)
	v_mov_b32_e32 v8, 0x7e
	v_cmp_ne_u32_e32 vcc, s12, v6
	v_cndmask_b32_e32 v6, v8, v7, vcc
.LBB9_798:
	s_andn2_saveexec_b64 s[10:11], s[10:11]
; %bb.799:
	s_mov_b32 s12, 0x46800000
	v_add_f32_e64 v6, |v5|, s12
; %bb.800:
	s_or_b64 exec, exec, s[10:11]
                                        ; implicit-def: $vgpr7
.LBB9_801:
	s_andn2_saveexec_b64 s[8:9], s[8:9]
	s_cbranch_execz .LBB9_803
; %bb.802:
	s_mov_b32 s10, 0x7f800000
	v_mov_b32_e32 v6, 0x7e
	s_waitcnt vmcnt(0)
	v_mov_b32_e32 v8, 0x7f
	v_cmp_lt_u32_e32 vcc, s10, v7
	v_cndmask_b32_e32 v6, v6, v8, vcc
.LBB9_803:
	s_or_b64 exec, exec, s[8:9]
	v_lshrrev_b32_e32 v5, 24, v5
	s_movk_i32 s8, 0x80
	v_and_or_b32 v5, v5, s8, v6
	global_store_byte v[2:3], v5, off
.LBB9_804:
	s_mov_b64 s[8:9], 0
.LBB9_805:
	s_andn2_b64 vcc, exec, s[8:9]
	s_cbranch_vccnz .LBB9_815
; %bb.806:
	buffer_load_dword v5, off, s[0:3], 0 offset:32 ; 4-byte Folded Reload
	buffer_load_dword v6, off, s[0:3], 0 offset:36 ; 4-byte Folded Reload
	;; [unrolled: 1-line block ×4, first 2 shown]
	s_mov_b32 s8, 0x47800000
	s_waitcnt vmcnt(2)
	v_cvt_f32_f64_e32 v5, v[5:6]
                                        ; implicit-def: $vgpr6
	s_waitcnt vmcnt(1)
	v_and_b32_e32 v7, 0x7fffffff, v5
	v_cmp_gt_u32_e32 vcc, s8, v7
	s_and_saveexec_b64 s[8:9], vcc
	s_xor_b64 s[8:9], exec, s[8:9]
	s_cbranch_execz .LBB9_812
; %bb.807:
	s_mov_b32 s10, 0x387fffff
	v_cmp_lt_u32_e32 vcc, s10, v7
                                        ; implicit-def: $vgpr6
	s_and_saveexec_b64 s[10:11], vcc
	s_xor_b64 s[10:11], exec, s[10:11]
; %bb.808:
	v_bfe_u32 v6, v5, 21, 1
	s_mov_b32 s12, 0x80fffff
	v_add3_u32 v6, v5, v6, s12
	v_lshrrev_b32_e32 v6, 21, v6
; %bb.809:
	s_andn2_saveexec_b64 s[10:11], s[10:11]
; %bb.810:
	s_mov_b32 s12, 0x43000000
	v_add_f32_e64 v6, |v5|, s12
; %bb.811:
	s_or_b64 exec, exec, s[10:11]
                                        ; implicit-def: $vgpr7
.LBB9_812:
	s_andn2_saveexec_b64 s[8:9], s[8:9]
	s_cbranch_execz .LBB9_814
; %bb.813:
	s_mov_b32 s10, 0x7f800000
	v_mov_b32_e32 v6, 0x7c
	s_waitcnt vmcnt(0)
	v_mov_b32_e32 v8, 0x7f
	v_cmp_lt_u32_e32 vcc, s10, v7
	v_cndmask_b32_e32 v6, v6, v8, vcc
.LBB9_814:
	s_or_b64 exec, exec, s[8:9]
	v_lshrrev_b32_e32 v5, 24, v5
	s_movk_i32 s8, 0x80
	v_and_or_b32 v5, v5, s8, v6
	global_store_byte v[2:3], v5, off
.LBB9_815:
	s_mov_b64 s[8:9], 0
	s_mov_b64 s[10:11], -1
.LBB9_816:
	s_andn2_b64 vcc, exec, s[8:9]
	s_mov_b64 s[8:9], 0
	s_cbranch_vccnz .LBB9_823
; %bb.817:
	s_cmp_gt_i32 s18, 14
	s_mov_b64 s[12:13], -1
	s_cbranch_scc0 .LBB9_821
; %bb.818:
	s_cmp_eq_u32 s18, 15
	s_mov_b64 s[4:5], -1
	s_cbranch_scc0 .LBB9_820
; %bb.819:
	buffer_load_dword v5, off, s[0:3], 0 offset:32 ; 4-byte Folded Reload
	buffer_load_dword v6, off, s[0:3], 0 offset:36 ; 4-byte Folded Reload
	;; [unrolled: 1-line block ×4, first 2 shown]
	s_movk_i32 s4, 0x7fff
	s_mov_b64 s[10:11], -1
	s_waitcnt vmcnt(2)
	v_cvt_f32_f64_e32 v5, v[5:6]
	v_mov_b32_e32 v6, 0x7fc0
	s_waitcnt vmcnt(1)
	v_bfe_u32 v7, v5, 16, 1
	v_cmp_o_f32_e32 vcc, v5, v5
	v_add3_u32 v5, v5, v7, s4
	v_cndmask_b32_sdwa v5, v6, v5, vcc dst_sel:DWORD dst_unused:UNUSED_PAD src0_sel:DWORD src1_sel:WORD_1
	global_store_short v[2:3], v5, off
	s_mov_b64 s[4:5], 0
.LBB9_820:
	s_mov_b64 s[12:13], 0
.LBB9_821:
	s_and_b64 vcc, exec, s[12:13]
	s_cbranch_vccz .LBB9_823
; %bb.822:
	s_cmp_lg_u32 s18, 11
	s_mov_b64 s[8:9], -1
	s_cselect_b64 s[4:5], -1, 0
.LBB9_823:
	s_and_b64 vcc, exec, s[4:5]
	s_cbranch_vccnz .LBB9_1001
; %bb.824:
	s_andn2_b64 vcc, exec, s[8:9]
	s_cbranch_vccnz .LBB9_826
.LBB9_825:
	buffer_load_dword v5, off, s[0:3], 0 offset:32 ; 4-byte Folded Reload
	buffer_load_dword v6, off, s[0:3], 0 offset:36 ; 4-byte Folded Reload
	;; [unrolled: 1-line block ×4, first 2 shown]
	s_mov_b64 s[10:11], -1
	s_waitcnt vmcnt(2)
	v_cmp_neq_f64_e32 vcc, 0, v[5:6]
	v_cndmask_b32_e64 v5, 0, 1, vcc
	global_store_byte v[2:3], v5, off
.LBB9_826:
.LBB9_827:
	s_andn2_b64 vcc, exec, s[10:11]
	s_cbranch_vccnz .LBB9_943
.LBB9_828:
	v_add_u32_e32 v2, s17, v4
	v_ashrrev_i32_e32 v3, 31, v2
	v_mov_b32_e32 v5, s37
	v_add_co_u32_e32 v4, vcc, s36, v2
	s_cmp_lt_i32 s16, 11
	v_addc_co_u32_e32 v5, vcc, v5, v3, vcc
	s_cbranch_scc1 .LBB9_988
; %bb.829:
	s_and_b32 s17, 0xffff, s16
	s_mov_b64 s[10:11], -1
	s_mov_b64 s[8:9], 0
	s_cmp_gt_i32 s17, 25
	s_mov_b64 s[4:5], 0
	s_cbranch_scc0 .LBB9_862
; %bb.830:
	s_cmp_gt_i32 s17, 28
	s_cbranch_scc0 .LBB9_846
; %bb.831:
	s_cmp_gt_i32 s17, 43
	;; [unrolled: 3-line block ×3, first 2 shown]
	s_cbranch_scc0 .LBB9_836
; %bb.833:
	s_cmp_eq_u32 s17, 46
	s_mov_b64 s[4:5], -1
	s_cbranch_scc0 .LBB9_835
; %bb.834:
	v_cvt_f32_f64_e32 v2, v[0:1]
	s_movk_i32 s4, 0x7fff
	v_mov_b32_e32 v3, 0x7fc0
	v_bfe_u32 v6, v2, 16, 1
	v_cmp_o_f32_e32 vcc, v2, v2
	v_add3_u32 v2, v2, v6, s4
	v_cndmask_b32_sdwa v2, v3, v2, vcc dst_sel:DWORD dst_unused:UNUSED_PAD src0_sel:DWORD src1_sel:WORD_1
	global_store_dword v[4:5], v2, off
	s_mov_b64 s[4:5], 0
.LBB9_835:
	s_mov_b64 s[10:11], 0
.LBB9_836:
	s_and_b64 vcc, exec, s[10:11]
	s_cbranch_vccz .LBB9_841
; %bb.837:
	s_cmp_eq_u32 s17, 44
	s_mov_b64 s[4:5], -1
	s_cbranch_scc0 .LBB9_841
; %bb.838:
	v_cvt_f32_f64_e32 v2, v[0:1]
	s_movk_i32 s4, 0xff
	v_mov_b32_e32 v6, 0xff
	v_bfe_u32 v3, v2, 23, 8
	v_cmp_ne_u32_e32 vcc, s4, v3
	s_and_saveexec_b64 s[10:11], vcc
	s_cbranch_execz .LBB9_840
; %bb.839:
	s_mov_b32 s4, 0x3fffff
	v_lshrrev_b32_e32 v6, 23, v2
	s_waitcnt vmcnt(1)
	v_and_b32_e32 v7, 0x400000, v2
	v_and_or_b32 v2, v2, s4, v3
	v_cmp_ne_u32_e32 vcc, 0, v7
	v_cmp_ne_u32_e64 s[4:5], 0, v2
	s_and_b64 s[4:5], vcc, s[4:5]
	v_cndmask_b32_e64 v2, 0, 1, s[4:5]
	v_add_u32_e32 v6, v6, v2
.LBB9_840:
	s_or_b64 exec, exec, s[10:11]
	s_mov_b64 s[4:5], 0
	global_store_byte v[4:5], v6, off
.LBB9_841:
	s_mov_b64 s[10:11], 0
.LBB9_842:
	s_and_b64 vcc, exec, s[10:11]
	s_cbranch_vccz .LBB9_845
; %bb.843:
	s_cmp_eq_u32 s17, 29
	s_mov_b64 s[4:5], -1
	s_cbranch_scc0 .LBB9_845
; %bb.844:
	v_trunc_f64_e32 v[2:3], v[0:1]
	s_movk_i32 s4, 0xffe0
	s_waitcnt vmcnt(1)
	v_ldexp_f64 v[6:7], v[2:3], s4
	s_mov_b32 s4, 0
	s_mov_b32 s5, 0xc1f00000
	v_floor_f64_e32 v[6:7], v[6:7]
	v_fma_f64 v[2:3], v[6:7], s[4:5], v[2:3]
	v_cvt_u32_f64_e32 v7, v[6:7]
	s_mov_b64 s[4:5], 0
	v_cvt_u32_f64_e32 v6, v[2:3]
	global_store_dwordx2 v[4:5], v[6:7], off
.LBB9_845:
	s_mov_b64 s[10:11], 0
.LBB9_846:
	s_and_b64 vcc, exec, s[10:11]
	s_cbranch_vccz .LBB9_861
; %bb.847:
	s_cmp_lt_i32 s17, 27
	s_mov_b64 s[10:11], -1
	s_cbranch_scc1 .LBB9_853
; %bb.848:
	v_cvt_u32_f64_e32 v2, v[0:1]
	s_cmp_gt_i32 s17, 27
	s_cbranch_scc0 .LBB9_850
; %bb.849:
	global_store_dword v[4:5], v2, off
	s_mov_b64 s[10:11], 0
.LBB9_850:
	s_andn2_b64 vcc, exec, s[10:11]
	s_cbranch_vccnz .LBB9_852
; %bb.851:
	global_store_short v[4:5], v2, off
.LBB9_852:
	s_mov_b64 s[10:11], 0
.LBB9_853:
	s_andn2_b64 vcc, exec, s[10:11]
	s_cbranch_vccnz .LBB9_861
; %bb.854:
	v_cvt_f32_f64_e32 v2, v[0:1]
	s_mov_b32 s10, 0x43800000
	v_mov_b32_e32 v6, 0x80
	v_and_b32_e32 v3, 0x7fffffff, v2
	v_cmp_gt_u32_e32 vcc, s10, v3
	s_and_saveexec_b64 s[10:11], vcc
	s_cbranch_execz .LBB9_860
; %bb.855:
	s_mov_b32 s12, 0x3bffffff
	v_cmp_lt_u32_e32 vcc, s12, v3
	s_mov_b64 s[12:13], 0
                                        ; implicit-def: $vgpr3
	s_and_saveexec_b64 s[14:15], vcc
	s_xor_b64 s[14:15], exec, s[14:15]
	s_cbranch_execz .LBB9_1004
; %bb.856:
	v_bfe_u32 v3, v2, 20, 1
	s_mov_b32 s18, 0x487ffff
	v_add3_u32 v3, v2, v3, s18
	s_mov_b64 s[12:13], exec
	v_lshrrev_b32_e32 v3, 20, v3
	s_andn2_saveexec_b64 s[14:15], s[14:15]
	s_cbranch_execnz .LBB9_1005
.LBB9_857:
	s_or_b64 exec, exec, s[14:15]
	v_mov_b32_e32 v6, 0
	s_and_saveexec_b64 s[14:15], s[12:13]
.LBB9_858:
	v_lshrrev_b32_e32 v2, 24, v2
	s_movk_i32 s12, 0x80
	v_and_or_b32 v6, v2, s12, v3
.LBB9_859:
	s_or_b64 exec, exec, s[14:15]
.LBB9_860:
	s_or_b64 exec, exec, s[10:11]
	global_store_byte v[4:5], v6, off
.LBB9_861:
	s_mov_b64 s[10:11], 0
.LBB9_862:
	s_and_b64 vcc, exec, s[10:11]
	s_cbranch_vccz .LBB9_902
; %bb.863:
	s_cmp_gt_i32 s17, 22
	s_mov_b64 s[8:9], -1
	s_cbranch_scc0 .LBB9_895
; %bb.864:
	s_cmp_lt_i32 s17, 24
	s_cbranch_scc1 .LBB9_884
; %bb.865:
	s_cmp_gt_i32 s17, 24
	s_cbranch_scc0 .LBB9_873
; %bb.866:
	v_cvt_f32_f64_e32 v2, v[0:1]
	s_mov_b32 s8, 0x47800000
	v_mov_b32_e32 v6, 0x80
	v_and_b32_e32 v3, 0x7fffffff, v2
	v_cmp_gt_u32_e32 vcc, s8, v3
	s_and_saveexec_b64 s[8:9], vcc
	s_cbranch_execz .LBB9_872
; %bb.867:
	s_mov_b32 s10, 0x37ffffff
	v_cmp_lt_u32_e32 vcc, s10, v3
	s_mov_b64 s[10:11], 0
                                        ; implicit-def: $vgpr3
	s_and_saveexec_b64 s[12:13], vcc
	s_xor_b64 s[12:13], exec, s[12:13]
	s_cbranch_execz .LBB9_1009
; %bb.868:
	v_bfe_u32 v3, v2, 21, 1
	s_mov_b32 s14, 0x88fffff
	v_add3_u32 v3, v2, v3, s14
	s_mov_b64 s[10:11], exec
	v_lshrrev_b32_e32 v3, 21, v3
	s_andn2_saveexec_b64 s[12:13], s[12:13]
	s_cbranch_execnz .LBB9_1010
.LBB9_869:
	s_or_b64 exec, exec, s[12:13]
	v_mov_b32_e32 v6, 0
	s_and_saveexec_b64 s[12:13], s[10:11]
.LBB9_870:
	v_lshrrev_b32_e32 v2, 24, v2
	s_movk_i32 s10, 0x80
	v_and_or_b32 v6, v2, s10, v3
.LBB9_871:
	s_or_b64 exec, exec, s[12:13]
.LBB9_872:
	s_or_b64 exec, exec, s[8:9]
	s_mov_b64 s[8:9], 0
	global_store_byte v[4:5], v6, off
.LBB9_873:
	s_and_b64 vcc, exec, s[8:9]
	s_cbranch_vccz .LBB9_883
; %bb.874:
	v_cvt_f32_f64_e32 v2, v[0:1]
	s_mov_b32 s8, 0x43f00000
                                        ; implicit-def: $vgpr3
	v_and_b32_e32 v6, 0x7fffffff, v2
	v_cmp_gt_u32_e32 vcc, s8, v6
	s_and_saveexec_b64 s[8:9], vcc
	s_xor_b64 s[8:9], exec, s[8:9]
	s_cbranch_execz .LBB9_880
; %bb.875:
	s_mov_b32 s10, 0x3c7fffff
	v_cmp_lt_u32_e32 vcc, s10, v6
                                        ; implicit-def: $vgpr3
	s_and_saveexec_b64 s[10:11], vcc
	s_xor_b64 s[10:11], exec, s[10:11]
	s_cbranch_execz .LBB9_877
; %bb.876:
	v_bfe_u32 v3, v2, 20, 1
	s_mov_b32 s12, 0x407ffff
	v_add3_u32 v3, v2, v3, s12
	v_lshrrev_b32_e32 v6, 20, v3
	v_and_b32_e32 v3, 0xff00000, v3
	s_mov_b32 s12, 0x7f00000
	s_waitcnt vmcnt(1)
	v_mov_b32_e32 v7, 0x7e
	v_cmp_ne_u32_e32 vcc, s12, v3
	v_cndmask_b32_e32 v3, v7, v6, vcc
.LBB9_877:
	s_andn2_saveexec_b64 s[10:11], s[10:11]
; %bb.878:
	s_mov_b32 s12, 0x46800000
	v_add_f32_e64 v3, |v2|, s12
; %bb.879:
	s_or_b64 exec, exec, s[10:11]
                                        ; implicit-def: $vgpr6
.LBB9_880:
	s_andn2_saveexec_b64 s[8:9], s[8:9]
	s_cbranch_execz .LBB9_882
; %bb.881:
	s_mov_b32 s10, 0x7f800000
	v_mov_b32_e32 v3, 0x7e
	s_waitcnt vmcnt(1)
	v_mov_b32_e32 v7, 0x7f
	v_cmp_lt_u32_e32 vcc, s10, v6
	v_cndmask_b32_e32 v3, v3, v7, vcc
.LBB9_882:
	s_or_b64 exec, exec, s[8:9]
	v_lshrrev_b32_e32 v2, 24, v2
	s_movk_i32 s8, 0x80
	v_and_or_b32 v2, v2, s8, v3
	global_store_byte v[4:5], v2, off
.LBB9_883:
	s_mov_b64 s[8:9], 0
.LBB9_884:
	s_andn2_b64 vcc, exec, s[8:9]
	s_cbranch_vccnz .LBB9_894
; %bb.885:
	v_cvt_f32_f64_e32 v2, v[0:1]
	s_mov_b32 s8, 0x47800000
                                        ; implicit-def: $vgpr3
	v_and_b32_e32 v6, 0x7fffffff, v2
	v_cmp_gt_u32_e32 vcc, s8, v6
	s_and_saveexec_b64 s[8:9], vcc
	s_xor_b64 s[8:9], exec, s[8:9]
	s_cbranch_execz .LBB9_891
; %bb.886:
	s_mov_b32 s10, 0x387fffff
	v_cmp_lt_u32_e32 vcc, s10, v6
                                        ; implicit-def: $vgpr3
	s_and_saveexec_b64 s[10:11], vcc
	s_xor_b64 s[10:11], exec, s[10:11]
; %bb.887:
	v_bfe_u32 v3, v2, 21, 1
	s_mov_b32 s12, 0x80fffff
	v_add3_u32 v3, v2, v3, s12
	v_lshrrev_b32_e32 v3, 21, v3
; %bb.888:
	s_andn2_saveexec_b64 s[10:11], s[10:11]
; %bb.889:
	s_mov_b32 s12, 0x43000000
	v_add_f32_e64 v3, |v2|, s12
; %bb.890:
	s_or_b64 exec, exec, s[10:11]
                                        ; implicit-def: $vgpr6
.LBB9_891:
	s_andn2_saveexec_b64 s[8:9], s[8:9]
	s_cbranch_execz .LBB9_893
; %bb.892:
	s_mov_b32 s10, 0x7f800000
	v_mov_b32_e32 v3, 0x7c
	s_waitcnt vmcnt(1)
	v_mov_b32_e32 v7, 0x7f
	v_cmp_lt_u32_e32 vcc, s10, v6
	v_cndmask_b32_e32 v3, v3, v7, vcc
.LBB9_893:
	s_or_b64 exec, exec, s[8:9]
	v_lshrrev_b32_e32 v2, 24, v2
	s_movk_i32 s8, 0x80
	v_and_or_b32 v2, v2, s8, v3
	global_store_byte v[4:5], v2, off
.LBB9_894:
	s_mov_b64 s[8:9], 0
.LBB9_895:
	s_andn2_b64 vcc, exec, s[8:9]
	s_mov_b64 s[8:9], 0
	s_cbranch_vccnz .LBB9_902
; %bb.896:
	s_cmp_gt_i32 s17, 14
	s_mov_b64 s[10:11], -1
	s_cbranch_scc0 .LBB9_900
; %bb.897:
	s_cmp_eq_u32 s17, 15
	s_mov_b64 s[4:5], -1
	s_cbranch_scc0 .LBB9_899
; %bb.898:
	v_cvt_f32_f64_e32 v2, v[0:1]
	s_movk_i32 s4, 0x7fff
	v_mov_b32_e32 v3, 0x7fc0
	v_bfe_u32 v6, v2, 16, 1
	v_cmp_o_f32_e32 vcc, v2, v2
	v_add3_u32 v2, v2, v6, s4
	v_cndmask_b32_sdwa v2, v3, v2, vcc dst_sel:DWORD dst_unused:UNUSED_PAD src0_sel:DWORD src1_sel:WORD_1
	global_store_short v[4:5], v2, off
	s_mov_b64 s[4:5], 0
.LBB9_899:
	s_mov_b64 s[10:11], 0
.LBB9_900:
	s_and_b64 vcc, exec, s[10:11]
	s_cbranch_vccz .LBB9_902
; %bb.901:
	s_cmp_lg_u32 s17, 11
	s_mov_b64 s[8:9], -1
	s_cselect_b64 s[4:5], -1, 0
.LBB9_902:
	s_and_b64 vcc, exec, s[4:5]
	s_cbranch_vccnz .LBB9_1006
.LBB9_903:
	s_mov_b64 s[4:5], 0
	s_branch .LBB9_944
.LBB9_904:
	s_mov_b64 s[10:11], 0
	s_cbranch_execz .LBB9_827
; %bb.905:
	s_and_b32 s8, 0xffff, s16
	s_cmp_lt_i32 s8, 5
	s_mov_b64 s[4:5], -1
	s_cbranch_scc1 .LBB9_926
; %bb.906:
	s_cmp_lt_i32 s8, 8
	s_cbranch_scc1 .LBB9_916
; %bb.907:
	s_cmp_lt_i32 s8, 9
	s_cbranch_scc1 .LBB9_913
; %bb.908:
	s_cmp_gt_i32 s8, 9
	s_cbranch_scc0 .LBB9_910
; %bb.909:
	buffer_load_dword v5, off, s[0:3], 0 offset:32 ; 4-byte Folded Reload
	buffer_load_dword v6, off, s[0:3], 0 offset:36 ; 4-byte Folded Reload
	;; [unrolled: 1-line block ×4, first 2 shown]
	v_mov_b32_e32 v9, 0
	s_waitcnt vmcnt(7)
	v_mov_b32_e32 v10, v9
	s_mov_b64 s[4:5], 0
	s_waitcnt vmcnt(0)
	v_mov_b32_e32 v8, v6
	v_mov_b32_e32 v7, v5
	buffer_store_dword v5, off, s[0:3], 0 offset:32 ; 4-byte Folded Spill
	s_nop 0
	buffer_store_dword v6, off, s[0:3], 0 offset:36 ; 4-byte Folded Spill
	buffer_store_dword v7, off, s[0:3], 0 offset:40 ; 4-byte Folded Spill
	;; [unrolled: 1-line block ×3, first 2 shown]
	global_store_dwordx4 v[2:3], v[7:10], off
.LBB9_910:
	s_andn2_b64 vcc, exec, s[4:5]
	s_cbranch_vccnz .LBB9_912
; %bb.911:
	buffer_load_dword v5, off, s[0:3], 0 offset:32 ; 4-byte Folded Reload
	buffer_load_dword v6, off, s[0:3], 0 offset:36 ; 4-byte Folded Reload
	;; [unrolled: 1-line block ×4, first 2 shown]
	s_waitcnt vmcnt(2)
	v_cvt_f32_f64_e32 v5, v[5:6]
	v_mov_b32_e32 v6, 0
	global_store_dwordx2 v[2:3], v[5:6], off
.LBB9_912:
	s_mov_b64 s[4:5], 0
.LBB9_913:
	s_andn2_b64 vcc, exec, s[4:5]
	s_cbranch_vccnz .LBB9_915
; %bb.914:
	buffer_load_dword v5, off, s[0:3], 0 offset:32 ; 4-byte Folded Reload
	buffer_load_dword v6, off, s[0:3], 0 offset:36 ; 4-byte Folded Reload
	;; [unrolled: 1-line block ×4, first 2 shown]
	s_movk_i32 s4, 0x1ff
	s_waitcnt vmcnt(2)
	v_mov_b32_e32 v10, v6
	v_mov_b32_e32 v9, v5
	v_and_or_b32 v5, v10, s4, v9
	v_cmp_ne_u32_e32 vcc, 0, v5
	v_cndmask_b32_e64 v5, 0, 1, vcc
	v_lshrrev_b32_e32 v6, 8, v10
	s_movk_i32 s4, 0xffe
	s_waitcnt vmcnt(1)
	v_bfe_u32 v7, v10, 20, 11
	v_and_or_b32 v5, v6, s4, v5
	s_waitcnt vmcnt(0)
	v_sub_u32_e32 v8, 0x3f1, v7
	v_or_b32_e32 v6, 0x1000, v5
	v_med3_i32 v8, v8, 0, 13
	v_lshrrev_b32_e32 v9, v8, v6
	v_lshlrev_b32_e32 v8, v8, v9
	v_cmp_ne_u32_e32 vcc, v8, v6
	v_cndmask_b32_e64 v6, 0, 1, vcc
	v_add_u32_e32 v7, 0xfffffc10, v7
	v_or_b32_e32 v6, v9, v6
	v_lshl_or_b32 v8, v7, 12, v5
	v_cmp_gt_i32_e32 vcc, 1, v7
	v_cndmask_b32_e32 v6, v8, v6, vcc
	v_and_b32_e32 v8, 7, v6
	v_cmp_lt_i32_e32 vcc, 5, v8
	v_cndmask_b32_e64 v9, 0, 1, vcc
	v_cmp_eq_u32_e32 vcc, 3, v8
	v_cndmask_b32_e64 v8, 0, 1, vcc
	v_or_b32_e32 v8, v8, v9
	v_lshrrev_b32_e32 v6, 2, v6
	v_add_u32_e32 v6, v6, v8
	v_mov_b32_e32 v8, 0x7c00
	v_cmp_gt_i32_e32 vcc, 31, v7
	v_cndmask_b32_e32 v6, v8, v6, vcc
	v_mov_b32_e32 v9, 0x7e00
	v_cmp_ne_u32_e32 vcc, 0, v5
	s_movk_i32 s4, 0x40f
	v_cndmask_b32_e32 v5, v8, v9, vcc
	v_cmp_eq_u32_e32 vcc, s4, v7
	v_cndmask_b32_e32 v5, v6, v5, vcc
	v_lshrrev_b32_e32 v6, 16, v10
	s_mov_b32 s4, 0x8000
	v_and_or_b32 v5, v6, s4, v5
	v_and_b32_e32 v5, 0xffff, v5
	global_store_dword v[2:3], v5, off
.LBB9_915:
	s_mov_b64 s[4:5], 0
.LBB9_916:
	s_andn2_b64 vcc, exec, s[4:5]
	s_cbranch_vccnz .LBB9_925
; %bb.917:
	s_cmp_lt_i32 s8, 6
	s_mov_b64 s[4:5], -1
	s_cbranch_scc1 .LBB9_923
; %bb.918:
	s_cmp_gt_i32 s8, 6
	s_cbranch_scc0 .LBB9_920
; %bb.919:
	buffer_load_dword v5, off, s[0:3], 0 offset:32 ; 4-byte Folded Reload
	buffer_load_dword v6, off, s[0:3], 0 offset:36 ; 4-byte Folded Reload
	;; [unrolled: 1-line block ×4, first 2 shown]
	s_mov_b64 s[4:5], 0
	s_waitcnt vmcnt(2)
	global_store_dwordx2 v[2:3], v[5:6], off
.LBB9_920:
	s_andn2_b64 vcc, exec, s[4:5]
	s_cbranch_vccnz .LBB9_922
; %bb.921:
	buffer_load_dword v5, off, s[0:3], 0 offset:32 ; 4-byte Folded Reload
	buffer_load_dword v6, off, s[0:3], 0 offset:36 ; 4-byte Folded Reload
	;; [unrolled: 1-line block ×4, first 2 shown]
	s_waitcnt vmcnt(2)
	v_cvt_f32_f64_e32 v5, v[5:6]
	global_store_dword v[2:3], v5, off
.LBB9_922:
	s_mov_b64 s[4:5], 0
.LBB9_923:
	s_andn2_b64 vcc, exec, s[4:5]
	s_cbranch_vccnz .LBB9_925
; %bb.924:
	buffer_load_dword v5, off, s[0:3], 0 offset:32 ; 4-byte Folded Reload
	buffer_load_dword v6, off, s[0:3], 0 offset:36 ; 4-byte Folded Reload
	;; [unrolled: 1-line block ×4, first 2 shown]
	s_movk_i32 s4, 0x1ff
	s_waitcnt vmcnt(2)
	v_mov_b32_e32 v10, v6
	v_mov_b32_e32 v9, v5
	v_and_or_b32 v5, v10, s4, v9
	v_cmp_ne_u32_e32 vcc, 0, v5
	v_cndmask_b32_e64 v5, 0, 1, vcc
	v_lshrrev_b32_e32 v6, 8, v10
	s_movk_i32 s4, 0xffe
	s_waitcnt vmcnt(1)
	v_bfe_u32 v7, v10, 20, 11
	v_and_or_b32 v5, v6, s4, v5
	s_waitcnt vmcnt(0)
	v_sub_u32_e32 v8, 0x3f1, v7
	v_or_b32_e32 v6, 0x1000, v5
	v_med3_i32 v8, v8, 0, 13
	v_lshrrev_b32_e32 v9, v8, v6
	v_lshlrev_b32_e32 v8, v8, v9
	v_cmp_ne_u32_e32 vcc, v8, v6
	v_cndmask_b32_e64 v6, 0, 1, vcc
	v_add_u32_e32 v7, 0xfffffc10, v7
	v_or_b32_e32 v6, v9, v6
	v_lshl_or_b32 v8, v7, 12, v5
	v_cmp_gt_i32_e32 vcc, 1, v7
	v_cndmask_b32_e32 v6, v8, v6, vcc
	v_and_b32_e32 v8, 7, v6
	v_cmp_lt_i32_e32 vcc, 5, v8
	v_cndmask_b32_e64 v9, 0, 1, vcc
	v_cmp_eq_u32_e32 vcc, 3, v8
	v_cndmask_b32_e64 v8, 0, 1, vcc
	v_or_b32_e32 v8, v8, v9
	v_lshrrev_b32_e32 v6, 2, v6
	v_add_u32_e32 v6, v6, v8
	v_mov_b32_e32 v8, 0x7c00
	v_cmp_gt_i32_e32 vcc, 31, v7
	v_cndmask_b32_e32 v6, v8, v6, vcc
	v_mov_b32_e32 v9, 0x7e00
	v_cmp_ne_u32_e32 vcc, 0, v5
	s_movk_i32 s4, 0x40f
	v_cndmask_b32_e32 v5, v8, v9, vcc
	v_cmp_eq_u32_e32 vcc, s4, v7
	v_cndmask_b32_e32 v5, v6, v5, vcc
	v_lshrrev_b32_e32 v6, 16, v10
	s_mov_b32 s4, 0x8000
	v_and_or_b32 v5, v6, s4, v5
	global_store_short v[2:3], v5, off
.LBB9_925:
	s_mov_b64 s[4:5], 0
.LBB9_926:
	s_andn2_b64 vcc, exec, s[4:5]
	s_cbranch_vccnz .LBB9_942
; %bb.927:
	s_cmp_lt_i32 s8, 2
	s_mov_b64 s[4:5], -1
	s_cbranch_scc1 .LBB9_937
; %bb.928:
	s_cmp_lt_i32 s8, 3
	s_cbranch_scc1 .LBB9_934
; %bb.929:
	s_cmp_gt_i32 s8, 3
	s_cbranch_scc0 .LBB9_931
; %bb.930:
	buffer_load_dword v5, off, s[0:3], 0 offset:32 ; 4-byte Folded Reload
	buffer_load_dword v6, off, s[0:3], 0 offset:36 ; 4-byte Folded Reload
	;; [unrolled: 1-line block ×4, first 2 shown]
	s_movk_i32 s4, 0xffe0
	s_waitcnt vmcnt(2)
	v_trunc_f64_e32 v[5:6], v[5:6]
	s_waitcnt vmcnt(0)
	v_ldexp_f64 v[7:8], v[5:6], s4
	s_mov_b32 s4, 0
	s_mov_b32 s5, 0xc1f00000
	v_floor_f64_e32 v[7:8], v[7:8]
	v_fma_f64 v[5:6], v[7:8], s[4:5], v[5:6]
	v_cvt_i32_f64_e32 v7, v[7:8]
	s_mov_b64 s[4:5], 0
	v_cvt_u32_f64_e32 v6, v[5:6]
	global_store_dwordx2 v[2:3], v[6:7], off
.LBB9_931:
	s_andn2_b64 vcc, exec, s[4:5]
	s_cbranch_vccnz .LBB9_933
; %bb.932:
	buffer_load_dword v5, off, s[0:3], 0 offset:32 ; 4-byte Folded Reload
	buffer_load_dword v6, off, s[0:3], 0 offset:36 ; 4-byte Folded Reload
	;; [unrolled: 1-line block ×4, first 2 shown]
	s_waitcnt vmcnt(2)
	v_cvt_i32_f64_e32 v5, v[5:6]
	global_store_dword v[2:3], v5, off
.LBB9_933:
	s_mov_b64 s[4:5], 0
.LBB9_934:
	s_andn2_b64 vcc, exec, s[4:5]
	s_cbranch_vccnz .LBB9_936
; %bb.935:
	buffer_load_dword v5, off, s[0:3], 0 offset:32 ; 4-byte Folded Reload
	buffer_load_dword v6, off, s[0:3], 0 offset:36 ; 4-byte Folded Reload
	;; [unrolled: 1-line block ×4, first 2 shown]
	s_waitcnt vmcnt(2)
	v_cvt_i32_f64_e32 v5, v[5:6]
	global_store_short v[2:3], v5, off
.LBB9_936:
	s_mov_b64 s[4:5], 0
.LBB9_937:
	s_andn2_b64 vcc, exec, s[4:5]
	s_cbranch_vccnz .LBB9_942
; %bb.938:
	s_cmp_gt_i32 s8, 0
	s_mov_b64 s[4:5], -1
	s_cbranch_scc0 .LBB9_940
; %bb.939:
	buffer_load_dword v5, off, s[0:3], 0 offset:32 ; 4-byte Folded Reload
	buffer_load_dword v6, off, s[0:3], 0 offset:36 ; 4-byte Folded Reload
	;; [unrolled: 1-line block ×4, first 2 shown]
	s_mov_b64 s[4:5], 0
	s_waitcnt vmcnt(2)
	v_cvt_i32_f64_e32 v5, v[5:6]
	global_store_byte v[2:3], v5, off
.LBB9_940:
	s_andn2_b64 vcc, exec, s[4:5]
	s_cbranch_vccnz .LBB9_942
; %bb.941:
	buffer_load_dword v5, off, s[0:3], 0 offset:32 ; 4-byte Folded Reload
	buffer_load_dword v6, off, s[0:3], 0 offset:36 ; 4-byte Folded Reload
	;; [unrolled: 1-line block ×4, first 2 shown]
	s_movk_i32 s4, 0xffe0
	s_waitcnt vmcnt(2)
	v_trunc_f64_e32 v[5:6], v[5:6]
	s_waitcnt vmcnt(0)
	v_ldexp_f64 v[7:8], v[5:6], s4
	s_mov_b32 s4, 0
	s_mov_b32 s5, 0xc1f00000
	v_floor_f64_e32 v[7:8], v[7:8]
	v_fma_f64 v[5:6], v[7:8], s[4:5], v[5:6]
	v_cvt_u32_f64_e32 v5, v[5:6]
	global_store_byte v[2:3], v5, off
.LBB9_942:
	s_branch .LBB9_828
.LBB9_943:
	s_mov_b64 s[4:5], 0
	s_mov_b64 s[8:9], 0
                                        ; implicit-def: $sgpr16
                                        ; implicit-def: $vgpr4_vgpr5
.LBB9_944:
	s_and_b64 s[46:47], s[8:9], exec
	s_andn2_b64 s[8:9], s[50:51], exec
	s_and_b64 s[6:7], s[6:7], exec
	s_and_b64 s[4:5], s[4:5], exec
	s_or_b64 s[50:51], s[8:9], s[6:7]
.LBB9_945:
	s_or_b64 exec, exec, s[48:49]
	s_and_saveexec_b64 s[6:7], s[50:51]
	s_cbranch_execz .LBB9_948
; %bb.946:
	; divergent unreachable
	s_or_b64 exec, exec, s[6:7]
	s_and_saveexec_b64 s[6:7], s[46:47]
	s_xor_b64 s[6:7], exec, s[6:7]
	s_cbranch_execnz .LBB9_949
.LBB9_947:
	s_or_b64 exec, exec, s[6:7]
	s_and_saveexec_b64 s[6:7], s[4:5]
	s_cbranch_execnz .LBB9_950
	s_branch .LBB9_987
.LBB9_948:
	s_or_b64 exec, exec, s[6:7]
	s_and_saveexec_b64 s[6:7], s[46:47]
	s_xor_b64 s[6:7], exec, s[6:7]
	s_cbranch_execz .LBB9_947
.LBB9_949:
	v_cmp_neq_f64_e32 vcc, 0, v[0:1]
	v_cndmask_b32_e64 v2, 0, 1, vcc
	global_store_byte v[4:5], v2, off
	s_or_b64 exec, exec, s[6:7]
	s_and_saveexec_b64 s[6:7], s[4:5]
	s_cbranch_execz .LBB9_987
.LBB9_950:
	s_sext_i32_i16 s6, s16
	s_cmp_lt_i32 s6, 5
	s_mov_b64 s[4:5], -1
	s_cbranch_scc1 .LBB9_971
; %bb.951:
	s_cmp_lt_i32 s6, 8
	s_cbranch_scc1 .LBB9_961
; %bb.952:
	s_cmp_lt_i32 s6, 9
	s_cbranch_scc1 .LBB9_958
; %bb.953:
	s_cmp_gt_i32 s6, 9
	s_cbranch_scc0 .LBB9_955
; %bb.954:
	v_mov_b32_e32 v2, 0
	v_mov_b32_e32 v3, v2
	global_store_dwordx4 v[4:5], v[0:3], off
	s_mov_b64 s[4:5], 0
.LBB9_955:
	s_andn2_b64 vcc, exec, s[4:5]
	s_cbranch_vccnz .LBB9_957
; %bb.956:
	v_cvt_f32_f64_e32 v2, v[0:1]
	v_mov_b32_e32 v3, 0
	global_store_dwordx2 v[4:5], v[2:3], off
.LBB9_957:
	s_mov_b64 s[4:5], 0
.LBB9_958:
	s_andn2_b64 vcc, exec, s[4:5]
	s_cbranch_vccnz .LBB9_960
; %bb.959:
	s_movk_i32 s4, 0x1ff
	v_and_or_b32 v2, v1, s4, v0
	v_cmp_ne_u32_e32 vcc, 0, v2
	v_cndmask_b32_e64 v2, 0, 1, vcc
	v_lshrrev_b32_e32 v3, 8, v1
	s_movk_i32 s4, 0xffe
	v_bfe_u32 v6, v1, 20, 11
	v_and_or_b32 v2, v3, s4, v2
	s_waitcnt vmcnt(1)
	v_sub_u32_e32 v7, 0x3f1, v6
	v_or_b32_e32 v3, 0x1000, v2
	v_med3_i32 v7, v7, 0, 13
	s_waitcnt vmcnt(0)
	v_lshrrev_b32_e32 v8, v7, v3
	v_lshlrev_b32_e32 v7, v7, v8
	v_cmp_ne_u32_e32 vcc, v7, v3
	v_cndmask_b32_e64 v3, 0, 1, vcc
	v_add_u32_e32 v6, 0xfffffc10, v6
	v_or_b32_e32 v3, v8, v3
	v_lshl_or_b32 v7, v6, 12, v2
	v_cmp_gt_i32_e32 vcc, 1, v6
	v_cndmask_b32_e32 v3, v7, v3, vcc
	v_and_b32_e32 v7, 7, v3
	v_cmp_lt_i32_e32 vcc, 5, v7
	v_cndmask_b32_e64 v8, 0, 1, vcc
	v_cmp_eq_u32_e32 vcc, 3, v7
	v_cndmask_b32_e64 v7, 0, 1, vcc
	v_or_b32_e32 v7, v7, v8
	v_lshrrev_b32_e32 v3, 2, v3
	v_add_u32_e32 v3, v3, v7
	v_mov_b32_e32 v7, 0x7c00
	v_cmp_gt_i32_e32 vcc, 31, v6
	v_cndmask_b32_e32 v3, v7, v3, vcc
	v_mov_b32_e32 v8, 0x7e00
	v_cmp_ne_u32_e32 vcc, 0, v2
	s_movk_i32 s4, 0x40f
	v_cndmask_b32_e32 v2, v7, v8, vcc
	v_cmp_eq_u32_e32 vcc, s4, v6
	v_cndmask_b32_e32 v2, v3, v2, vcc
	v_lshrrev_b32_e32 v3, 16, v1
	s_mov_b32 s4, 0x8000
	v_and_or_b32 v2, v3, s4, v2
	v_and_b32_e32 v2, 0xffff, v2
	global_store_dword v[4:5], v2, off
.LBB9_960:
	s_mov_b64 s[4:5], 0
.LBB9_961:
	s_andn2_b64 vcc, exec, s[4:5]
	s_cbranch_vccnz .LBB9_970
; %bb.962:
	s_sext_i32_i16 s6, s16
	s_cmp_lt_i32 s6, 6
	s_mov_b64 s[4:5], -1
	s_cbranch_scc1 .LBB9_968
; %bb.963:
	s_cmp_gt_i32 s6, 6
	s_cbranch_scc0 .LBB9_965
; %bb.964:
	global_store_dwordx2 v[4:5], v[0:1], off
	s_mov_b64 s[4:5], 0
.LBB9_965:
	s_andn2_b64 vcc, exec, s[4:5]
	s_cbranch_vccnz .LBB9_967
; %bb.966:
	v_cvt_f32_f64_e32 v2, v[0:1]
	global_store_dword v[4:5], v2, off
.LBB9_967:
	s_mov_b64 s[4:5], 0
.LBB9_968:
	s_andn2_b64 vcc, exec, s[4:5]
	s_cbranch_vccnz .LBB9_970
; %bb.969:
	s_movk_i32 s4, 0x1ff
	v_and_or_b32 v2, v1, s4, v0
	v_cmp_ne_u32_e32 vcc, 0, v2
	v_cndmask_b32_e64 v2, 0, 1, vcc
	v_lshrrev_b32_e32 v3, 8, v1
	s_movk_i32 s4, 0xffe
	v_bfe_u32 v6, v1, 20, 11
	v_and_or_b32 v2, v3, s4, v2
	s_waitcnt vmcnt(1)
	v_sub_u32_e32 v7, 0x3f1, v6
	v_or_b32_e32 v3, 0x1000, v2
	v_med3_i32 v7, v7, 0, 13
	s_waitcnt vmcnt(0)
	v_lshrrev_b32_e32 v8, v7, v3
	v_lshlrev_b32_e32 v7, v7, v8
	v_cmp_ne_u32_e32 vcc, v7, v3
	v_cndmask_b32_e64 v3, 0, 1, vcc
	v_add_u32_e32 v6, 0xfffffc10, v6
	v_or_b32_e32 v3, v8, v3
	v_lshl_or_b32 v7, v6, 12, v2
	v_cmp_gt_i32_e32 vcc, 1, v6
	v_cndmask_b32_e32 v3, v7, v3, vcc
	v_and_b32_e32 v7, 7, v3
	v_cmp_lt_i32_e32 vcc, 5, v7
	v_cndmask_b32_e64 v8, 0, 1, vcc
	v_cmp_eq_u32_e32 vcc, 3, v7
	v_cndmask_b32_e64 v7, 0, 1, vcc
	v_or_b32_e32 v7, v7, v8
	v_lshrrev_b32_e32 v3, 2, v3
	v_add_u32_e32 v3, v3, v7
	v_mov_b32_e32 v7, 0x7c00
	v_cmp_gt_i32_e32 vcc, 31, v6
	v_cndmask_b32_e32 v3, v7, v3, vcc
	v_mov_b32_e32 v8, 0x7e00
	v_cmp_ne_u32_e32 vcc, 0, v2
	s_movk_i32 s4, 0x40f
	v_cndmask_b32_e32 v2, v7, v8, vcc
	v_cmp_eq_u32_e32 vcc, s4, v6
	v_cndmask_b32_e32 v2, v3, v2, vcc
	v_lshrrev_b32_e32 v3, 16, v1
	s_mov_b32 s4, 0x8000
	v_and_or_b32 v2, v3, s4, v2
	global_store_short v[4:5], v2, off
.LBB9_970:
	s_mov_b64 s[4:5], 0
.LBB9_971:
	s_andn2_b64 vcc, exec, s[4:5]
	s_cbranch_vccnz .LBB9_987
; %bb.972:
	s_sext_i32_i16 s6, s16
	s_cmp_lt_i32 s6, 2
	s_mov_b64 s[4:5], -1
	s_cbranch_scc1 .LBB9_982
; %bb.973:
	s_cmp_lt_i32 s6, 3
	s_cbranch_scc1 .LBB9_979
; %bb.974:
	s_cmp_gt_i32 s6, 3
	s_cbranch_scc0 .LBB9_976
; %bb.975:
	v_trunc_f64_e32 v[2:3], v[0:1]
	s_movk_i32 s4, 0xffe0
	s_waitcnt vmcnt(1)
	v_ldexp_f64 v[6:7], v[2:3], s4
	s_mov_b32 s4, 0
	s_mov_b32 s5, 0xc1f00000
	v_floor_f64_e32 v[6:7], v[6:7]
	v_fma_f64 v[2:3], v[6:7], s[4:5], v[2:3]
	v_cvt_i32_f64_e32 v7, v[6:7]
	s_mov_b64 s[4:5], 0
	v_cvt_u32_f64_e32 v6, v[2:3]
	global_store_dwordx2 v[4:5], v[6:7], off
.LBB9_976:
	s_andn2_b64 vcc, exec, s[4:5]
	s_cbranch_vccnz .LBB9_978
; %bb.977:
	v_cvt_i32_f64_e32 v2, v[0:1]
	global_store_dword v[4:5], v2, off
.LBB9_978:
	s_mov_b64 s[4:5], 0
.LBB9_979:
	s_andn2_b64 vcc, exec, s[4:5]
	s_cbranch_vccnz .LBB9_981
; %bb.980:
	v_cvt_i32_f64_e32 v2, v[0:1]
	global_store_short v[4:5], v2, off
.LBB9_981:
	s_mov_b64 s[4:5], 0
.LBB9_982:
	s_andn2_b64 vcc, exec, s[4:5]
	s_cbranch_vccnz .LBB9_987
; %bb.983:
	s_sext_i32_i16 s4, s16
	s_cmp_gt_i32 s4, 0
	s_mov_b64 s[4:5], -1
	s_cbranch_scc0 .LBB9_985
; %bb.984:
	v_cvt_i32_f64_e32 v2, v[0:1]
	s_mov_b64 s[4:5], 0
	global_store_byte v[4:5], v2, off
.LBB9_985:
	s_andn2_b64 vcc, exec, s[4:5]
	s_cbranch_vccnz .LBB9_987
; %bb.986:
	v_trunc_f64_e32 v[0:1], v[0:1]
	s_movk_i32 s4, 0xffe0
	v_ldexp_f64 v[2:3], v[0:1], s4
	s_mov_b32 s4, 0
	s_mov_b32 s5, 0xc1f00000
	v_floor_f64_e32 v[2:3], v[2:3]
	v_fma_f64 v[0:1], v[2:3], s[4:5], v[0:1]
	v_cvt_u32_f64_e32 v0, v[0:1]
	global_store_byte v[4:5], v0, off
	s_endpgm
.LBB9_987:
	s_endpgm
.LBB9_988:
	s_mov_b64 s[8:9], 0
	s_mov_b64 s[4:5], -1
	s_branch .LBB9_944
.LBB9_989:
	s_andn2_saveexec_b64 s[12:13], s[12:13]
	s_cbranch_execz .LBB9_541
.LBB9_990:
	s_mov_b32 s15, 0x46000000
	v_add_f32_e64 v6, |v5|, s15
	v_and_b32_e32 v6, 0xff, v6
	v_cmp_ne_u32_e32 vcc, 0, v6
	s_andn2_b64 s[10:11], s[10:11], exec
	s_and_b64 s[18:19], vcc, exec
	s_or_b64 s[10:11], s[10:11], s[18:19]
	s_or_b64 exec, exec, s[12:13]
	v_mov_b32_e32 v7, 0
	s_and_saveexec_b64 s[12:13], s[10:11]
	s_cbranch_execnz .LBB9_542
	s_branch .LBB9_543
.LBB9_991:
	s_or_b64 s[6:7], s[50:51], exec
	s_trap 2
	s_cbranch_execz .LBB9_589
	s_branch .LBB9_590
.LBB9_992:
	s_andn2_saveexec_b64 s[10:11], s[10:11]
	s_cbranch_execz .LBB9_554
.LBB9_993:
	s_mov_b32 s12, 0x42800000
	v_add_f32_e64 v6, |v5|, s12
	v_and_b32_e32 v6, 0xff, v6
	v_cmp_ne_u32_e32 vcc, 0, v6
	s_andn2_b64 s[8:9], s[8:9], exec
	s_and_b64 s[12:13], vcc, exec
	s_or_b64 s[8:9], s[8:9], s[12:13]
	s_or_b64 exec, exec, s[10:11]
	v_mov_b32_e32 v7, 0
	s_and_saveexec_b64 s[10:11], s[8:9]
	s_cbranch_execnz .LBB9_555
	s_branch .LBB9_556
.LBB9_994:
	s_andn2_saveexec_b64 s[14:15], s[14:15]
	s_cbranch_execz .LBB9_659
.LBB9_995:
	s_mov_b32 s19, 0x46000000
	v_add_f32_e64 v6, |v5|, s19
	v_and_b32_e32 v6, 0xff, v6
	v_cmp_ne_u32_e32 vcc, 0, v6
	s_andn2_b64 s[12:13], s[12:13], exec
	s_and_b64 s[20:21], vcc, exec
	s_or_b64 s[12:13], s[12:13], s[20:21]
	s_or_b64 exec, exec, s[14:15]
	v_mov_b32_e32 v7, 0
	s_and_saveexec_b64 s[14:15], s[12:13]
	s_cbranch_execnz .LBB9_660
	s_branch .LBB9_661
.LBB9_996:
	s_trap 2
	s_or_b64 s[6:7], s[6:7], exec
	s_cbranch_execz .LBB9_707
	s_branch .LBB9_708
.LBB9_997:
	s_andn2_saveexec_b64 s[12:13], s[12:13]
	s_cbranch_execz .LBB9_672
.LBB9_998:
	s_mov_b32 s14, 0x42800000
	v_add_f32_e64 v6, |v5|, s14
	v_and_b32_e32 v6, 0xff, v6
	v_cmp_ne_u32_e32 vcc, 0, v6
	s_andn2_b64 s[10:11], s[10:11], exec
	s_and_b64 s[14:15], vcc, exec
	s_or_b64 s[10:11], s[10:11], s[14:15]
	s_or_b64 exec, exec, s[12:13]
	v_mov_b32_e32 v7, 0
	s_and_saveexec_b64 s[12:13], s[10:11]
	s_cbranch_execnz .LBB9_673
	s_branch .LBB9_674
.LBB9_999:
	s_andn2_saveexec_b64 s[14:15], s[14:15]
	s_cbranch_execz .LBB9_777
.LBB9_1000:
	s_mov_b32 s19, 0x46000000
	v_add_f32_e64 v6, |v5|, s19
	v_and_b32_e32 v6, 0xff, v6
	v_cmp_ne_u32_e32 vcc, 0, v6
	s_andn2_b64 s[12:13], s[12:13], exec
	s_and_b64 s[20:21], vcc, exec
	s_or_b64 s[12:13], s[12:13], s[20:21]
	s_or_b64 exec, exec, s[14:15]
	v_mov_b32_e32 v7, 0
	s_and_saveexec_b64 s[14:15], s[12:13]
	s_cbranch_execnz .LBB9_778
	s_branch .LBB9_779
.LBB9_1001:
	s_trap 2
	s_or_b64 s[6:7], s[6:7], exec
	s_cbranch_execz .LBB9_825
	s_branch .LBB9_826
.LBB9_1002:
	s_andn2_saveexec_b64 s[12:13], s[12:13]
	s_cbranch_execz .LBB9_790
.LBB9_1003:
	s_mov_b32 s14, 0x42800000
	v_add_f32_e64 v6, |v5|, s14
	v_and_b32_e32 v6, 0xff, v6
	v_cmp_ne_u32_e32 vcc, 0, v6
	s_andn2_b64 s[10:11], s[10:11], exec
	s_and_b64 s[14:15], vcc, exec
	s_or_b64 s[10:11], s[10:11], s[14:15]
	s_or_b64 exec, exec, s[12:13]
	v_mov_b32_e32 v7, 0
	s_and_saveexec_b64 s[12:13], s[10:11]
	s_cbranch_execnz .LBB9_791
	s_branch .LBB9_792
.LBB9_1004:
	s_andn2_saveexec_b64 s[14:15], s[14:15]
	s_cbranch_execz .LBB9_857
.LBB9_1005:
	s_mov_b32 s18, 0x46000000
	v_add_f32_e64 v3, |v2|, s18
	v_and_b32_e32 v3, 0xff, v3
	v_cmp_ne_u32_e32 vcc, 0, v3
	s_andn2_b64 s[12:13], s[12:13], exec
	s_and_b64 s[18:19], vcc, exec
	s_or_b64 s[12:13], s[12:13], s[18:19]
	s_or_b64 exec, exec, s[14:15]
	v_mov_b32_e32 v6, 0
	s_and_saveexec_b64 s[14:15], s[12:13]
	s_cbranch_execnz .LBB9_858
	s_branch .LBB9_859
.LBB9_1006:
	s_mov_b64 s[8:9], 0
	s_or_b64 s[6:7], s[6:7], exec
	s_trap 2
	s_branch .LBB9_903
.LBB9_1007:
	s_andn2_saveexec_b64 s[10:11], s[10:11]
	s_cbranch_execz .LBB9_422
.LBB9_1008:
	s_mov_b32 s12, 0x46000000
	v_add_f32_e64 v3, |v2|, s12
	v_and_b32_e32 v3, 0xff, v3
	v_cmp_ne_u32_e32 vcc, 0, v3
	s_andn2_b64 s[8:9], s[8:9], exec
	s_and_b64 s[12:13], vcc, exec
	s_or_b64 s[8:9], s[8:9], s[12:13]
	s_or_b64 exec, exec, s[10:11]
	v_mov_b32_e32 v6, 0
	s_and_saveexec_b64 s[10:11], s[8:9]
	s_cbranch_execnz .LBB9_423
	s_branch .LBB9_424
.LBB9_1009:
	s_andn2_saveexec_b64 s[12:13], s[12:13]
	s_cbranch_execz .LBB9_869
.LBB9_1010:
	s_mov_b32 s14, 0x42800000
	v_add_f32_e64 v3, |v2|, s14
	v_and_b32_e32 v3, 0xff, v3
	v_cmp_ne_u32_e32 vcc, 0, v3
	s_andn2_b64 s[10:11], s[10:11], exec
	s_and_b64 s[14:15], vcc, exec
	s_or_b64 s[10:11], s[10:11], s[14:15]
	s_or_b64 exec, exec, s[12:13]
	v_mov_b32_e32 v6, 0
	s_and_saveexec_b64 s[12:13], s[10:11]
	s_cbranch_execnz .LBB9_870
	s_branch .LBB9_871
.LBB9_1011:
	s_andn2_saveexec_b64 s[12:13], s[12:13]
	s_cbranch_execz .LBB9_434
.LBB9_1012:
	s_mov_b32 s16, 0x42800000
	v_add_f32_e64 v3, |v2|, s16
	v_and_b32_e32 v3, 0xff, v3
	v_cmp_ne_u32_e32 vcc, 0, v3
	s_andn2_b64 s[10:11], s[10:11], exec
	s_and_b64 s[16:17], vcc, exec
	s_or_b64 s[10:11], s[10:11], s[16:17]
	s_or_b64 exec, exec, s[12:13]
	v_mov_b32_e32 v6, 0
	s_and_saveexec_b64 s[12:13], s[10:11]
	s_cbranch_execnz .LBB9_435
	s_branch .LBB9_436
	.section	.rodata,"a",@progbits
	.p2align	6, 0x0
	.amdhsa_kernel _ZN2at6native32elementwise_kernel_manual_unrollILi128ELi4EZNS0_15gpu_kernel_implIZZZNS0_12_GLOBAL__N_121bessel_j0_kernel_cudaERNS_18TensorIteratorBaseEENKUlvE_clEvENKUlvE_clEvEUldE_EEvS5_RKT_EUlibE_EEviT1_
		.amdhsa_group_segment_fixed_size 0
		.amdhsa_private_segment_fixed_size 124
		.amdhsa_kernarg_size 40
		.amdhsa_user_sgpr_count 6
		.amdhsa_user_sgpr_private_segment_buffer 1
		.amdhsa_user_sgpr_dispatch_ptr 0
		.amdhsa_user_sgpr_queue_ptr 0
		.amdhsa_user_sgpr_kernarg_segment_ptr 1
		.amdhsa_user_sgpr_dispatch_id 0
		.amdhsa_user_sgpr_flat_scratch_init 0
		.amdhsa_user_sgpr_private_segment_size 0
		.amdhsa_uses_dynamic_stack 0
		.amdhsa_system_sgpr_private_segment_wavefront_offset 1
		.amdhsa_system_sgpr_workgroup_id_x 1
		.amdhsa_system_sgpr_workgroup_id_y 0
		.amdhsa_system_sgpr_workgroup_id_z 0
		.amdhsa_system_sgpr_workgroup_info 0
		.amdhsa_system_vgpr_workitem_id 0
		.amdhsa_next_free_vgpr 62
		.amdhsa_next_free_sgpr 64
		.amdhsa_reserve_vcc 1
		.amdhsa_reserve_flat_scratch 0
		.amdhsa_float_round_mode_32 0
		.amdhsa_float_round_mode_16_64 0
		.amdhsa_float_denorm_mode_32 3
		.amdhsa_float_denorm_mode_16_64 3
		.amdhsa_dx10_clamp 1
		.amdhsa_ieee_mode 1
		.amdhsa_fp16_overflow 0
		.amdhsa_exception_fp_ieee_invalid_op 0
		.amdhsa_exception_fp_denorm_src 0
		.amdhsa_exception_fp_ieee_div_zero 0
		.amdhsa_exception_fp_ieee_overflow 0
		.amdhsa_exception_fp_ieee_underflow 0
		.amdhsa_exception_fp_ieee_inexact 0
		.amdhsa_exception_int_div_zero 0
	.end_amdhsa_kernel
	.section	.text._ZN2at6native32elementwise_kernel_manual_unrollILi128ELi4EZNS0_15gpu_kernel_implIZZZNS0_12_GLOBAL__N_121bessel_j0_kernel_cudaERNS_18TensorIteratorBaseEENKUlvE_clEvENKUlvE_clEvEUldE_EEvS5_RKT_EUlibE_EEviT1_,"axG",@progbits,_ZN2at6native32elementwise_kernel_manual_unrollILi128ELi4EZNS0_15gpu_kernel_implIZZZNS0_12_GLOBAL__N_121bessel_j0_kernel_cudaERNS_18TensorIteratorBaseEENKUlvE_clEvENKUlvE_clEvEUldE_EEvS5_RKT_EUlibE_EEviT1_,comdat
.Lfunc_end9:
	.size	_ZN2at6native32elementwise_kernel_manual_unrollILi128ELi4EZNS0_15gpu_kernel_implIZZZNS0_12_GLOBAL__N_121bessel_j0_kernel_cudaERNS_18TensorIteratorBaseEENKUlvE_clEvENKUlvE_clEvEUldE_EEvS5_RKT_EUlibE_EEviT1_, .Lfunc_end9-_ZN2at6native32elementwise_kernel_manual_unrollILi128ELi4EZNS0_15gpu_kernel_implIZZZNS0_12_GLOBAL__N_121bessel_j0_kernel_cudaERNS_18TensorIteratorBaseEENKUlvE_clEvENKUlvE_clEvEUldE_EEvS5_RKT_EUlibE_EEviT1_
                                        ; -- End function
	.set _ZN2at6native32elementwise_kernel_manual_unrollILi128ELi4EZNS0_15gpu_kernel_implIZZZNS0_12_GLOBAL__N_121bessel_j0_kernel_cudaERNS_18TensorIteratorBaseEENKUlvE_clEvENKUlvE_clEvEUldE_EEvS5_RKT_EUlibE_EEviT1_.num_vgpr, max(45, .L_ZN2at6native6invokeIZZZNS0_12_GLOBAL__N_121bessel_j0_kernel_cudaERNS_18TensorIteratorBaseEENKUlvE_clEvENKUlvE_clEvEUldE_i15function_traitsIS7_EEENT1_11result_typeERKT_PrKPcPKT0_PKN3c1010ScalarTypeEi.num_vgpr)
	.set _ZN2at6native32elementwise_kernel_manual_unrollILi128ELi4EZNS0_15gpu_kernel_implIZZZNS0_12_GLOBAL__N_121bessel_j0_kernel_cudaERNS_18TensorIteratorBaseEENKUlvE_clEvENKUlvE_clEvEUldE_EEvS5_RKT_EUlibE_EEviT1_.num_agpr, max(0, .L_ZN2at6native6invokeIZZZNS0_12_GLOBAL__N_121bessel_j0_kernel_cudaERNS_18TensorIteratorBaseEENKUlvE_clEvENKUlvE_clEvEUldE_i15function_traitsIS7_EEENT1_11result_typeERKT_PrKPcPKT0_PKN3c1010ScalarTypeEi.num_agpr)
	.set _ZN2at6native32elementwise_kernel_manual_unrollILi128ELi4EZNS0_15gpu_kernel_implIZZZNS0_12_GLOBAL__N_121bessel_j0_kernel_cudaERNS_18TensorIteratorBaseEENKUlvE_clEvENKUlvE_clEvEUldE_EEvS5_RKT_EUlibE_EEviT1_.numbered_sgpr, max(64, .L_ZN2at6native6invokeIZZZNS0_12_GLOBAL__N_121bessel_j0_kernel_cudaERNS_18TensorIteratorBaseEENKUlvE_clEvENKUlvE_clEvEUldE_i15function_traitsIS7_EEENT1_11result_typeERKT_PrKPcPKT0_PKN3c1010ScalarTypeEi.numbered_sgpr)
	.set _ZN2at6native32elementwise_kernel_manual_unrollILi128ELi4EZNS0_15gpu_kernel_implIZZZNS0_12_GLOBAL__N_121bessel_j0_kernel_cudaERNS_18TensorIteratorBaseEENKUlvE_clEvENKUlvE_clEvEUldE_EEvS5_RKT_EUlibE_EEviT1_.num_named_barrier, max(0, .L_ZN2at6native6invokeIZZZNS0_12_GLOBAL__N_121bessel_j0_kernel_cudaERNS_18TensorIteratorBaseEENKUlvE_clEvENKUlvE_clEvEUldE_i15function_traitsIS7_EEENT1_11result_typeERKT_PrKPcPKT0_PKN3c1010ScalarTypeEi.num_named_barrier)
	.set _ZN2at6native32elementwise_kernel_manual_unrollILi128ELi4EZNS0_15gpu_kernel_implIZZZNS0_12_GLOBAL__N_121bessel_j0_kernel_cudaERNS_18TensorIteratorBaseEENKUlvE_clEvENKUlvE_clEvEUldE_EEvS5_RKT_EUlibE_EEviT1_.private_seg_size, 64+max(.L_ZN2at6native6invokeIZZZNS0_12_GLOBAL__N_121bessel_j0_kernel_cudaERNS_18TensorIteratorBaseEENKUlvE_clEvENKUlvE_clEvEUldE_i15function_traitsIS7_EEENT1_11result_typeERKT_PrKPcPKT0_PKN3c1010ScalarTypeEi.private_seg_size)
	.set _ZN2at6native32elementwise_kernel_manual_unrollILi128ELi4EZNS0_15gpu_kernel_implIZZZNS0_12_GLOBAL__N_121bessel_j0_kernel_cudaERNS_18TensorIteratorBaseEENKUlvE_clEvENKUlvE_clEvEUldE_EEvS5_RKT_EUlibE_EEviT1_.uses_vcc, or(1, .L_ZN2at6native6invokeIZZZNS0_12_GLOBAL__N_121bessel_j0_kernel_cudaERNS_18TensorIteratorBaseEENKUlvE_clEvENKUlvE_clEvEUldE_i15function_traitsIS7_EEENT1_11result_typeERKT_PrKPcPKT0_PKN3c1010ScalarTypeEi.uses_vcc)
	.set _ZN2at6native32elementwise_kernel_manual_unrollILi128ELi4EZNS0_15gpu_kernel_implIZZZNS0_12_GLOBAL__N_121bessel_j0_kernel_cudaERNS_18TensorIteratorBaseEENKUlvE_clEvENKUlvE_clEvEUldE_EEvS5_RKT_EUlibE_EEviT1_.uses_flat_scratch, or(0, .L_ZN2at6native6invokeIZZZNS0_12_GLOBAL__N_121bessel_j0_kernel_cudaERNS_18TensorIteratorBaseEENKUlvE_clEvENKUlvE_clEvEUldE_i15function_traitsIS7_EEENT1_11result_typeERKT_PrKPcPKT0_PKN3c1010ScalarTypeEi.uses_flat_scratch)
	.set _ZN2at6native32elementwise_kernel_manual_unrollILi128ELi4EZNS0_15gpu_kernel_implIZZZNS0_12_GLOBAL__N_121bessel_j0_kernel_cudaERNS_18TensorIteratorBaseEENKUlvE_clEvENKUlvE_clEvEUldE_EEvS5_RKT_EUlibE_EEviT1_.has_dyn_sized_stack, or(0, .L_ZN2at6native6invokeIZZZNS0_12_GLOBAL__N_121bessel_j0_kernel_cudaERNS_18TensorIteratorBaseEENKUlvE_clEvENKUlvE_clEvEUldE_i15function_traitsIS7_EEENT1_11result_typeERKT_PrKPcPKT0_PKN3c1010ScalarTypeEi.has_dyn_sized_stack)
	.set _ZN2at6native32elementwise_kernel_manual_unrollILi128ELi4EZNS0_15gpu_kernel_implIZZZNS0_12_GLOBAL__N_121bessel_j0_kernel_cudaERNS_18TensorIteratorBaseEENKUlvE_clEvENKUlvE_clEvEUldE_EEvS5_RKT_EUlibE_EEviT1_.has_recursion, or(0, .L_ZN2at6native6invokeIZZZNS0_12_GLOBAL__N_121bessel_j0_kernel_cudaERNS_18TensorIteratorBaseEENKUlvE_clEvENKUlvE_clEvEUldE_i15function_traitsIS7_EEENT1_11result_typeERKT_PrKPcPKT0_PKN3c1010ScalarTypeEi.has_recursion)
	.set _ZN2at6native32elementwise_kernel_manual_unrollILi128ELi4EZNS0_15gpu_kernel_implIZZZNS0_12_GLOBAL__N_121bessel_j0_kernel_cudaERNS_18TensorIteratorBaseEENKUlvE_clEvENKUlvE_clEvEUldE_EEvS5_RKT_EUlibE_EEviT1_.has_indirect_call, or(0, .L_ZN2at6native6invokeIZZZNS0_12_GLOBAL__N_121bessel_j0_kernel_cudaERNS_18TensorIteratorBaseEENKUlvE_clEvENKUlvE_clEvEUldE_i15function_traitsIS7_EEENT1_11result_typeERKT_PrKPcPKT0_PKN3c1010ScalarTypeEi.has_indirect_call)
	.section	.AMDGPU.csdata,"",@progbits
; Kernel info:
; codeLenInByte = 22680
; TotalNumSgprs: 68
; NumVgprs: 62
; ScratchSize: 124
; MemoryBound: 0
; FloatMode: 240
; IeeeMode: 1
; LDSByteSize: 0 bytes/workgroup (compile time only)
; SGPRBlocks: 8
; VGPRBlocks: 15
; NumSGPRsForWavesPerEU: 68
; NumVGPRsForWavesPerEU: 62
; Occupancy: 4
; WaveLimiterHint : 0
; COMPUTE_PGM_RSRC2:SCRATCH_EN: 1
; COMPUTE_PGM_RSRC2:USER_SGPR: 6
; COMPUTE_PGM_RSRC2:TRAP_HANDLER: 0
; COMPUTE_PGM_RSRC2:TGID_X_EN: 1
; COMPUTE_PGM_RSRC2:TGID_Y_EN: 0
; COMPUTE_PGM_RSRC2:TGID_Z_EN: 0
; COMPUTE_PGM_RSRC2:TIDIG_COMP_CNT: 0
	.text
	.p2align	2                               ; -- Begin function _ZN2at6native6invokeIZZZNS0_12_GLOBAL__N_121bessel_j0_kernel_cudaERNS_18TensorIteratorBaseEENKUlvE_clEvENKUlvE_clEvEUldE_j15function_traitsIS7_EEENT1_11result_typeERKT_PrKPcPKT0_PKN3c1010ScalarTypeEi
	.type	_ZN2at6native6invokeIZZZNS0_12_GLOBAL__N_121bessel_j0_kernel_cudaERNS_18TensorIteratorBaseEENKUlvE_clEvENKUlvE_clEvEUldE_j15function_traitsIS7_EEENT1_11result_typeERKT_PrKPcPKT0_PKN3c1010ScalarTypeEi,@function
_ZN2at6native6invokeIZZZNS0_12_GLOBAL__N_121bessel_j0_kernel_cudaERNS_18TensorIteratorBaseEENKUlvE_clEvENKUlvE_clEvEUldE_j15function_traitsIS7_EEENT1_11result_typeERKT_PrKPcPKT0_PKN3c1010ScalarTypeEi: ; @_ZN2at6native6invokeIZZZNS0_12_GLOBAL__N_121bessel_j0_kernel_cudaERNS_18TensorIteratorBaseEENKUlvE_clEvENKUlvE_clEvEUldE_j15function_traitsIS7_EEENT1_11result_typeERKT_PrKPcPKT0_PKN3c1010ScalarTypeEi
; %bb.0:
	s_waitcnt vmcnt(0) expcnt(0) lgkmcnt(0)
	buffer_store_dword v40, off, s[0:3], s32 offset:52 ; 4-byte Folded Spill
	buffer_store_dword v41, off, s[0:3], s32 offset:48 ; 4-byte Folded Spill
	;; [unrolled: 1-line block ×13, first 2 shown]
	buffer_store_dword v61, off, s[0:3], s32 ; 4-byte Folded Spill
	v_add_co_u32_e32 v0, vcc, v0, v2
	v_mov_b32_e32 v2, 10
	v_addc_co_u32_e32 v1, vcc, 0, v1, vcc
	v_cmp_gt_i16_sdwa s[4:5], v3, v2 src0_sel:BYTE_0 src1_sel:DWORD
	s_mov_b64 s[6:7], 0
                                        ; implicit-def: $vgpr4_vgpr5
	s_and_saveexec_b64 s[8:9], s[4:5]
	s_xor_b64 s[4:5], exec, s[8:9]
	s_cbranch_execz .LBB10_42
; %bb.1:
	v_mov_b32_e32 v2, 25
	v_cmp_gt_i16_sdwa s[10:11], v3, v2 src0_sel:BYTE_0 src1_sel:DWORD
	s_mov_b64 s[12:13], 0
	s_mov_b64 s[8:9], 0
                                        ; implicit-def: $vgpr4_vgpr5
	s_and_saveexec_b64 s[14:15], s[10:11]
	s_xor_b64 s[10:11], exec, s[14:15]
	s_cbranch_execz .LBB10_93
; %bb.2:
	v_mov_b32_e32 v2, 28
	v_cmp_gt_i16_sdwa s[8:9], v3, v2 src0_sel:BYTE_0 src1_sel:DWORD
	s_mov_b64 s[14:15], 0
                                        ; implicit-def: $vgpr4_vgpr5
	s_and_saveexec_b64 s[16:17], s[8:9]
	s_xor_b64 s[8:9], exec, s[16:17]
	s_cbranch_execz .LBB10_18
; %bb.3:
	v_mov_b32_e32 v2, 43
	v_cmp_gt_i16_sdwa s[12:13], v3, v2 src0_sel:BYTE_0 src1_sel:DWORD
	s_mov_b64 s[16:17], 0
	s_mov_b64 s[18:19], 0
                                        ; implicit-def: $vgpr4_vgpr5
	s_and_saveexec_b64 s[14:15], s[12:13]
	s_xor_b64 s[12:13], exec, s[14:15]
	s_cbranch_execz .LBB10_13
; %bb.4:
	v_mov_b32_e32 v2, 45
	v_cmp_gt_i16_sdwa s[18:19], v3, v2 src0_sel:BYTE_0 src1_sel:DWORD
	s_mov_b64 s[14:15], 0
                                        ; implicit-def: $vgpr4_vgpr5
	s_and_saveexec_b64 s[20:21], s[18:19]
	s_xor_b64 s[18:19], exec, s[20:21]
	s_cbranch_execz .LBB10_8
; %bb.5:
	v_mov_b32_e32 v2, 46
	v_cmp_eq_u16_sdwa s[22:23], v3, v2 src0_sel:BYTE_0 src1_sel:DWORD
	s_mov_b64 s[20:21], -1
                                        ; implicit-def: $vgpr4_vgpr5
	s_and_saveexec_b64 s[16:17], s[22:23]
	s_cbranch_execz .LBB10_7
; %bb.6:
	flat_load_dword v2, v[0:1]
	s_mov_b64 s[14:15], exec
	s_xor_b64 s[20:21], exec, -1
	s_waitcnt vmcnt(0) lgkmcnt(0)
	v_lshlrev_b32_e32 v2, 16, v2
	v_cvt_f64_f32_e32 v[4:5], v2
.LBB10_7:
	s_or_b64 exec, exec, s[16:17]
	s_and_b64 s[16:17], s[14:15], exec
	s_and_b64 s[14:15], s[20:21], exec
                                        ; implicit-def: $vgpr3
.LBB10_8:
	s_andn2_saveexec_b64 s[18:19], s[18:19]
	s_cbranch_execz .LBB10_12
; %bb.9:
	v_mov_b32_e32 v2, 44
	v_cmp_eq_u16_sdwa s[26:27], v3, v2 src0_sel:BYTE_0 src1_sel:DWORD
	s_mov_b64 s[24:25], -1
	s_mov_b64 s[22:23], s[16:17]
                                        ; implicit-def: $vgpr4_vgpr5
	s_and_saveexec_b64 s[20:21], s[26:27]
	s_cbranch_execz .LBB10_11
; %bb.10:
	flat_load_ubyte v4, v[0:1]
	s_movk_i32 s24, 0xff
	v_bfrev_b32_e32 v5, 4
	v_mov_b32_e32 v6, 0x7ff80000
	v_bfrev_b32_e32 v7, 28
	s_or_b64 s[22:23], s[16:17], exec
	s_waitcnt vmcnt(0) lgkmcnt(0)
	v_lshlrev_b32_e32 v2, 23, v4
	v_cvt_f64_f32_e32 v[2:3], v2
	v_cmp_ne_u32_e32 vcc, s24, v4
	s_xor_b64 s[24:25], exec, -1
	v_cndmask_b32_e32 v2, v5, v2, vcc
	v_cndmask_b32_e32 v3, v6, v3, vcc
	v_cmp_ne_u32_e32 vcc, 0, v4
	v_cndmask_b32_e32 v5, v7, v3, vcc
	v_cndmask_b32_e32 v4, 0, v2, vcc
.LBB10_11:
	s_or_b64 exec, exec, s[20:21]
	s_andn2_b64 s[16:17], s[16:17], exec
	s_and_b64 s[20:21], s[22:23], exec
	s_or_b64 s[16:17], s[16:17], s[20:21]
	s_andn2_b64 s[14:15], s[14:15], exec
	s_and_b64 s[20:21], s[24:25], exec
	s_or_b64 s[14:15], s[14:15], s[20:21]
.LBB10_12:
	s_or_b64 exec, exec, s[18:19]
	s_and_b64 s[18:19], s[16:17], exec
	s_and_b64 s[16:17], s[14:15], exec
                                        ; implicit-def: $vgpr3
.LBB10_13:
	s_andn2_saveexec_b64 s[12:13], s[12:13]
	s_cbranch_execz .LBB10_17
; %bb.14:
	v_mov_b32_e32 v2, 29
	v_cmp_eq_u16_sdwa s[24:25], v3, v2 src0_sel:BYTE_0 src1_sel:DWORD
	s_mov_b64 s[14:15], -1
	s_mov_b64 s[20:21], s[18:19]
                                        ; implicit-def: $vgpr4_vgpr5
	s_and_saveexec_b64 s[22:23], s[24:25]
	s_cbranch_execz .LBB10_16
; %bb.15:
	flat_load_dwordx2 v[2:3], v[0:1]
	s_or_b64 s[20:21], s[18:19], exec
	s_xor_b64 s[14:15], exec, -1
	s_waitcnt vmcnt(0) lgkmcnt(0)
	v_cvt_f64_u32_e32 v[3:4], v3
	v_cvt_f64_u32_e32 v[5:6], v2
	v_ldexp_f64 v[3:4], v[3:4], 32
	v_add_f64 v[4:5], v[3:4], v[5:6]
.LBB10_16:
	s_or_b64 exec, exec, s[22:23]
	s_andn2_b64 s[18:19], s[18:19], exec
	s_and_b64 s[20:21], s[20:21], exec
	s_andn2_b64 s[16:17], s[16:17], exec
	s_and_b64 s[14:15], s[14:15], exec
	s_or_b64 s[18:19], s[18:19], s[20:21]
	s_or_b64 s[16:17], s[16:17], s[14:15]
.LBB10_17:
	s_or_b64 exec, exec, s[12:13]
	s_and_b64 s[14:15], s[18:19], exec
	s_and_b64 s[12:13], s[16:17], exec
                                        ; implicit-def: $vgpr3
.LBB10_18:
	s_andn2_saveexec_b64 s[8:9], s[8:9]
	s_cbranch_execz .LBB10_36
; %bb.19:
	v_mov_b32_e32 v2, 26
	v_cmp_gt_i16_sdwa s[16:17], v3, v2 src0_sel:BYTE_0 src1_sel:DWORD
                                        ; implicit-def: $vgpr4_vgpr5
	s_and_saveexec_b64 s[18:19], s[16:17]
	s_xor_b64 s[16:17], exec, s[18:19]
	s_cbranch_execz .LBB10_25
; %bb.20:
	v_mov_b32_e32 v2, 27
	v_cmp_gt_i16_sdwa s[18:19], v3, v2 src0_sel:BYTE_0 src1_sel:DWORD
                                        ; implicit-def: $vgpr4_vgpr5
	s_and_saveexec_b64 s[20:21], s[18:19]
	s_xor_b64 s[18:19], exec, s[20:21]
	s_cbranch_execz .LBB10_22
; %bb.21:
	flat_load_dword v2, v[0:1]
	s_waitcnt vmcnt(0) lgkmcnt(0)
	v_cvt_f64_u32_e32 v[4:5], v2
.LBB10_22:
	s_andn2_saveexec_b64 s[18:19], s[18:19]
	s_cbranch_execz .LBB10_24
; %bb.23:
	flat_load_ushort v2, v[0:1]
	s_waitcnt vmcnt(0) lgkmcnt(0)
	v_cvt_f64_u32_e32 v[4:5], v2
.LBB10_24:
	s_or_b64 exec, exec, s[18:19]
.LBB10_25:
	s_andn2_saveexec_b64 s[16:17], s[16:17]
	s_cbranch_execz .LBB10_35
; %bb.26:
	flat_load_ubyte v2, v[0:1]
	s_movk_i32 s18, 0x7f
	s_waitcnt vmcnt(0) lgkmcnt(0)
	v_cmp_lt_i16_e32 vcc, s18, v2
	s_mov_b64 s[18:19], 0
	s_and_saveexec_b64 s[20:21], vcc
	s_xor_b64 s[20:21], exec, s[20:21]
	s_cbranch_execz .LBB10_30
; %bb.27:
	s_movk_i32 s18, 0x80
	v_cmp_eq_u16_e32 vcc, s18, v2
	s_mov_b64 s[18:19], -1
	s_and_saveexec_b64 s[22:23], vcc
; %bb.28:
	s_xor_b64 s[18:19], exec, -1
; %bb.29:
	s_or_b64 exec, exec, s[22:23]
	s_and_b64 s[18:19], s[18:19], exec
.LBB10_30:
	s_or_saveexec_b64 s[20:21], s[20:21]
	v_bfrev_b32_e32 v4, 4
	v_mov_b32_e32 v5, 0x7ff80000
	s_xor_b64 exec, exec, s[20:21]
; %bb.31:
	v_cmp_ne_u16_e32 vcc, 0, v2
	v_mov_b32_e32 v4, 0
	s_andn2_b64 s[18:19], s[18:19], exec
	s_and_b64 s[22:23], vcc, exec
	v_mov_b32_e32 v5, 0
	s_or_b64 s[18:19], s[18:19], s[22:23]
; %bb.32:
	s_or_b64 exec, exec, s[20:21]
	s_and_saveexec_b64 s[20:21], s[18:19]
	s_cbranch_execz .LBB10_34
; %bb.33:
	v_lshlrev_b32_e32 v3, 24, v2
	v_and_b32_e32 v2, 0xffff, v2
	v_and_b32_e32 v4, 7, v2
	v_ffbh_u32_e32 v6, v4
	v_min_u32_e32 v6, 32, v6
	v_subrev_u32_e32 v7, 28, v6
	v_bfe_u32 v5, v2, 3, 4
	v_lshlrev_b32_e32 v2, v7, v2
	v_sub_u32_e32 v6, 29, v6
	v_and_b32_e32 v2, 7, v2
	v_cmp_eq_u32_e32 vcc, 0, v5
	v_cndmask_b32_e32 v5, v5, v6, vcc
	v_cndmask_b32_e32 v2, v4, v2, vcc
	v_mov_b32_e32 v4, 0x3b800000
	v_lshlrev_b32_e32 v2, 20, v2
	v_and_b32_e32 v3, 0x80000000, v3
	v_lshl_add_u32 v4, v5, 23, v4
	v_or3_b32 v2, v3, v4, v2
	v_cvt_f64_f32_e32 v[4:5], v2
.LBB10_34:
	s_or_b64 exec, exec, s[20:21]
.LBB10_35:
	s_or_b64 exec, exec, s[16:17]
	s_or_b64 s[14:15], s[14:15], exec
.LBB10_36:
	s_or_b64 exec, exec, s[8:9]
	s_and_b64 s[8:9], s[14:15], exec
	s_and_b64 s[12:13], s[12:13], exec
                                        ; implicit-def: $vgpr3
	s_andn2_saveexec_b64 s[10:11], s[10:11]
	s_cbranch_execnz .LBB10_94
.LBB10_37:
	s_or_b64 exec, exec, s[10:11]
	s_and_saveexec_b64 s[10:11], s[12:13]
	s_cbranch_execnz .LBB10_121
.LBB10_38:
	s_or_b64 exec, exec, s[10:11]
	s_and_saveexec_b64 s[10:11], s[6:7]
	s_xor_b64 s[6:7], exec, s[10:11]
	s_cbranch_execz .LBB10_40
.LBB10_39:
	flat_load_ubyte v0, v[0:1]
	v_mov_b32_e32 v1, 0x3ff00000
	v_mov_b32_e32 v4, 0
	s_or_b64 s[8:9], s[8:9], exec
	s_waitcnt vmcnt(0) lgkmcnt(0)
	v_cmp_ne_u16_e32 vcc, 0, v0
	v_cndmask_b32_e32 v5, 0, v1, vcc
.LBB10_40:
	s_or_b64 exec, exec, s[6:7]
	s_and_b64 s[6:7], s[8:9], exec
                                        ; implicit-def: $vgpr3
                                        ; implicit-def: $vgpr0_vgpr1
	s_andn2_saveexec_b64 s[4:5], s[4:5]
	s_cbranch_execnz .LBB10_43
.LBB10_41:
	s_or_b64 exec, exec, s[4:5]
                                        ; implicit-def: $vgpr0_vgpr1
	s_and_saveexec_b64 s[10:11], s[6:7]
	s_cbranch_execnz .LBB10_84
	s_branch .LBB10_130
.LBB10_42:
	s_andn2_saveexec_b64 s[4:5], s[4:5]
	s_cbranch_execz .LBB10_41
.LBB10_43:
	v_mov_b32_e32 v2, 4
	v_cmp_gt_i16_sdwa s[8:9], v3, v2 src0_sel:BYTE_0 src1_sel:DWORD
                                        ; implicit-def: $vgpr4_vgpr5
	s_and_saveexec_b64 s[10:11], s[8:9]
	s_xor_b64 s[8:9], exec, s[10:11]
	s_cbranch_execz .LBB10_65
; %bb.44:
	v_mov_b32_e32 v2, 7
	v_cmp_gt_i16_sdwa s[10:11], v3, v2 src0_sel:BYTE_0 src1_sel:DWORD
                                        ; implicit-def: $vgpr4_vgpr5
	s_and_saveexec_b64 s[12:13], s[10:11]
	s_xor_b64 s[10:11], exec, s[12:13]
	s_cbranch_execz .LBB10_54
; %bb.45:
	;; [unrolled: 7-line block ×4, first 2 shown]
	flat_load_dwordx2 v[4:5], v[0:1]
                                        ; implicit-def: $vgpr0_vgpr1
.LBB10_48:
	s_andn2_saveexec_b64 s[14:15], s[14:15]
	s_cbranch_execz .LBB10_50
; %bb.49:
	flat_load_dword v0, v[0:1]
	s_waitcnt vmcnt(0) lgkmcnt(0)
	v_cvt_f64_f32_e32 v[4:5], v0
.LBB10_50:
	s_or_b64 exec, exec, s[14:15]
                                        ; implicit-def: $vgpr0_vgpr1
.LBB10_51:
	s_andn2_saveexec_b64 s[12:13], s[12:13]
	s_cbranch_execz .LBB10_53
; %bb.52:
	flat_load_dword v0, v[0:1]
	s_waitcnt vmcnt(0) lgkmcnt(0)
	v_cvt_f32_f16_e32 v0, v0
	v_cvt_f64_f32_e32 v[4:5], v0
.LBB10_53:
	s_or_b64 exec, exec, s[12:13]
                                        ; implicit-def: $vgpr0_vgpr1
                                        ; implicit-def: $vgpr3
.LBB10_54:
	s_andn2_saveexec_b64 s[10:11], s[10:11]
	s_cbranch_execz .LBB10_64
; %bb.55:
	v_mov_b32_e32 v2, 5
	v_cmp_gt_i16_sdwa s[12:13], v3, v2 src0_sel:BYTE_0 src1_sel:DWORD
                                        ; implicit-def: $vgpr4_vgpr5
	s_and_saveexec_b64 s[14:15], s[12:13]
	s_xor_b64 s[12:13], exec, s[14:15]
	s_cbranch_execz .LBB10_61
; %bb.56:
	v_mov_b32_e32 v2, 6
	v_cmp_gt_i16_sdwa s[14:15], v3, v2 src0_sel:BYTE_0 src1_sel:DWORD
                                        ; implicit-def: $vgpr4_vgpr5
	s_and_saveexec_b64 s[16:17], s[14:15]
	s_xor_b64 s[14:15], exec, s[16:17]
	s_cbranch_execz .LBB10_58
; %bb.57:
	s_waitcnt vmcnt(0) lgkmcnt(0)
	flat_load_dwordx2 v[4:5], v[0:1]
                                        ; implicit-def: $vgpr0_vgpr1
.LBB10_58:
	s_andn2_saveexec_b64 s[14:15], s[14:15]
	s_cbranch_execz .LBB10_60
; %bb.59:
	flat_load_dword v0, v[0:1]
	s_waitcnt vmcnt(0) lgkmcnt(0)
	v_cvt_f64_f32_e32 v[4:5], v0
.LBB10_60:
	s_or_b64 exec, exec, s[14:15]
                                        ; implicit-def: $vgpr0_vgpr1
.LBB10_61:
	s_andn2_saveexec_b64 s[12:13], s[12:13]
	s_cbranch_execz .LBB10_63
; %bb.62:
	flat_load_ushort v0, v[0:1]
	s_waitcnt vmcnt(0) lgkmcnt(0)
	v_cvt_f32_f16_e32 v0, v0
	v_cvt_f64_f32_e32 v[4:5], v0
.LBB10_63:
	s_or_b64 exec, exec, s[12:13]
.LBB10_64:
	s_or_b64 exec, exec, s[10:11]
                                        ; implicit-def: $vgpr3
                                        ; implicit-def: $vgpr0_vgpr1
.LBB10_65:
	s_andn2_saveexec_b64 s[8:9], s[8:9]
	s_cbranch_execz .LBB10_83
; %bb.66:
	v_mov_b32_e32 v2, 1
	v_cmp_gt_i16_sdwa s[10:11], v3, v2 src0_sel:BYTE_0 src1_sel:DWORD
                                        ; implicit-def: $vgpr4_vgpr5
	s_and_saveexec_b64 s[12:13], s[10:11]
	s_xor_b64 s[10:11], exec, s[12:13]
	s_cbranch_execz .LBB10_76
; %bb.67:
	v_mov_b32_e32 v2, 2
	v_cmp_gt_i16_sdwa s[12:13], v3, v2 src0_sel:BYTE_0 src1_sel:DWORD
                                        ; implicit-def: $vgpr4_vgpr5
	s_and_saveexec_b64 s[14:15], s[12:13]
	s_xor_b64 s[12:13], exec, s[14:15]
	;; [unrolled: 7-line block ×3, first 2 shown]
	s_cbranch_execz .LBB10_70
; %bb.69:
	flat_load_dwordx2 v[0:1], v[0:1]
	s_waitcnt vmcnt(0) lgkmcnt(0)
	v_cvt_f64_i32_e32 v[1:2], v1
	v_cvt_f64_u32_e32 v[3:4], v0
	v_ldexp_f64 v[1:2], v[1:2], 32
	v_add_f64 v[4:5], v[1:2], v[3:4]
                                        ; implicit-def: $vgpr0_vgpr1
.LBB10_70:
	s_andn2_saveexec_b64 s[14:15], s[14:15]
	s_cbranch_execz .LBB10_72
; %bb.71:
	flat_load_dword v0, v[0:1]
	s_waitcnt vmcnt(0) lgkmcnt(0)
	v_cvt_f64_i32_e32 v[4:5], v0
.LBB10_72:
	s_or_b64 exec, exec, s[14:15]
                                        ; implicit-def: $vgpr0_vgpr1
.LBB10_73:
	s_andn2_saveexec_b64 s[12:13], s[12:13]
	s_cbranch_execz .LBB10_75
; %bb.74:
	flat_load_sshort v0, v[0:1]
	s_waitcnt vmcnt(0) lgkmcnt(0)
	v_cvt_f64_i32_e32 v[4:5], v0
.LBB10_75:
	s_or_b64 exec, exec, s[12:13]
                                        ; implicit-def: $vgpr0_vgpr1
                                        ; implicit-def: $vgpr3
.LBB10_76:
	s_andn2_saveexec_b64 s[10:11], s[10:11]
	s_cbranch_execz .LBB10_82
; %bb.77:
	v_mov_b32_e32 v2, 0
	v_cmp_gt_i16_sdwa s[12:13], v3, v2 src0_sel:BYTE_0 src1_sel:DWORD
                                        ; implicit-def: $vgpr4_vgpr5
	s_and_saveexec_b64 s[14:15], s[12:13]
	s_xor_b64 s[12:13], exec, s[14:15]
	s_cbranch_execz .LBB10_79
; %bb.78:
	flat_load_sbyte v0, v[0:1]
	s_waitcnt vmcnt(0) lgkmcnt(0)
	v_cvt_f64_i32_e32 v[4:5], v0
                                        ; implicit-def: $vgpr0_vgpr1
.LBB10_79:
	s_andn2_saveexec_b64 s[12:13], s[12:13]
	s_cbranch_execz .LBB10_81
; %bb.80:
	flat_load_ubyte v0, v[0:1]
	s_waitcnt vmcnt(0) lgkmcnt(0)
	v_cvt_f64_u32_e32 v[4:5], v0
.LBB10_81:
	s_or_b64 exec, exec, s[12:13]
.LBB10_82:
	s_or_b64 exec, exec, s[10:11]
.LBB10_83:
	s_or_b64 exec, exec, s[8:9]
	s_or_b64 s[6:7], s[6:7], exec
	s_or_b64 exec, exec, s[4:5]
                                        ; implicit-def: $vgpr0_vgpr1
	s_and_saveexec_b64 s[10:11], s[6:7]
	s_cbranch_execz .LBB10_130
.LBB10_84:
	s_waitcnt vmcnt(0) lgkmcnt(0)
	v_cmp_gt_f64_e32 vcc, 0, v[4:5]
	v_xor_b32_e32 v0, 0x80000000, v5
	s_mov_b32 s4, 0
	s_mov_b32 s5, 0x40140000
	v_cndmask_b32_e32 v5, v5, v0, vcc
	v_cmp_ge_f64_e32 vcc, s[4:5], v[4:5]
	v_mul_f64 v[12:13], v[4:5], v[4:5]
                                        ; implicit-def: $vgpr0_vgpr1
	s_and_saveexec_b64 s[4:5], vcc
	s_xor_b64 s[4:5], exec, s[4:5]
	s_cbranch_execz .LBB10_90
; %bb.85:
	s_mov_b32 s6, 0x88e368f1
	s_mov_b32 s7, 0x3ee4f8b5
	v_cmp_ngt_f64_e32 vcc, s[6:7], v[4:5]
                                        ; implicit-def: $vgpr0_vgpr1
	s_and_saveexec_b64 s[6:7], vcc
	s_xor_b64 s[6:7], exec, s[6:7]
	s_cbranch_execz .LBB10_87
; %bb.86:
	v_mov_b32_e32 v0, 0xa696b78c
	v_mov_b32_e32 v1, 0x407f3902
	v_fma_f64 v[0:1], v[12:13], 0, v[0:1]
	s_mov_b32 s8, 0x36a21a67
	s_mov_b32 s9, 0x410536cb
	;; [unrolled: 1-line block ×3, first 2 shown]
	v_mov_b32_e32 v2, 0xad1c8325
	v_mov_b32_e32 v3, 0xc1f1dc53
	s_mov_b32 s13, 0x4204d5b0
	v_fma_f64 v[2:3], v[12:13], 0, v[2:3]
	v_fma_f64 v[0:1], v[12:13], v[0:1], s[8:9]
	s_mov_b32 s8, 0x2eac0634
	s_mov_b32 s9, 0x41871934
	;; [unrolled: 1-line block ×6, first 2 shown]
	v_fma_f64 v[0:1], v[12:13], v[0:1], s[8:9]
	s_mov_b32 s8, 0xc772990d
	s_mov_b32 s9, 0x427c7751
	v_fma_f64 v[2:3], v[12:13], v[2:3], s[8:9]
	s_mov_b32 s8, 0x80462bbb
	s_mov_b32 s9, 0xc01721fb
	v_add_f64 v[4:5], v[12:13], s[8:9]
	s_mov_b32 s8, 0x7e7b2e9c
	v_fma_f64 v[0:1], v[12:13], v[0:1], s[12:13]
	s_mov_b32 s12, 0xe0d900f7
	s_mov_b32 s13, 0xc2ec5614
	v_fma_f64 v[2:3], v[12:13], v[2:3], s[12:13]
	s_mov_b32 s12, 0x69ff5fb4
	s_mov_b32 s9, 0x435c4141
	;; [unrolled: 1-line block ×3, first 2 shown]
	v_fma_f64 v[0:1], v[12:13], v[0:1], s[14:15]
	s_mov_b32 s14, 0xa621dd6f
	s_mov_b32 s15, 0xc03e78a4
	v_add_f64 v[6:7], v[12:13], s[14:15]
	v_fma_f64 v[2:3], v[12:13], v[2:3], s[12:13]
	v_fma_f64 v[0:1], v[12:13], v[0:1], s[16:17]
	v_mul_f64 v[4:5], v[4:5], v[6:7]
	v_fma_f64 v[0:1], v[12:13], v[0:1], s[8:9]
	s_mov_b32 s8, 0xc7b662cc
	s_mov_b32 s9, 0x43b7be34
	v_mul_f64 v[2:3], v[4:5], v[2:3]
	v_fma_f64 v[0:1], v[12:13], v[0:1], s[8:9]
                                        ; implicit-def: $vgpr12_vgpr13
	v_div_scale_f64 v[4:5], s[8:9], v[0:1], v[0:1], v[2:3]
	v_div_scale_f64 v[10:11], vcc, v[2:3], v[0:1], v[2:3]
	v_rcp_f64_e32 v[6:7], v[4:5]
	v_fma_f64 v[8:9], -v[4:5], v[6:7], 1.0
	v_fma_f64 v[6:7], v[6:7], v[8:9], v[6:7]
	v_fma_f64 v[8:9], -v[4:5], v[6:7], 1.0
	v_fma_f64 v[6:7], v[6:7], v[8:9], v[6:7]
	v_mul_f64 v[8:9], v[10:11], v[6:7]
	v_fma_f64 v[4:5], -v[4:5], v[8:9], v[10:11]
	v_div_fmas_f64 v[4:5], v[4:5], v[6:7], v[8:9]
	v_div_fixup_f64 v[0:1], v[4:5], v[0:1], v[2:3]
.LBB10_87:
	s_andn2_saveexec_b64 s[6:7], s[6:7]
	s_cbranch_execz .LBB10_89
; %bb.88:
	s_mov_b32 s8, 0
	s_mov_b32 s9, 0xbfd00000
	v_fma_f64 v[0:1], v[12:13], s[8:9], 1.0
.LBB10_89:
	s_or_b64 exec, exec, s[6:7]
                                        ; implicit-def: $vgpr12_vgpr13
                                        ; implicit-def: $vgpr4_vgpr5
.LBB10_90:
	s_andn2_saveexec_b64 s[12:13], s[4:5]
	s_cbranch_execz .LBB10_129
; %bb.91:
	s_mov_b32 s9, 0xbfe921fb
	s_mov_b32 s8, 0x54442d18
	v_add_f64 v[0:1], v[4:5], s[8:9]
	s_mov_b32 s4, 0
	s_mov_b32 s5, 0x41d00000
                                        ; implicit-def: $vgpr30
                                        ; implicit-def: $vgpr2_vgpr3
                                        ; implicit-def: $vgpr6_vgpr7
	v_trig_preop_f64 v[18:19], |v[0:1]|, 0
	v_trig_preop_f64 v[16:17], |v[0:1]|, 1
	;; [unrolled: 1-line block ×3, first 2 shown]
	v_cmp_nlt_f64_e64 s[6:7], |v[0:1]|, s[4:5]
	s_and_saveexec_b64 s[4:5], s[6:7]
	s_xor_b64 s[14:15], exec, s[4:5]
	s_cbranch_execz .LBB10_122
; %bb.92:
	s_mov_b32 s4, 0
	s_mov_b32 s5, 0x7b000000
	s_movk_i32 s9, 0xff80
	v_ldexp_f64 v[2:3], |v[0:1]|, s9
	v_cmp_ge_f64_e64 vcc, |v[0:1]|, s[4:5]
	v_and_b32_e32 v6, 0x7fffffff, v1
	s_mov_b32 s4, 0
	s_mov_b32 s5, 0x7ff00000
	v_mov_b32_e32 v33, 0x40100000
	v_mov_b32_e32 v32, 0
	s_mov_b32 s9, 0x3ff921fb
	v_cndmask_b32_e32 v3, v6, v3, vcc
	v_cndmask_b32_e32 v2, v0, v2, vcc
	v_mul_f64 v[6:7], v[18:19], v[2:3]
	v_mul_f64 v[8:9], v[16:17], v[2:3]
	;; [unrolled: 1-line block ×3, first 2 shown]
	v_fma_f64 v[10:11], v[18:19], v[2:3], -v[6:7]
	v_fma_f64 v[28:29], v[16:17], v[2:3], -v[8:9]
	;; [unrolled: 1-line block ×3, first 2 shown]
	v_add_f64 v[20:21], v[8:9], v[10:11]
	v_add_f64 v[22:23], v[20:21], -v[8:9]
	v_add_f64 v[30:31], v[6:7], v[20:21]
	v_add_f64 v[24:25], v[20:21], -v[22:23]
	v_add_f64 v[10:11], v[10:11], -v[22:23]
	v_add_f64 v[22:23], v[26:27], v[28:29]
	v_add_f64 v[6:7], v[30:31], -v[6:7]
	v_add_f64 v[8:9], v[8:9], -v[24:25]
	v_ldexp_f64 v[24:25], v[30:31], -2
	v_add_f64 v[34:35], v[22:23], -v[26:27]
	v_add_f64 v[6:7], v[20:21], -v[6:7]
	v_add_f64 v[8:9], v[10:11], v[8:9]
	v_fract_f64_e32 v[10:11], v[24:25]
	v_cmp_neq_f64_e64 vcc, |v[24:25]|, s[4:5]
	v_add_f64 v[28:29], v[28:29], -v[34:35]
	v_add_f64 v[20:21], v[22:23], v[8:9]
	v_ldexp_f64 v[10:11], v[10:11], 2
	v_add_f64 v[24:25], v[6:7], v[20:21]
	v_cndmask_b32_e32 v11, 0, v11, vcc
	v_cndmask_b32_e32 v10, 0, v10, vcc
	v_add_f64 v[36:37], v[20:21], -v[22:23]
	v_add_f64 v[30:31], v[24:25], v[10:11]
	v_add_f64 v[6:7], v[24:25], -v[6:7]
	v_add_f64 v[38:39], v[20:21], -v[36:37]
	;; [unrolled: 1-line block ×3, first 2 shown]
	v_cmp_gt_f64_e32 vcc, 0, v[30:31]
	v_add_f64 v[30:31], v[22:23], -v[34:35]
	v_add_f64 v[6:7], v[20:21], -v[6:7]
	;; [unrolled: 1-line block ×3, first 2 shown]
	v_cndmask_b32_e32 v33, 0, v33, vcc
	v_add_f64 v[10:11], v[10:11], v[32:33]
	v_add_f64 v[30:31], v[26:27], -v[30:31]
	v_add_f64 v[8:9], v[8:9], v[22:23]
	v_add_f64 v[48:49], v[24:25], v[10:11]
	v_add_f64 v[28:29], v[28:29], v[30:31]
	v_cvt_i32_f64_e32 v35, v[48:49]
	v_add_f64 v[8:9], v[28:29], v[8:9]
	v_cvt_f64_i32_e32 v[33:34], v35
	v_add_f64 v[10:11], v[10:11], -v[33:34]
	v_add_f64 v[2:3], v[2:3], v[8:9]
	v_add_f64 v[22:23], v[24:25], v[10:11]
	v_add_f64 v[2:3], v[6:7], v[2:3]
	v_add_f64 v[8:9], v[22:23], -v[10:11]
	v_cmp_le_f64_e32 vcc, 0.5, v[22:23]
	v_add_f64 v[6:7], v[24:25], -v[8:9]
	v_mov_b32_e32 v8, 0x3ff00000
	v_cndmask_b32_e32 v33, 0, v8, vcc
	v_addc_co_u32_e64 v30, s[4:5], 0, v35, vcc
	s_mov_b32 s4, 0x33145c07
	s_mov_b32 s5, 0x3c91a626
	v_add_f64 v[2:3], v[2:3], v[6:7]
	v_add_f64 v[6:7], v[22:23], -v[32:33]
	v_add_f64 v[8:9], v[6:7], v[2:3]
	v_mul_f64 v[10:11], v[8:9], s[8:9]
	v_add_f64 v[6:7], v[8:9], -v[6:7]
	v_fma_f64 v[20:21], v[8:9], s[8:9], -v[10:11]
	v_add_f64 v[2:3], v[2:3], -v[6:7]
	v_fma_f64 v[6:7], v[8:9], s[4:5], v[20:21]
	v_fma_f64 v[6:7], v[2:3], s[8:9], v[6:7]
	v_add_f64 v[2:3], v[10:11], v[6:7]
	v_add_f64 v[8:9], v[2:3], -v[10:11]
	v_add_f64 v[6:7], v[6:7], -v[8:9]
	s_andn2_saveexec_b64 s[4:5], s[14:15]
	s_cbranch_execz .LBB10_124
	s_branch .LBB10_123
.LBB10_93:
	s_andn2_saveexec_b64 s[10:11], s[10:11]
	s_cbranch_execz .LBB10_37
.LBB10_94:
	v_mov_b32_e32 v2, 22
	v_cmp_gt_i16_sdwa s[6:7], v3, v2 src0_sel:BYTE_0 src1_sel:DWORD
	s_mov_b64 s[14:15], s[8:9]
                                        ; implicit-def: $vgpr4_vgpr5
	s_and_saveexec_b64 s[16:17], s[6:7]
	s_xor_b64 s[6:7], exec, s[16:17]
	s_cbranch_execz .LBB10_112
; %bb.95:
	v_mov_b32_e32 v2, 23
	v_cmp_gt_i16_sdwa s[14:15], v3, v2 src0_sel:BYTE_0 src1_sel:DWORD
                                        ; implicit-def: $vgpr4_vgpr5
	s_and_saveexec_b64 s[16:17], s[14:15]
	s_xor_b64 s[14:15], exec, s[16:17]
	s_cbranch_execz .LBB10_109
; %bb.96:
	v_mov_b32_e32 v2, 24
	v_cmp_gt_i16_sdwa s[16:17], v3, v2 src0_sel:BYTE_0 src1_sel:DWORD
                                        ; implicit-def: $vgpr4_vgpr5
	s_and_saveexec_b64 s[18:19], s[16:17]
	s_xor_b64 s[16:17], exec, s[18:19]
	s_cbranch_execz .LBB10_106
; %bb.97:
	flat_load_ubyte v2, v[0:1]
	s_movk_i32 s18, 0x7f
	s_waitcnt vmcnt(0) lgkmcnt(0)
	v_cmp_lt_i16_e32 vcc, s18, v2
	s_mov_b64 s[18:19], 0
	s_and_saveexec_b64 s[20:21], vcc
	s_xor_b64 s[20:21], exec, s[20:21]
	s_cbranch_execz .LBB10_101
; %bb.98:
	s_movk_i32 s18, 0x80
	v_cmp_eq_u16_e32 vcc, s18, v2
	s_mov_b64 s[18:19], -1
	s_and_saveexec_b64 s[22:23], vcc
; %bb.99:
	s_xor_b64 s[18:19], exec, -1
; %bb.100:
	s_or_b64 exec, exec, s[22:23]
	s_and_b64 s[18:19], s[18:19], exec
.LBB10_101:
	s_or_saveexec_b64 s[20:21], s[20:21]
	v_bfrev_b32_e32 v4, 4
	v_mov_b32_e32 v5, 0x7ff80000
	s_xor_b64 exec, exec, s[20:21]
; %bb.102:
	v_cmp_ne_u16_e32 vcc, 0, v2
	v_mov_b32_e32 v4, 0
	s_andn2_b64 s[18:19], s[18:19], exec
	s_and_b64 s[22:23], vcc, exec
	v_mov_b32_e32 v5, 0
	s_or_b64 s[18:19], s[18:19], s[22:23]
; %bb.103:
	s_or_b64 exec, exec, s[20:21]
	s_and_saveexec_b64 s[20:21], s[18:19]
	s_cbranch_execz .LBB10_105
; %bb.104:
	v_lshlrev_b32_e32 v3, 24, v2
	v_and_b32_e32 v2, 0xffff, v2
	v_and_b32_e32 v4, 3, v2
	v_ffbh_u32_e32 v6, v4
	v_min_u32_e32 v6, 32, v6
	v_subrev_u32_e32 v7, 29, v6
	v_bfe_u32 v5, v2, 2, 5
	v_lshlrev_b32_e32 v2, v7, v2
	v_sub_u32_e32 v6, 30, v6
	v_and_b32_e32 v2, 3, v2
	v_cmp_eq_u32_e32 vcc, 0, v5
	v_cndmask_b32_e32 v5, v5, v6, vcc
	v_cndmask_b32_e32 v2, v4, v2, vcc
	v_mov_b32_e32 v4, 0x37800000
	v_lshlrev_b32_e32 v2, 21, v2
	v_and_b32_e32 v3, 0x80000000, v3
	v_lshl_add_u32 v4, v5, 23, v4
	v_or3_b32 v2, v3, v4, v2
	v_cvt_f64_f32_e32 v[4:5], v2
.LBB10_105:
	s_or_b64 exec, exec, s[20:21]
.LBB10_106:
	s_andn2_saveexec_b64 s[16:17], s[16:17]
	s_cbranch_execz .LBB10_108
; %bb.107:
	flat_load_ubyte v2, v[0:1]
	s_mov_b32 s18, 0x7f800000
	s_waitcnt vmcnt(0) lgkmcnt(0)
	v_lshlrev_b32_e32 v2, 24, v2
	v_and_b32_e32 v3, 0x7f000000, v2
	v_ffbh_u32_e32 v4, v3
	v_min_u32_e32 v4, 32, v4
	v_sub_u32_e64 v4, v4, 4 clamp
	v_lshlrev_b32_e32 v6, v4, v3
	v_lshlrev_b32_e32 v4, 23, v4
	v_lshrrev_b32_e32 v6, 4, v6
	v_add_u32_e32 v5, 0x1000000, v3
	v_sub_u32_e32 v4, v6, v4
	v_ashrrev_i32_e32 v5, 8, v5
	v_add_u32_e32 v4, 0x3c000000, v4
	v_and_or_b32 v4, v5, s18, v4
	v_cmp_ne_u32_e32 vcc, 0, v3
	v_cndmask_b32_e32 v3, 0, v4, vcc
	s_brev_b32 s18, 1
	v_and_or_b32 v2, v2, s18, v3
	v_cvt_f64_f32_e32 v[4:5], v2
.LBB10_108:
	s_or_b64 exec, exec, s[16:17]
.LBB10_109:
	s_andn2_saveexec_b64 s[14:15], s[14:15]
	s_cbranch_execz .LBB10_111
; %bb.110:
	flat_load_ubyte v2, v[0:1]
	s_movk_i32 s16, 0x7f00
	s_brev_b32 s17, 16
	s_waitcnt vmcnt(0) lgkmcnt(0)
	v_lshlrev_b16_e32 v3, 8, v2
	v_lshlrev_b32_e32 v2, 25, v2
	v_lshrrev_b32_e32 v4, 4, v2
	v_and_or_b32 v5, v3, s16, 0.5
	v_or_b32_e32 v4, 0x70000000, v4
	v_add_f32_e32 v5, -0.5, v5
	v_mul_f32_e32 v4, 0x7800000, v4
	v_cmp_gt_u32_e32 vcc, s17, v2
	v_bfe_i32 v3, v3, 0, 16
	v_cndmask_b32_e32 v2, v4, v5, vcc
	s_brev_b32 s16, 1
	v_and_or_b32 v2, v3, s16, v2
	v_cvt_f64_f32_e32 v[4:5], v2
.LBB10_111:
	s_or_b64 exec, exec, s[14:15]
	s_or_b64 s[14:15], s[8:9], exec
                                        ; implicit-def: $vgpr3
.LBB10_112:
	s_or_saveexec_b64 s[6:7], s[6:7]
	s_mov_b64 s[18:19], 0
	s_mov_b64 s[16:17], s[12:13]
	s_xor_b64 exec, exec, s[6:7]
	s_cbranch_execz .LBB10_120
; %bb.113:
	v_mov_b32_e32 v2, 14
	v_cmp_gt_i16_sdwa s[20:21], v3, v2 src0_sel:BYTE_0 src1_sel:DWORD
	s_mov_b64 s[16:17], s[12:13]
	s_mov_b64 s[18:19], s[14:15]
                                        ; implicit-def: $vgpr4_vgpr5
	s_and_saveexec_b64 s[22:23], s[20:21]
	s_xor_b64 s[20:21], exec, s[22:23]
	s_cbranch_execz .LBB10_117
; %bb.114:
	v_mov_b32_e32 v2, 15
	v_cmp_eq_u16_sdwa s[24:25], v3, v2 src0_sel:BYTE_0 src1_sel:DWORD
	s_mov_b64 s[16:17], -1
	s_mov_b64 s[18:19], s[14:15]
                                        ; implicit-def: $vgpr4_vgpr5
	s_and_saveexec_b64 s[22:23], s[24:25]
	s_cbranch_execz .LBB10_116
; %bb.115:
	flat_load_ushort v2, v[0:1]
	s_or_b64 s[18:19], s[14:15], exec
	s_xor_b64 s[16:17], exec, -1
	s_waitcnt vmcnt(0) lgkmcnt(0)
	v_lshlrev_b32_e32 v2, 16, v2
	v_cvt_f64_f32_e32 v[4:5], v2
.LBB10_116:
	s_or_b64 exec, exec, s[22:23]
	s_andn2_b64 s[22:23], s[14:15], exec
	s_and_b64 s[18:19], s[18:19], exec
	s_or_b64 s[18:19], s[22:23], s[18:19]
	s_andn2_b64 s[22:23], s[12:13], exec
	s_and_b64 s[16:17], s[16:17], exec
	s_or_b64 s[16:17], s[22:23], s[16:17]
                                        ; implicit-def: $vgpr3
.LBB10_117:
	s_or_saveexec_b64 s[20:21], s[20:21]
	s_mov_b64 s[22:23], 0
	s_xor_b64 exec, exec, s[20:21]
; %bb.118:
	v_mov_b32_e32 v2, 11
	v_cmp_ne_u16_sdwa s[24:25], v3, v2 src0_sel:BYTE_0 src1_sel:DWORD
	s_andn2_b64 s[16:17], s[16:17], exec
	s_and_b64 s[24:25], s[24:25], exec
	s_mov_b64 s[22:23], exec
	s_or_b64 s[16:17], s[16:17], s[24:25]
; %bb.119:
	s_or_b64 exec, exec, s[20:21]
	s_andn2_b64 s[14:15], s[14:15], exec
	s_and_b64 s[18:19], s[18:19], exec
	s_andn2_b64 s[20:21], s[12:13], exec
	s_and_b64 s[16:17], s[16:17], exec
	s_or_b64 s[14:15], s[14:15], s[18:19]
	s_and_b64 s[18:19], s[22:23], exec
	s_or_b64 s[16:17], s[20:21], s[16:17]
.LBB10_120:
	s_or_b64 exec, exec, s[6:7]
	s_andn2_b64 s[6:7], s[8:9], exec
	s_and_b64 s[8:9], s[14:15], exec
	s_andn2_b64 s[12:13], s[12:13], exec
	s_and_b64 s[14:15], s[16:17], exec
	s_or_b64 s[8:9], s[6:7], s[8:9]
	s_and_b64 s[6:7], s[18:19], exec
	s_or_b64 s[12:13], s[12:13], s[14:15]
	s_or_b64 exec, exec, s[10:11]
	s_and_saveexec_b64 s[10:11], s[12:13]
	s_cbranch_execz .LBB10_38
.LBB10_121:
	s_trap 2
	; divergent unreachable
	s_andn2_b64 s[6:7], s[6:7], exec
	s_or_b64 exec, exec, s[10:11]
	s_and_saveexec_b64 s[10:11], s[6:7]
	s_xor_b64 s[6:7], exec, s[10:11]
	s_cbranch_execnz .LBB10_39
	s_branch .LBB10_40
.LBB10_122:
	s_andn2_saveexec_b64 s[4:5], s[14:15]
	s_cbranch_execz .LBB10_124
.LBB10_123:
	s_mov_b32 s8, 0x6dc9c883
	s_mov_b32 s9, 0x3fe45f30
	v_mul_f64 v[2:3], |v[0:1]|, s[8:9]
	s_mov_b32 s8, 0x54442d18
	s_mov_b32 s9, 0xbff921fb
	;; [unrolled: 1-line block ×4, first 2 shown]
	v_rndne_f64_e32 v[8:9], v[2:3]
	v_fma_f64 v[2:3], v[8:9], s[8:9], |v[0:1]|
	v_mul_f64 v[6:7], v[8:9], s[14:15]
	s_mov_b32 s8, 0x252049c0
	s_mov_b32 s9, 0xb97b839a
	v_cvt_i32_f64_e32 v30, v[8:9]
	v_fma_f64 v[22:23], v[8:9], s[14:15], v[2:3]
	v_add_f64 v[10:11], v[2:3], v[6:7]
	s_mov_b32 s15, 0x3c91a626
	v_add_f64 v[20:21], v[2:3], -v[10:11]
	v_add_f64 v[10:11], v[10:11], -v[22:23]
	v_add_f64 v[2:3], v[20:21], v[6:7]
	v_fma_f64 v[6:7], v[8:9], s[14:15], v[6:7]
	v_add_f64 v[2:3], v[10:11], v[2:3]
	v_add_f64 v[2:3], v[2:3], -v[6:7]
	v_fma_f64 v[6:7], v[8:9], s[8:9], v[2:3]
	v_add_f64 v[2:3], v[22:23], v[6:7]
	v_add_f64 v[10:11], v[2:3], -v[22:23]
	v_add_f64 v[6:7], v[6:7], -v[10:11]
.LBB10_124:
	s_or_b64 exec, exec, s[4:5]
                                        ; implicit-def: $vgpr31
                                        ; implicit-def: $vgpr8_vgpr9
                                        ; implicit-def: $vgpr10_vgpr11
	s_and_saveexec_b64 s[4:5], s[6:7]
	s_xor_b64 s[4:5], exec, s[4:5]
	s_cbranch_execz .LBB10_126
; %bb.125:
	s_mov_b32 s6, 0
	s_mov_b32 s7, 0x7b000000
	s_movk_i32 s8, 0xff80
	v_ldexp_f64 v[8:9], |v[0:1]|, s8
	v_cmp_ge_f64_e64 vcc, |v[0:1]|, s[6:7]
	v_and_b32_e32 v10, 0x7fffffff, v1
	s_mov_b32 s6, 0
	s_mov_b32 s7, 0x7ff00000
	v_mov_b32_e32 v34, 0x40100000
	v_mov_b32_e32 v33, 0
	s_mov_b32 s8, 0x33145c07
	s_mov_b32 s9, 0x3c91a626
	v_cndmask_b32_e32 v9, v10, v9, vcc
	v_cndmask_b32_e32 v8, v0, v8, vcc
	v_mul_f64 v[10:11], v[18:19], v[8:9]
	v_mul_f64 v[20:21], v[16:17], v[8:9]
	;; [unrolled: 1-line block ×3, first 2 shown]
	v_fma_f64 v[18:19], v[18:19], v[8:9], -v[10:11]
	v_fma_f64 v[16:17], v[16:17], v[8:9], -v[20:21]
	;; [unrolled: 1-line block ×3, first 2 shown]
	v_add_f64 v[22:23], v[20:21], v[18:19]
	v_add_f64 v[24:25], v[22:23], -v[20:21]
	v_add_f64 v[31:32], v[10:11], v[22:23]
	v_add_f64 v[26:27], v[22:23], -v[24:25]
	v_add_f64 v[18:19], v[18:19], -v[24:25]
	v_add_f64 v[24:25], v[28:29], v[16:17]
	v_add_f64 v[10:11], v[31:32], -v[10:11]
	v_add_f64 v[20:21], v[20:21], -v[26:27]
	v_ldexp_f64 v[26:27], v[31:32], -2
	v_add_f64 v[35:36], v[24:25], -v[28:29]
	v_add_f64 v[10:11], v[22:23], -v[10:11]
	v_add_f64 v[18:19], v[18:19], v[20:21]
	v_fract_f64_e32 v[20:21], v[26:27]
	v_cmp_neq_f64_e64 vcc, |v[26:27]|, s[6:7]
	v_add_f64 v[16:17], v[16:17], -v[35:36]
	s_mov_b32 s6, 0x54442d18
	s_mov_b32 s7, 0x3ff921fb
	v_add_f64 v[22:23], v[24:25], v[18:19]
	v_ldexp_f64 v[20:21], v[20:21], 2
	v_add_f64 v[26:27], v[10:11], v[22:23]
	v_cndmask_b32_e32 v21, 0, v21, vcc
	v_cndmask_b32_e32 v20, 0, v20, vcc
	v_add_f64 v[37:38], v[22:23], -v[24:25]
	v_add_f64 v[31:32], v[26:27], v[20:21]
	v_add_f64 v[10:11], v[26:27], -v[10:11]
	v_add_f64 v[48:49], v[22:23], -v[37:38]
	;; [unrolled: 1-line block ×3, first 2 shown]
	v_cmp_gt_f64_e32 vcc, 0, v[31:32]
	v_add_f64 v[31:32], v[24:25], -v[35:36]
	v_add_f64 v[10:11], v[22:23], -v[10:11]
	;; [unrolled: 1-line block ×3, first 2 shown]
	v_cndmask_b32_e32 v34, 0, v34, vcc
	v_add_f64 v[20:21], v[20:21], v[33:34]
	v_add_f64 v[31:32], v[28:29], -v[31:32]
	v_add_f64 v[18:19], v[18:19], v[24:25]
	v_add_f64 v[50:51], v[26:27], v[20:21]
	;; [unrolled: 1-line block ×3, first 2 shown]
	v_cvt_i32_f64_e32 v36, v[50:51]
	v_add_f64 v[14:15], v[16:17], v[18:19]
	v_cvt_f64_i32_e32 v[34:35], v36
	v_add_f64 v[20:21], v[20:21], -v[34:35]
	v_add_f64 v[8:9], v[8:9], v[14:15]
	v_add_f64 v[16:17], v[26:27], v[20:21]
	;; [unrolled: 1-line block ×3, first 2 shown]
	v_add_f64 v[14:15], v[16:17], -v[20:21]
	v_cmp_le_f64_e32 vcc, 0.5, v[16:17]
	v_add_f64 v[10:11], v[26:27], -v[14:15]
	v_mov_b32_e32 v14, 0x3ff00000
	v_cndmask_b32_e32 v34, 0, v14, vcc
	v_addc_co_u32_e32 v31, vcc, 0, v36, vcc
	v_add_f64 v[8:9], v[8:9], v[10:11]
	v_add_f64 v[10:11], v[16:17], -v[33:34]
	v_add_f64 v[14:15], v[10:11], v[8:9]
	v_mul_f64 v[16:17], v[14:15], s[6:7]
	v_add_f64 v[10:11], v[14:15], -v[10:11]
	v_fma_f64 v[18:19], v[14:15], s[6:7], -v[16:17]
	v_add_f64 v[8:9], v[8:9], -v[10:11]
	v_fma_f64 v[10:11], v[14:15], s[8:9], v[18:19]
	v_fma_f64 v[10:11], v[8:9], s[6:7], v[10:11]
	v_add_f64 v[8:9], v[16:17], v[10:11]
	v_add_f64 v[14:15], v[8:9], -v[16:17]
	v_add_f64 v[10:11], v[10:11], -v[14:15]
	s_andn2_saveexec_b64 s[4:5], s[4:5]
	s_cbranch_execnz .LBB10_127
	s_branch .LBB10_128
.LBB10_126:
	s_andn2_saveexec_b64 s[4:5], s[4:5]
	s_cbranch_execz .LBB10_128
.LBB10_127:
	s_mov_b32 s6, 0x6dc9c883
	s_mov_b32 s7, 0x3fe45f30
	v_mul_f64 v[8:9], |v[0:1]|, s[6:7]
	s_mov_b32 s6, 0x54442d18
	s_mov_b32 s7, 0xbff921fb
	;; [unrolled: 1-line block ×4, first 2 shown]
	v_rndne_f64_e32 v[14:15], v[8:9]
	v_fma_f64 v[8:9], v[14:15], s[6:7], |v[0:1]|
	v_mul_f64 v[10:11], v[14:15], s[8:9]
	s_mov_b32 s6, 0x252049c0
	s_mov_b32 s7, 0xb97b839a
	v_cvt_i32_f64_e32 v31, v[14:15]
	v_fma_f64 v[20:21], v[14:15], s[8:9], v[8:9]
	v_add_f64 v[16:17], v[8:9], v[10:11]
	s_mov_b32 s9, 0x3c91a626
	v_add_f64 v[18:19], v[8:9], -v[16:17]
	v_add_f64 v[16:17], v[16:17], -v[20:21]
	v_add_f64 v[8:9], v[18:19], v[10:11]
	v_fma_f64 v[10:11], v[14:15], s[8:9], v[10:11]
	v_add_f64 v[8:9], v[16:17], v[8:9]
	v_add_f64 v[8:9], v[8:9], -v[10:11]
	v_fma_f64 v[10:11], v[14:15], s[6:7], v[8:9]
	v_add_f64 v[8:9], v[20:21], v[10:11]
	v_add_f64 v[16:17], v[8:9], -v[20:21]
	v_add_f64 v[10:11], v[10:11], -v[16:17]
.LBB10_128:
	s_or_b64 exec, exec, s[4:5]
	s_mov_b32 s14, 0
	s_mov_b32 s15, 0x40390000
	v_div_scale_f64 v[14:15], s[4:5], v[12:13], v[12:13], s[14:15]
	s_mov_b32 s20, 0xb35dd1cf
	s_mov_b32 s24, 0xab5454e3
	;; [unrolled: 1-line block ×14, first 2 shown]
	v_rcp_f64_e32 v[16:17], v[14:15]
	s_mov_b32 s4, 0xa59425a1
	s_mov_b32 s26, 0xed423a19
	;; [unrolled: 1-line block ×5, first 2 shown]
	s_brev_b32 s45, 8
	v_mov_b32_e32 v46, 0x100
	s_mov_b32 s28, 0x796cde01
	s_mov_b32 s29, 0x3ec71de3
	;; [unrolled: 1-line block ×6, first 2 shown]
	v_fma_f64 v[18:19], -v[14:15], v[16:17], 1.0
	v_fma_f64 v[16:17], v[16:17], v[18:19], v[16:17]
	v_div_scale_f64 v[18:19], vcc, s[14:15], v[12:13], s[14:15]
	v_fma_f64 v[20:21], -v[14:15], v[16:17], 1.0
	v_fma_f64 v[16:17], v[16:17], v[20:21], v[16:17]
	v_mul_f64 v[20:21], v[18:19], v[16:17]
	v_fma_f64 v[14:15], -v[14:15], v[20:21], v[18:19]
	v_div_fmas_f64 v[18:19], v[14:15], v[16:17], v[20:21]
	v_mov_b32_e32 v14, 0x983b6b27
	v_mov_b32_e32 v15, 0x3f4a1d30
	;; [unrolled: 1-line block ×6, first 2 shown]
	v_div_fixup_f64 v[12:13], v[18:19], v[12:13], s[14:15]
	v_mov_b32_e32 v18, 0x38a5384a
	v_mov_b32_e32 v19, 0xbf874742
	s_mov_b32 s14, 0xea1b21a1
	s_mov_b32 s15, 0x40218618
	v_fma_f64 v[16:17], v[12:13], 0, v[16:17]
	v_fma_f64 v[14:15], v[12:13], 0, v[14:15]
	;; [unrolled: 1-line block ×6, first 2 shown]
	s_mov_b32 s20, 0x3a321174
	s_mov_b32 s21, 0xbff4853b
	v_fma_f64 v[18:19], v[12:13], v[18:19], s[20:21]
	s_mov_b32 s20, 0xb1759c7f
	s_mov_b32 s21, 0x408ac370
	v_fma_f64 v[20:21], v[12:13], v[20:21], s[20:21]
	v_fma_f64 v[16:17], v[12:13], v[16:17], s[22:23]
	v_fma_f64 v[14:15], v[12:13], v[14:15], s[16:17]
	s_mov_b32 s16, 0xf50e2c0c
	s_mov_b32 s17, 0xc0338dcf
	v_fma_f64 v[18:19], v[12:13], v[18:19], s[16:17]
	s_mov_b32 s16, 0xbd748cb5
	s_mov_b32 s17, 0x40ae54cd
	v_fma_f64 v[20:21], v[12:13], v[20:21], s[16:17]
	v_fma_f64 v[16:17], v[12:13], v[16:17], s[18:19]
	v_fma_f64 v[14:15], v[12:13], v[14:15], s[8:9]
	;; [unrolled: 8-line block ×4, first 2 shown]
	s_mov_b32 s4, 0xec17392d
	s_mov_b32 s5, 0xc062627a
	v_fma_f64 v[18:19], v[12:13], v[18:19], s[4:5]
	s_mov_b32 s4, 0x55b218cd
	s_mov_b32 s6, 0xc7319e82
	;; [unrolled: 1-line block ×3, first 2 shown]
	v_fma_f64 v[14:15], v[12:13], v[16:17], 1.0
	v_fma_f64 v[16:17], v[12:13], v[22:23], 1.0
	s_mov_b32 s7, 0x40a01c2f
	v_fma_f64 v[22:23], v[12:13], v[20:21], s[6:7]
	v_fma_f64 v[24:25], v[12:13], v[18:19], s[4:5]
	s_mov_b32 s6, 0x6280a54
	s_mov_b32 s14, 0
	;; [unrolled: 1-line block ×4, first 2 shown]
	v_div_scale_f64 v[20:21], s[4:5], v[14:15], v[14:15], v[16:17]
	s_mov_b32 s4, 0xd1b9a1dd
	s_mov_b32 s5, 0xc0183358
	v_fma_f64 v[18:19], v[12:13], v[22:23], s[6:7]
	v_fma_f64 v[12:13], v[12:13], v[24:25], s[4:5]
	v_div_scale_f64 v[26:27], s[4:5], v[4:5], v[4:5], s[14:15]
	v_div_scale_f64 v[38:39], vcc, v[16:17], v[14:15], v[16:17]
	v_mul_f64 v[22:23], v[2:3], v[2:3]
	s_mov_b32 s24, 0xb42fdfa7
	s_mov_b32 s25, 0xbe5ae600
	v_div_scale_f64 v[28:29], s[4:5], v[18:19], v[18:19], v[12:13]
	v_div_scale_f64 v[54:55], s[8:9], v[12:13], v[18:19], v[12:13]
	v_rcp_f64_e32 v[24:25], v[20:21]
	s_mov_b32 s4, 0x9037ab78
	s_mov_b32 s5, 0x3e21eeb6
	;; [unrolled: 1-line block ×3, first 2 shown]
	v_mov_b32_e32 v45, s25
	v_rcp_f64_e32 v[32:33], v[26:27]
	s_mov_b32 s27, 0x3de5e0b2
	v_mov_b32_e32 v44, s24
	v_fma_f64 v[56:57], v[22:23], s[26:27], v[44:45]
	s_mov_b32 s18, 0x46cc5e42
	s_mov_b32 s19, 0xbda907db
	;; [unrolled: 1-line block ×3, first 2 shown]
	v_rcp_f64_e32 v[34:35], v[28:29]
	s_mov_b32 s17, 0xbe927e4f
	s_mov_b32 s22, 0x19f4ec90
	;; [unrolled: 1-line block ×3, first 2 shown]
	v_fma_f64 v[36:37], -v[20:21], v[24:25], 1.0
	s_mov_b32 s20, 0x16c16967
	s_mov_b32 s21, 0xbf56c16c
	v_fma_f64 v[24:25], v[24:25], v[36:37], v[24:25]
	v_fma_f64 v[36:37], -v[26:27], v[32:33], 1.0
	v_fma_f64 v[48:49], -v[28:29], v[34:35], 1.0
	;; [unrolled: 1-line block ×3, first 2 shown]
	v_fma_f64 v[32:33], v[32:33], v[36:37], v[32:33]
	v_mul_f64 v[36:37], v[8:9], v[8:9]
	v_fma_f64 v[34:35], v[34:35], v[48:49], v[34:35]
	v_mul_f64 v[48:49], v[6:7], 0.5
	v_fma_f64 v[24:25], v[24:25], v[50:51], v[24:25]
	v_div_scale_f64 v[50:51], s[6:7], s[14:15], v[4:5], s[14:15]
	v_fma_f64 v[52:53], -v[26:27], v[32:33], 1.0
	v_fma_f64 v[40:41], -v[28:29], v[34:35], 1.0
	v_mul_f64 v[42:43], v[38:39], v[24:25]
	v_fma_f64 v[32:33], v[32:33], v[52:53], v[32:33]
	v_mov_b32_e32 v53, s5
	v_mov_b32_e32 v52, s4
	v_fma_f64 v[34:35], v[34:35], v[40:41], v[34:35]
	v_cmp_gt_f64_e64 s[4:5], s[44:45], v[4:5]
	v_fma_f64 v[38:39], -v[20:21], v[42:43], v[38:39]
	v_mul_f64 v[40:41], v[50:51], v[32:33]
	v_mul_f64 v[58:59], v[54:55], v[34:35]
	v_cndmask_b32_e64 v20, 0, v46, s[4:5]
	v_mul_f64 v[46:47], v[22:23], 0.5
	v_div_fmas_f64 v[24:25], v[38:39], v[24:25], v[42:43]
	v_mul_f64 v[38:39], v[36:37], 0.5
	v_fma_f64 v[26:27], -v[26:27], v[40:41], v[50:51]
	v_fma_f64 v[50:51], v[36:37], s[26:27], v[44:45]
	v_ldexp_f64 v[20:21], v[4:5], v20
	v_fma_f64 v[44:45], v[22:23], v[56:57], s[28:29]
	v_fma_f64 v[42:43], v[22:23], s[18:19], v[52:53]
	;; [unrolled: 1-line block ×3, first 2 shown]
	v_add_f64 v[56:57], -v[46:47], 1.0
	v_fma_f64 v[28:29], -v[28:29], v[58:59], v[54:55]
	v_add_f64 v[54:55], -v[38:39], 1.0
	v_fma_f64 v[50:51], v[36:37], v[50:51], s[28:29]
	s_mov_b64 vcc, s[6:7]
	v_div_fmas_f64 v[32:33], v[26:27], v[32:33], v[40:41]
	v_rsq_f64_e32 v[26:27], v[20:21]
	v_fma_f64 v[40:41], v[22:23], v[44:45], s[40:41]
	s_mov_b64 vcc, s[8:9]
	v_add_f64 v[44:45], -v[56:57], 1.0
	v_div_fmas_f64 v[28:29], v[28:29], v[34:35], v[58:59]
	v_add_f64 v[34:35], -v[54:55], 1.0
	v_fma_f64 v[52:53], v[36:37], v[52:53], s[16:17]
	v_fma_f64 v[50:51], v[36:37], v[50:51], s[40:41]
	v_mul_f64 v[58:59], v[2:3], -v[22:23]
	v_fma_f64 v[40:41], v[22:23], v[40:41], s[42:43]
	v_fma_f64 v[42:43], v[22:23], v[42:43], s[16:17]
	v_add_f64 v[44:45], v[44:45], -v[46:47]
	v_mul_f64 v[46:47], v[10:11], 0.5
	v_add_f64 v[34:35], v[34:35], -v[38:39]
	v_mul_f64 v[38:39], v[8:9], -v[36:37]
	v_fma_f64 v[52:53], v[36:37], v[52:53], s[22:23]
	v_fma_f64 v[50:51], v[36:37], v[50:51], s[42:43]
	;; [unrolled: 1-line block ×3, first 2 shown]
	v_mul_f64 v[40:41], v[20:21], v[26:27]
	v_mul_f64 v[60:61], v[26:27], 0.5
	v_fma_f64 v[42:43], v[22:23], v[42:43], s[22:23]
	s_mov_b32 s6, 0x55555555
	s_mov_b32 s7, 0x3fa55555
	v_fma_f64 v[52:53], v[36:37], v[52:53], s[20:21]
	v_fma_f64 v[50:51], v[38:39], v[50:51], v[46:47]
	v_fma_f64 v[48:49], v[22:23], v[48:49], -v[6:7]
	s_mov_b32 s9, 0xbfc55555
	v_fma_f64 v[46:47], -v[60:61], v[40:41], 0.5
	v_fma_f64 v[42:43], v[22:23], v[42:43], s[20:21]
	s_mov_b32 s8, s6
	v_fma_f64 v[44:45], v[2:3], -v[6:7], v[44:45]
	v_fma_f64 v[52:53], v[36:37], v[52:53], s[6:7]
	v_fma_f64 v[50:51], v[36:37], v[50:51], -v[10:11]
	v_mul_f64 v[36:37], v[36:37], v[36:37]
	v_fma_f64 v[10:11], v[8:9], -v[10:11], v[34:35]
	v_fma_f64 v[40:41], v[40:41], v[46:47], v[40:41]
	v_fma_f64 v[42:43], v[22:23], v[42:43], s[6:7]
	v_mul_f64 v[22:23], v[22:23], v[22:23]
	v_fma_f64 v[6:7], v[60:61], v[46:47], v[60:61]
	v_fma_f64 v[34:35], v[58:59], s[8:9], v[48:49]
	v_div_fixup_f64 v[4:5], v[32:33], v[4:5], s[14:15]
	v_div_fixup_f64 v[12:13], v[28:29], v[18:19], v[12:13]
	v_fma_f64 v[10:11], v[36:37], v[52:53], v[10:11]
	v_fma_f64 v[36:37], v[38:39], s[8:9], v[50:51]
	v_fma_f64 v[48:49], -v[40:41], v[40:41], v[20:21]
	v_fma_f64 v[22:23], v[22:23], v[42:43], v[44:45]
	s_movk_i32 s16, 0x1f8
	v_add_f64 v[2:3], v[2:3], -v[34:35]
	v_cmp_class_f64_e64 s[6:7], v[0:1], s16
	v_mul_f64 v[4:5], v[4:5], v[12:13]
	v_add_f64 v[10:11], v[54:55], v[10:11]
	v_add_f64 v[8:9], v[8:9], -v[36:37]
	v_fma_f64 v[34:35], v[48:49], v[6:7], v[40:41]
	v_and_b32_e32 v42, 1, v31
	v_lshlrev_b32_e32 v31, 30, v31
	v_xor_b32_e32 v31, v31, v1
	v_cmp_eq_u32_e64 s[8:9], 0, v42
	v_add_f64 v[22:23], v[56:57], v[22:23]
	v_and_b32_e32 v18, 0x80000000, v31
	v_cndmask_b32_e64 v9, v11, v9, s[8:9]
	v_mov_b32_e32 v26, 0x7ff80000
	v_cndmask_b32_e64 v8, v10, v8, s[8:9]
	v_xor_b32_e32 v9, v9, v18
	v_fma_f64 v[0:1], -v[34:35], v[34:35], v[20:21]
	v_cndmask_b32_e64 v8, 0, v8, s[6:7]
	v_cndmask_b32_e64 v9, v26, v9, s[6:7]
	v_div_fixup_f64 v[10:11], v[24:25], v[14:15], v[16:17]
	v_mul_f64 v[4:5], v[4:5], v[8:9]
	v_and_b32_e32 v27, 1, v30
	v_cmp_eq_u32_e32 vcc, 0, v27
	v_lshlrev_b32_e32 v8, 30, v30
	v_xor_b32_e32 v3, 0x80000000, v3
	v_and_b32_e32 v8, 0x80000000, v8
	v_cndmask_b32_e32 v3, v3, v23, vcc
	v_cndmask_b32_e32 v2, v2, v22, vcc
	v_xor_b32_e32 v3, v3, v8
	v_cndmask_b32_e64 v2, 0, v2, s[6:7]
	v_fma_f64 v[0:1], v[0:1], v[6:7], v[34:35]
	v_cndmask_b32_e64 v3, v26, v3, s[6:7]
	v_fma_f64 v[2:3], v[10:11], v[2:3], v[4:5]
	v_mov_b32_e32 v4, 0xffffff80
	s_mov_b32 s6, 0x33d43651
	v_mov_b32_e32 v5, 0x260
	v_cndmask_b32_e64 v4, 0, v4, s[4:5]
	s_mov_b32 s7, 0x3fe98845
	v_ldexp_f64 v[0:1], v[0:1], v4
	v_cmp_class_f64_e32 vcc, v[20:21], v5
	v_mul_f64 v[2:3], v[2:3], s[6:7]
	v_cndmask_b32_e32 v1, v1, v21, vcc
	v_cndmask_b32_e32 v0, v0, v20, vcc
	v_div_scale_f64 v[4:5], s[4:5], v[0:1], v[0:1], v[2:3]
	v_div_scale_f64 v[10:11], vcc, v[2:3], v[0:1], v[2:3]
	v_rcp_f64_e32 v[6:7], v[4:5]
	v_fma_f64 v[8:9], -v[4:5], v[6:7], 1.0
	v_fma_f64 v[6:7], v[6:7], v[8:9], v[6:7]
	v_fma_f64 v[8:9], -v[4:5], v[6:7], 1.0
	v_fma_f64 v[6:7], v[6:7], v[8:9], v[6:7]
	v_mul_f64 v[8:9], v[10:11], v[6:7]
	v_fma_f64 v[4:5], -v[4:5], v[8:9], v[10:11]
	v_div_fmas_f64 v[4:5], v[4:5], v[6:7], v[8:9]
	v_div_fixup_f64 v[0:1], v[4:5], v[0:1], v[2:3]
.LBB10_129:
	s_or_b64 exec, exec, s[12:13]
.LBB10_130:
	s_or_b64 exec, exec, s[10:11]
	buffer_load_dword v61, off, s[0:3], s32 ; 4-byte Folded Reload
	buffer_load_dword v60, off, s[0:3], s32 offset:4 ; 4-byte Folded Reload
	buffer_load_dword v59, off, s[0:3], s32 offset:8 ; 4-byte Folded Reload
	;; [unrolled: 1-line block ×13, first 2 shown]
	s_waitcnt vmcnt(0) lgkmcnt(0)
	s_setpc_b64 s[30:31]
.Lfunc_end10:
	.size	_ZN2at6native6invokeIZZZNS0_12_GLOBAL__N_121bessel_j0_kernel_cudaERNS_18TensorIteratorBaseEENKUlvE_clEvENKUlvE_clEvEUldE_j15function_traitsIS7_EEENT1_11result_typeERKT_PrKPcPKT0_PKN3c1010ScalarTypeEi, .Lfunc_end10-_ZN2at6native6invokeIZZZNS0_12_GLOBAL__N_121bessel_j0_kernel_cudaERNS_18TensorIteratorBaseEENKUlvE_clEvENKUlvE_clEvEUldE_j15function_traitsIS7_EEENT1_11result_typeERKT_PrKPcPKT0_PKN3c1010ScalarTypeEi
                                        ; -- End function
	.set .L_ZN2at6native6invokeIZZZNS0_12_GLOBAL__N_121bessel_j0_kernel_cudaERNS_18TensorIteratorBaseEENKUlvE_clEvENKUlvE_clEvEUldE_j15function_traitsIS7_EEENT1_11result_typeERKT_PrKPcPKT0_PKN3c1010ScalarTypeEi.num_vgpr, 62
	.set .L_ZN2at6native6invokeIZZZNS0_12_GLOBAL__N_121bessel_j0_kernel_cudaERNS_18TensorIteratorBaseEENKUlvE_clEvENKUlvE_clEvEUldE_j15function_traitsIS7_EEENT1_11result_typeERKT_PrKPcPKT0_PKN3c1010ScalarTypeEi.num_agpr, 0
	.set .L_ZN2at6native6invokeIZZZNS0_12_GLOBAL__N_121bessel_j0_kernel_cudaERNS_18TensorIteratorBaseEENKUlvE_clEvENKUlvE_clEvEUldE_j15function_traitsIS7_EEENT1_11result_typeERKT_PrKPcPKT0_PKN3c1010ScalarTypeEi.numbered_sgpr, 46
	.set .L_ZN2at6native6invokeIZZZNS0_12_GLOBAL__N_121bessel_j0_kernel_cudaERNS_18TensorIteratorBaseEENKUlvE_clEvENKUlvE_clEvEUldE_j15function_traitsIS7_EEENT1_11result_typeERKT_PrKPcPKT0_PKN3c1010ScalarTypeEi.num_named_barrier, 0
	.set .L_ZN2at6native6invokeIZZZNS0_12_GLOBAL__N_121bessel_j0_kernel_cudaERNS_18TensorIteratorBaseEENKUlvE_clEvENKUlvE_clEvEUldE_j15function_traitsIS7_EEENT1_11result_typeERKT_PrKPcPKT0_PKN3c1010ScalarTypeEi.private_seg_size, 60
	.set .L_ZN2at6native6invokeIZZZNS0_12_GLOBAL__N_121bessel_j0_kernel_cudaERNS_18TensorIteratorBaseEENKUlvE_clEvENKUlvE_clEvEUldE_j15function_traitsIS7_EEENT1_11result_typeERKT_PrKPcPKT0_PKN3c1010ScalarTypeEi.uses_vcc, 1
	.set .L_ZN2at6native6invokeIZZZNS0_12_GLOBAL__N_121bessel_j0_kernel_cudaERNS_18TensorIteratorBaseEENKUlvE_clEvENKUlvE_clEvEUldE_j15function_traitsIS7_EEENT1_11result_typeERKT_PrKPcPKT0_PKN3c1010ScalarTypeEi.uses_flat_scratch, 0
	.set .L_ZN2at6native6invokeIZZZNS0_12_GLOBAL__N_121bessel_j0_kernel_cudaERNS_18TensorIteratorBaseEENKUlvE_clEvENKUlvE_clEvEUldE_j15function_traitsIS7_EEENT1_11result_typeERKT_PrKPcPKT0_PKN3c1010ScalarTypeEi.has_dyn_sized_stack, 0
	.set .L_ZN2at6native6invokeIZZZNS0_12_GLOBAL__N_121bessel_j0_kernel_cudaERNS_18TensorIteratorBaseEENKUlvE_clEvENKUlvE_clEvEUldE_j15function_traitsIS7_EEENT1_11result_typeERKT_PrKPcPKT0_PKN3c1010ScalarTypeEi.has_recursion, 0
	.set .L_ZN2at6native6invokeIZZZNS0_12_GLOBAL__N_121bessel_j0_kernel_cudaERNS_18TensorIteratorBaseEENKUlvE_clEvENKUlvE_clEvEUldE_j15function_traitsIS7_EEENT1_11result_typeERKT_PrKPcPKT0_PKN3c1010ScalarTypeEi.has_indirect_call, 0
	.section	.AMDGPU.csdata,"",@progbits
; Function info:
; codeLenInByte = 6924
; TotalNumSgprs: 50
; NumVgprs: 62
; ScratchSize: 60
; MemoryBound: 1
	.section	.text._ZN2at6native32elementwise_kernel_manual_unrollILi128ELi4EZNS0_15gpu_kernel_implIZZZNS0_12_GLOBAL__N_121bessel_j0_kernel_cudaERNS_18TensorIteratorBaseEENKUlvE_clEvENKUlvE_clEvEUldE_EEvS5_RKT_EUlibE0_EEviT1_,"axG",@progbits,_ZN2at6native32elementwise_kernel_manual_unrollILi128ELi4EZNS0_15gpu_kernel_implIZZZNS0_12_GLOBAL__N_121bessel_j0_kernel_cudaERNS_18TensorIteratorBaseEENKUlvE_clEvENKUlvE_clEvEUldE_EEvS5_RKT_EUlibE0_EEviT1_,comdat
	.globl	_ZN2at6native32elementwise_kernel_manual_unrollILi128ELi4EZNS0_15gpu_kernel_implIZZZNS0_12_GLOBAL__N_121bessel_j0_kernel_cudaERNS_18TensorIteratorBaseEENKUlvE_clEvENKUlvE_clEvEUldE_EEvS5_RKT_EUlibE0_EEviT1_ ; -- Begin function _ZN2at6native32elementwise_kernel_manual_unrollILi128ELi4EZNS0_15gpu_kernel_implIZZZNS0_12_GLOBAL__N_121bessel_j0_kernel_cudaERNS_18TensorIteratorBaseEENKUlvE_clEvENKUlvE_clEvEUldE_EEvS5_RKT_EUlibE0_EEviT1_
	.p2align	8
	.type	_ZN2at6native32elementwise_kernel_manual_unrollILi128ELi4EZNS0_15gpu_kernel_implIZZZNS0_12_GLOBAL__N_121bessel_j0_kernel_cudaERNS_18TensorIteratorBaseEENKUlvE_clEvENKUlvE_clEvEUldE_EEvS5_RKT_EUlibE0_EEviT1_,@function
_ZN2at6native32elementwise_kernel_manual_unrollILi128ELi4EZNS0_15gpu_kernel_implIZZZNS0_12_GLOBAL__N_121bessel_j0_kernel_cudaERNS_18TensorIteratorBaseEENKUlvE_clEvENKUlvE_clEvEUldE_EEvS5_RKT_EUlibE0_EEviT1_: ; @_ZN2at6native32elementwise_kernel_manual_unrollILi128ELi4EZNS0_15gpu_kernel_implIZZZNS0_12_GLOBAL__N_121bessel_j0_kernel_cudaERNS_18TensorIteratorBaseEENKUlvE_clEvENKUlvE_clEvEUldE_EEvS5_RKT_EUlibE0_EEviT1_
; %bb.0:
	s_load_dword s82, s[4:5], 0x0
	s_load_dword s33, s[4:5], 0x8
	s_add_u32 s0, s0, s7
	s_addc_u32 s1, s1, 0
	s_mov_b64 s[34:35], s[4:5]
	s_add_u32 s46, s34, 8
	s_addc_u32 s47, s35, 0
	v_lshl_or_b32 v41, s6, 9, v0
	s_waitcnt lgkmcnt(0)
	s_add_i32 s84, s33, -1
	v_or_b32_e32 v6, 0x180, v41
	s_cmp_gt_u32 s84, 1
	v_cmp_le_i32_e32 vcc, s82, v6
	s_cselect_b64 s[58:59], -1, 0
	s_mov_b64 s[56:57], 0
	s_mov_b64 s[48:49], 0
	s_movk_i32 s32, 0x1800
	s_and_saveexec_b64 s[4:5], vcc
	s_xor_b64 s[60:61], exec, s[4:5]
	s_cbranch_execz .LBB11_570
; %bb.1:
	v_mov_b32_e32 v0, 0
	global_load_ushort v0, v0, s[46:47] offset:345
	s_load_dwordx4 s[52:55], s[46:47], 0x4
	s_load_dwordx2 s[62:63], s[46:47], 0x14
	s_load_dwordx4 s[48:51], s[46:47], 0xc4
	s_load_dwordx4 s[36:39], s[46:47], 0x148
	s_cmp_lg_u32 s33, 0
	s_cselect_b64 s[68:69], -1, 0
	s_add_u32 s66, s46, 0xc4
	s_addc_u32 s67, s47, 0
	s_min_u32 s86, s84, 15
	v_mov_b32_e32 v1, 8
	s_cmp_gt_u32 s33, 1
	v_cmp_gt_i32_e32 vcc, s82, v41
	s_mov_b64 s[4:5], -1
	s_mov_b64 s[76:77], 0
	s_cselect_b64 s[64:65], -1, 0
	s_mov_b64 s[70:71], 0
	s_waitcnt vmcnt(0)
	v_readfirstlane_b32 s85, v0
	v_lshrrev_b32_sdwa v40, v1, v0 dst_sel:DWORD dst_unused:UNUSED_PAD src0_sel:DWORD src1_sel:WORD_0
	s_and_saveexec_b64 s[72:73], vcc
                                        ; implicit-def: $vgpr2_vgpr3
	s_cbranch_execz .LBB11_138
; %bb.2:
	s_andn2_b64 vcc, exec, s[58:59]
	s_cbranch_vccnz .LBB11_7
; %bb.3:
	s_andn2_b64 vcc, exec, s[68:69]
	s_cbranch_vccnz .LBB11_8
; %bb.4:
	s_add_i32 s29, s86, 1
	s_cmp_eq_u32 s84, 2
	s_cbranch_scc1 .LBB11_9
; %bb.5:
	s_and_b32 s28, s29, 28
	v_mov_b32_e32 v2, 0
	s_mov_b32 s30, 0
	s_mov_b64 s[24:25], s[46:47]
	s_mov_b64 s[26:27], s[66:67]
	v_mov_b32_e32 v62, 0
	v_mov_b32_e32 v0, v41
.LBB11_6:                               ; =>This Inner Loop Header: Depth=1
	s_load_dwordx8 s[12:19], s[24:25], 0x4
	s_load_dwordx4 s[20:23], s[24:25], 0x24
	s_load_dwordx8 s[4:11], s[26:27], 0x0
	s_add_u32 s24, s24, 48
	s_addc_u32 s25, s25, 0
	s_waitcnt lgkmcnt(0)
	v_mul_hi_u32 v1, s13, v0
	s_add_i32 s30, s30, 4
	s_add_u32 s26, s26, 32
	s_addc_u32 s27, s27, 0
	v_add_u32_e32 v1, v0, v1
	v_lshrrev_b32_e32 v1, s14, v1
	v_mul_lo_u32 v3, v1, s12
	v_mul_hi_u32 v4, s16, v1
	s_cmp_lg_u32 s28, s30
	v_sub_u32_e32 v0, v0, v3
	v_add_u32_e32 v3, v1, v4
	v_mul_lo_u32 v4, v0, s4
	v_mul_lo_u32 v5, v0, s5
	v_lshrrev_b32_e32 v0, s17, v3
	v_mul_lo_u32 v3, v0, s15
	v_mul_hi_u32 v6, s19, v0
	v_sub_u32_e32 v1, v1, v3
	v_add_u32_e32 v3, v0, v6
	v_lshrrev_b32_e32 v3, s20, v3
	v_mul_hi_u32 v7, s22, v3
	v_mul_lo_u32 v8, v3, s18
	v_mul_lo_u32 v6, v1, s6
	;; [unrolled: 1-line block ×3, first 2 shown]
	v_sub_u32_e32 v8, v0, v8
	v_add_u32_e32 v0, v3, v7
	v_lshrrev_b32_e32 v0, s23, v0
	v_mul_lo_u32 v7, v0, s21
	v_mul_lo_u32 v9, v8, s8
	;; [unrolled: 1-line block ×3, first 2 shown]
	v_add3_u32 v4, v4, v62, v6
	v_sub_u32_e32 v3, v3, v7
	v_mul_lo_u32 v7, v3, s10
	v_mul_lo_u32 v3, v3, s11
	v_add3_u32 v1, v5, v2, v1
	v_add3_u32 v62, v9, v4, v7
	;; [unrolled: 1-line block ×3, first 2 shown]
	s_cbranch_scc1 .LBB11_6
	s_branch .LBB11_10
.LBB11_7:
                                        ; implicit-def: $vgpr62
                                        ; implicit-def: $vgpr2
	s_andn2_b64 vcc, exec, s[4:5]
	s_cbranch_vccz .LBB11_14
	s_branch .LBB11_16
.LBB11_8:
	v_mov_b32_e32 v62, 0
	v_mov_b32_e32 v2, 0
	s_branch .LBB11_13
.LBB11_9:
	s_mov_b32 s28, 0
	v_mov_b32_e32 v62, 0
	v_mov_b32_e32 v2, 0
	v_mov_b32_e32 v0, v41
.LBB11_10:
	s_and_b32 s8, s29, 3
	s_cmp_eq_u32 s8, 0
	s_cbranch_scc1 .LBB11_13
; %bb.11:
	s_lshl_b32 s4, s28, 3
	s_add_u32 s4, s46, s4
	s_addc_u32 s5, s47, 0
	s_add_u32 s4, s4, 0xc4
	s_addc_u32 s5, s5, 0
	s_mul_i32 s6, s28, 12
	s_add_u32 s6, s46, s6
	s_addc_u32 s7, s47, 0
.LBB11_12:                              ; =>This Inner Loop Header: Depth=1
	s_load_dwordx2 s[10:11], s[6:7], 0x4
	s_load_dword s9, s[6:7], 0xc
	s_load_dwordx2 s[12:13], s[4:5], 0x0
	s_add_u32 s6, s6, 12
	s_addc_u32 s7, s7, 0
	s_waitcnt lgkmcnt(0)
	v_mul_hi_u32 v1, s11, v0
	s_add_u32 s4, s4, 8
	s_addc_u32 s5, s5, 0
	s_add_i32 s8, s8, -1
	v_add_u32_e32 v1, v0, v1
	v_lshrrev_b32_e32 v1, s9, v1
	v_mul_lo_u32 v3, v1, s10
	s_cmp_lg_u32 s8, 0
	v_sub_u32_e32 v0, v0, v3
	v_mad_u64_u32 v[62:63], s[10:11], v0, s12, v[62:63]
	v_mad_u64_u32 v[2:3], s[10:11], v0, s13, v[2:3]
	v_mov_b32_e32 v0, v1
	s_cbranch_scc1 .LBB11_12
.LBB11_13:
	s_cbranch_execnz .LBB11_16
.LBB11_14:
	s_waitcnt lgkmcnt(0)
	v_mul_hi_u32 v0, s53, v41
	s_andn2_b64 vcc, exec, s[64:65]
	v_add_u32_e32 v0, v41, v0
	v_lshrrev_b32_e32 v0, s54, v0
	v_mul_lo_u32 v1, v0, s52
	v_sub_u32_e32 v1, v41, v1
	v_mul_lo_u32 v62, v1, s48
	v_mul_lo_u32 v2, v1, s49
	s_cbranch_vccnz .LBB11_16
; %bb.15:
	v_mul_hi_u32 v1, s62, v0
	v_add_u32_e32 v1, v0, v1
	v_lshrrev_b32_e32 v1, s63, v1
	v_mul_lo_u32 v1, v1, s55
	v_sub_u32_e32 v0, v0, v1
	v_mad_u64_u32 v[62:63], s[4:5], v0, s50, v[62:63]
	v_mad_u64_u32 v[2:3], s[4:5], v0, s51, v[2:3]
.LBB11_16:
	s_getpc_b64 s[4:5]
	s_add_u32 s4, s4, _ZN2at6native6invokeIZZZNS0_12_GLOBAL__N_121bessel_j0_kernel_cudaERNS_18TensorIteratorBaseEENKUlvE_clEvENKUlvE_clEvEUldE_j15function_traitsIS7_EEENT1_11result_typeERKT_PrKPcPKT0_PKN3c1010ScalarTypeEi@rel32@lo+4
	s_addc_u32 s5, s5, _ZN2at6native6invokeIZZZNS0_12_GLOBAL__N_121bessel_j0_kernel_cudaERNS_18TensorIteratorBaseEENKUlvE_clEvENKUlvE_clEvEUldE_j15function_traitsIS7_EEENT1_11result_typeERKT_PrKPcPKT0_PKN3c1010ScalarTypeEi@rel32@hi+12
	s_waitcnt lgkmcnt(0)
	v_mov_b32_e32 v0, s38
	v_mov_b32_e32 v1, s39
	;; [unrolled: 1-line block ×3, first 2 shown]
	s_swappc_b64 s[30:31], s[4:5]
	v_mov_b32_e32 v2, s37
	s_and_b32 s12, s85, 0xff
	v_add_co_u32_e32 v4, vcc, s36, v62
	s_cmp_lt_i32 s12, 11
	v_addc_co_u32_e32 v5, vcc, 0, v2, vcc
	s_cbranch_scc1 .LBB11_23
; %bb.17:
	s_and_b32 s13, 0xffff, s12
	s_cmp_gt_i32 s13, 25
	s_cbranch_scc0 .LBB11_26
; %bb.18:
	s_cmp_gt_i32 s13, 28
	s_cbranch_scc0 .LBB11_27
; %bb.19:
	;; [unrolled: 3-line block ×4, first 2 shown]
	s_mov_b64 s[8:9], 0
	s_mov_b64 s[4:5], -1
	s_cmp_eq_u32 s13, 46
	s_mov_b64 s[6:7], 0
	s_cbranch_scc0 .LBB11_30
; %bb.22:
	v_cvt_f32_f64_e32 v2, v[0:1]
	s_movk_i32 s4, 0x7fff
	v_mov_b32_e32 v3, 0x7fc0
	s_mov_b64 s[6:7], -1
	v_bfe_u32 v6, v2, 16, 1
	v_cmp_o_f32_e32 vcc, v2, v2
	v_add3_u32 v2, v2, v6, s4
	v_cndmask_b32_sdwa v2, v3, v2, vcc dst_sel:DWORD dst_unused:UNUSED_PAD src0_sel:DWORD src1_sel:WORD_1
	global_store_dword v[4:5], v2, off
	s_mov_b64 s[4:5], 0
	s_branch .LBB11_30
.LBB11_23:
	s_mov_b64 s[4:5], 0
	s_mov_b64 s[6:7], 0
	s_cbranch_execnz .LBB11_98
.LBB11_24:
	s_andn2_b64 vcc, exec, s[6:7]
	s_cbranch_vccnz .LBB11_136
.LBB11_25:
	v_add_u32_e32 v41, 0x80, v41
	s_mov_b64 s[6:7], -1
	s_branch .LBB11_137
.LBB11_26:
	s_mov_b64 s[4:5], 0
	s_mov_b64 s[6:7], 0
	s_cbranch_execnz .LBB11_57
	s_branch .LBB11_97
.LBB11_27:
	s_mov_b64 s[8:9], -1
	s_mov_b64 s[4:5], 0
	s_mov_b64 s[6:7], 0
	s_branch .LBB11_40
.LBB11_28:
	s_mov_b64 s[8:9], -1
	s_mov_b64 s[4:5], 0
	s_mov_b64 s[6:7], 0
	s_branch .LBB11_36
.LBB11_29:
	s_mov_b64 s[8:9], -1
	s_mov_b64 s[4:5], 0
	s_mov_b64 s[6:7], 0
.LBB11_30:
	s_and_b64 vcc, exec, s[8:9]
	s_cbranch_vccz .LBB11_35
; %bb.31:
	s_cmp_eq_u32 s13, 44
	s_mov_b64 s[4:5], -1
	s_cbranch_scc0 .LBB11_35
; %bb.32:
	v_cvt_f32_f64_e32 v2, v[0:1]
	s_movk_i32 s4, 0xff
	v_mov_b32_e32 v6, 0xff
	v_bfe_u32 v3, v2, 23, 8
	v_cmp_ne_u32_e32 vcc, s4, v3
	s_and_saveexec_b64 s[6:7], vcc
; %bb.33:
	s_mov_b32 s4, 0x3fffff
	v_lshrrev_b32_e32 v6, 23, v2
	v_and_b32_e32 v7, 0x400000, v2
	v_and_or_b32 v2, v2, s4, v3
	v_cmp_ne_u32_e32 vcc, 0, v7
	v_cmp_ne_u32_e64 s[4:5], 0, v2
	s_and_b64 s[4:5], vcc, s[4:5]
	v_cndmask_b32_e64 v2, 0, 1, s[4:5]
	v_add_u32_e32 v6, v6, v2
; %bb.34:
	s_or_b64 exec, exec, s[6:7]
	s_mov_b64 s[6:7], -1
	s_mov_b64 s[4:5], 0
	global_store_byte v[4:5], v6, off
.LBB11_35:
	s_mov_b64 s[8:9], 0
.LBB11_36:
	s_and_b64 vcc, exec, s[8:9]
	s_cbranch_vccz .LBB11_39
; %bb.37:
	s_cmp_eq_u32 s13, 29
	s_mov_b64 s[4:5], -1
	s_cbranch_scc0 .LBB11_39
; %bb.38:
	v_trunc_f64_e32 v[2:3], v[0:1]
	s_movk_i32 s4, 0xffe0
	s_mov_b64 s[6:7], -1
	s_mov_b64 s[8:9], 0
	v_ldexp_f64 v[6:7], v[2:3], s4
	s_mov_b32 s4, 0
	s_mov_b32 s5, 0xc1f00000
	v_floor_f64_e32 v[6:7], v[6:7]
	v_fma_f64 v[2:3], v[6:7], s[4:5], v[2:3]
	v_cvt_u32_f64_e32 v7, v[6:7]
	s_mov_b64 s[4:5], 0
	v_cvt_u32_f64_e32 v6, v[2:3]
	global_store_dwordx2 v[4:5], v[6:7], off
	s_branch .LBB11_40
.LBB11_39:
	s_mov_b64 s[8:9], 0
.LBB11_40:
	s_and_b64 vcc, exec, s[8:9]
	s_cbranch_vccz .LBB11_56
; %bb.41:
	s_cmp_lt_i32 s13, 27
	s_mov_b64 s[6:7], -1
	s_cbranch_scc1 .LBB11_47
; %bb.42:
	s_cmp_gt_i32 s13, 27
	s_cbranch_scc0 .LBB11_44
; %bb.43:
	v_cvt_u32_f64_e32 v2, v[0:1]
	s_mov_b64 s[6:7], 0
	global_store_dword v[4:5], v2, off
.LBB11_44:
	s_andn2_b64 vcc, exec, s[6:7]
	s_cbranch_vccnz .LBB11_46
; %bb.45:
	v_cvt_u32_f64_e32 v2, v[0:1]
	global_store_short v[4:5], v2, off
.LBB11_46:
	s_mov_b64 s[6:7], 0
.LBB11_47:
	s_andn2_b64 vcc, exec, s[6:7]
	s_cbranch_vccnz .LBB11_55
; %bb.48:
	v_cvt_f32_f64_e32 v2, v[0:1]
	s_mov_b32 s6, 0x43800000
	v_mov_b32_e32 v6, 0x80
	v_and_b32_e32 v3, 0x7fffffff, v2
	v_cmp_gt_u32_e32 vcc, s6, v3
	s_and_saveexec_b64 s[6:7], vcc
	s_cbranch_execz .LBB11_54
; %bb.49:
	s_mov_b32 s8, 0x3bffffff
	v_cmp_lt_u32_e32 vcc, s8, v3
	s_mov_b64 s[8:9], 0
                                        ; implicit-def: $vgpr3
	s_and_saveexec_b64 s[10:11], vcc
	s_xor_b64 s[10:11], exec, s[10:11]
	s_cbranch_execz .LBB11_169
; %bb.50:
	v_bfe_u32 v3, v2, 20, 1
	s_mov_b32 s14, 0x487ffff
	v_add3_u32 v3, v2, v3, s14
	s_mov_b64 s[8:9], exec
	v_lshrrev_b32_e32 v3, 20, v3
	s_andn2_saveexec_b64 s[10:11], s[10:11]
	s_cbranch_execnz .LBB11_170
.LBB11_51:
	s_or_b64 exec, exec, s[10:11]
	v_mov_b32_e32 v6, 0
	s_and_saveexec_b64 s[10:11], s[8:9]
.LBB11_52:
	v_lshrrev_b32_e32 v2, 24, v2
	s_movk_i32 s8, 0x80
	v_and_or_b32 v6, v2, s8, v3
.LBB11_53:
	s_or_b64 exec, exec, s[10:11]
.LBB11_54:
	s_or_b64 exec, exec, s[6:7]
	global_store_byte v[4:5], v6, off
.LBB11_55:
	s_mov_b64 s[6:7], -1
.LBB11_56:
	s_branch .LBB11_97
.LBB11_57:
	s_cmp_gt_i32 s13, 22
	s_mov_b64 s[8:9], -1
	s_cbranch_scc0 .LBB11_89
; %bb.58:
	s_cmp_lt_i32 s13, 24
	s_mov_b64 s[6:7], -1
	s_cbranch_scc1 .LBB11_78
; %bb.59:
	s_cmp_gt_i32 s13, 24
	s_cbranch_scc0 .LBB11_67
; %bb.60:
	v_cvt_f32_f64_e32 v2, v[0:1]
	s_mov_b32 s6, 0x47800000
	v_mov_b32_e32 v6, 0x80
	v_and_b32_e32 v3, 0x7fffffff, v2
	v_cmp_gt_u32_e32 vcc, s6, v3
	s_and_saveexec_b64 s[6:7], vcc
	s_cbranch_execz .LBB11_66
; %bb.61:
	s_mov_b32 s8, 0x37ffffff
	v_cmp_lt_u32_e32 vcc, s8, v3
	s_mov_b64 s[8:9], 0
                                        ; implicit-def: $vgpr3
	s_and_saveexec_b64 s[10:11], vcc
	s_xor_b64 s[10:11], exec, s[10:11]
	s_cbranch_execz .LBB11_172
; %bb.62:
	v_bfe_u32 v3, v2, 21, 1
	s_mov_b32 s14, 0x88fffff
	v_add3_u32 v3, v2, v3, s14
	s_mov_b64 s[8:9], exec
	v_lshrrev_b32_e32 v3, 21, v3
	s_andn2_saveexec_b64 s[10:11], s[10:11]
	s_cbranch_execnz .LBB11_173
.LBB11_63:
	s_or_b64 exec, exec, s[10:11]
	v_mov_b32_e32 v6, 0
	s_and_saveexec_b64 s[10:11], s[8:9]
.LBB11_64:
	v_lshrrev_b32_e32 v2, 24, v2
	s_movk_i32 s8, 0x80
	v_and_or_b32 v6, v2, s8, v3
.LBB11_65:
	s_or_b64 exec, exec, s[10:11]
.LBB11_66:
	s_or_b64 exec, exec, s[6:7]
	s_mov_b64 s[6:7], 0
	global_store_byte v[4:5], v6, off
.LBB11_67:
	s_and_b64 vcc, exec, s[6:7]
	s_cbranch_vccz .LBB11_77
; %bb.68:
	v_cvt_f32_f64_e32 v2, v[0:1]
	s_mov_b32 s6, 0x43f00000
                                        ; implicit-def: $vgpr3
	v_and_b32_e32 v6, 0x7fffffff, v2
	v_cmp_gt_u32_e32 vcc, s6, v6
	s_and_saveexec_b64 s[6:7], vcc
	s_xor_b64 s[6:7], exec, s[6:7]
	s_cbranch_execz .LBB11_74
; %bb.69:
	s_mov_b32 s8, 0x3c7fffff
	v_cmp_lt_u32_e32 vcc, s8, v6
                                        ; implicit-def: $vgpr3
	s_and_saveexec_b64 s[8:9], vcc
	s_xor_b64 s[8:9], exec, s[8:9]
; %bb.70:
	v_bfe_u32 v3, v2, 20, 1
	s_mov_b32 s10, 0x407ffff
	v_add3_u32 v3, v2, v3, s10
	v_lshrrev_b32_e32 v6, 20, v3
	v_and_b32_e32 v3, 0xff00000, v3
	s_mov_b32 s10, 0x7f00000
	v_mov_b32_e32 v7, 0x7e
	v_cmp_ne_u32_e32 vcc, s10, v3
	v_cndmask_b32_e32 v3, v7, v6, vcc
; %bb.71:
	s_andn2_saveexec_b64 s[8:9], s[8:9]
; %bb.72:
	s_mov_b32 s10, 0x46800000
	v_add_f32_e64 v3, |v2|, s10
; %bb.73:
	s_or_b64 exec, exec, s[8:9]
                                        ; implicit-def: $vgpr6
.LBB11_74:
	s_andn2_saveexec_b64 s[6:7], s[6:7]
; %bb.75:
	s_mov_b32 s8, 0x7f800000
	v_mov_b32_e32 v3, 0x7e
	v_mov_b32_e32 v7, 0x7f
	v_cmp_lt_u32_e32 vcc, s8, v6
	v_cndmask_b32_e32 v3, v3, v7, vcc
; %bb.76:
	s_or_b64 exec, exec, s[6:7]
	v_lshrrev_b32_e32 v2, 24, v2
	s_movk_i32 s6, 0x80
	v_and_or_b32 v2, v2, s6, v3
	global_store_byte v[4:5], v2, off
.LBB11_77:
	s_mov_b64 s[6:7], 0
.LBB11_78:
	s_andn2_b64 vcc, exec, s[6:7]
	s_cbranch_vccnz .LBB11_88
; %bb.79:
	v_cvt_f32_f64_e32 v2, v[0:1]
	s_mov_b32 s6, 0x47800000
                                        ; implicit-def: $vgpr3
	v_and_b32_e32 v6, 0x7fffffff, v2
	v_cmp_gt_u32_e32 vcc, s6, v6
	s_and_saveexec_b64 s[6:7], vcc
	s_xor_b64 s[6:7], exec, s[6:7]
	s_cbranch_execz .LBB11_85
; %bb.80:
	s_mov_b32 s8, 0x387fffff
	v_cmp_lt_u32_e32 vcc, s8, v6
                                        ; implicit-def: $vgpr3
	s_and_saveexec_b64 s[8:9], vcc
	s_xor_b64 s[8:9], exec, s[8:9]
; %bb.81:
	v_bfe_u32 v3, v2, 21, 1
	s_mov_b32 s10, 0x80fffff
	v_add3_u32 v3, v2, v3, s10
	v_lshrrev_b32_e32 v3, 21, v3
; %bb.82:
	s_andn2_saveexec_b64 s[8:9], s[8:9]
; %bb.83:
	s_mov_b32 s10, 0x43000000
	v_add_f32_e64 v3, |v2|, s10
; %bb.84:
	s_or_b64 exec, exec, s[8:9]
                                        ; implicit-def: $vgpr6
.LBB11_85:
	s_andn2_saveexec_b64 s[6:7], s[6:7]
; %bb.86:
	s_mov_b32 s8, 0x7f800000
	v_mov_b32_e32 v3, 0x7c
	v_mov_b32_e32 v7, 0x7f
	v_cmp_lt_u32_e32 vcc, s8, v6
	v_cndmask_b32_e32 v3, v3, v7, vcc
; %bb.87:
	s_or_b64 exec, exec, s[6:7]
	v_lshrrev_b32_e32 v2, 24, v2
	s_movk_i32 s6, 0x80
	v_and_or_b32 v2, v2, s6, v3
	global_store_byte v[4:5], v2, off
.LBB11_88:
	s_mov_b64 s[8:9], 0
	s_mov_b64 s[6:7], -1
.LBB11_89:
	s_andn2_b64 vcc, exec, s[8:9]
	s_cbranch_vccnz .LBB11_97
; %bb.90:
	s_cmp_gt_i32 s13, 14
	s_mov_b64 s[8:9], -1
	s_cbranch_scc0 .LBB11_94
; %bb.91:
	s_cmp_eq_u32 s13, 15
	s_mov_b64 s[4:5], -1
	s_cbranch_scc0 .LBB11_93
; %bb.92:
	v_cvt_f32_f64_e32 v2, v[0:1]
	s_movk_i32 s4, 0x7fff
	v_mov_b32_e32 v3, 0x7fc0
	s_mov_b64 s[6:7], -1
	v_bfe_u32 v6, v2, 16, 1
	v_cmp_o_f32_e32 vcc, v2, v2
	v_add3_u32 v2, v2, v6, s4
	v_cndmask_b32_sdwa v2, v3, v2, vcc dst_sel:DWORD dst_unused:UNUSED_PAD src0_sel:DWORD src1_sel:WORD_1
	global_store_short v[4:5], v2, off
	s_mov_b64 s[4:5], 0
.LBB11_93:
	s_mov_b64 s[8:9], 0
.LBB11_94:
	s_and_b64 vcc, exec, s[8:9]
	s_cbranch_vccz .LBB11_97
; %bb.95:
	s_cmp_eq_u32 s13, 11
	s_mov_b64 s[4:5], -1
	s_cbranch_scc0 .LBB11_97
; %bb.96:
	v_cmp_neq_f64_e32 vcc, 0, v[0:1]
	s_mov_b64 s[4:5], 0
	s_mov_b64 s[6:7], -1
	v_cndmask_b32_e64 v2, 0, 1, vcc
	global_store_byte v[4:5], v2, off
.LBB11_97:
	s_branch .LBB11_24
.LBB11_98:
	s_and_b32 s8, 0xffff, s12
	s_cmp_lt_i32 s8, 5
	s_mov_b64 s[6:7], -1
	s_cbranch_scc1 .LBB11_119
; %bb.99:
	s_cmp_lt_i32 s8, 8
	s_cbranch_scc1 .LBB11_109
; %bb.100:
	s_cmp_lt_i32 s8, 9
	s_cbranch_scc1 .LBB11_106
; %bb.101:
	s_cmp_gt_i32 s8, 9
	s_cbranch_scc0 .LBB11_103
; %bb.102:
	v_mov_b32_e32 v2, 0
	v_mov_b32_e32 v3, v2
	global_store_dwordx4 v[4:5], v[0:3], off
	s_mov_b64 s[6:7], 0
.LBB11_103:
	s_andn2_b64 vcc, exec, s[6:7]
	s_cbranch_vccnz .LBB11_105
; %bb.104:
	v_cvt_f32_f64_e32 v2, v[0:1]
	v_mov_b32_e32 v3, 0
	global_store_dwordx2 v[4:5], v[2:3], off
.LBB11_105:
	s_mov_b64 s[6:7], 0
.LBB11_106:
	s_andn2_b64 vcc, exec, s[6:7]
	s_cbranch_vccnz .LBB11_108
; %bb.107:
	s_movk_i32 s6, 0x1ff
	v_and_or_b32 v2, v1, s6, v0
	v_cmp_ne_u32_e32 vcc, 0, v2
	v_cndmask_b32_e64 v2, 0, 1, vcc
	v_lshrrev_b32_e32 v3, 8, v1
	s_movk_i32 s6, 0xffe
	v_bfe_u32 v6, v1, 20, 11
	v_and_or_b32 v2, v3, s6, v2
	v_sub_u32_e32 v7, 0x3f1, v6
	v_or_b32_e32 v3, 0x1000, v2
	v_med3_i32 v7, v7, 0, 13
	v_lshrrev_b32_e32 v8, v7, v3
	v_lshlrev_b32_e32 v7, v7, v8
	v_cmp_ne_u32_e32 vcc, v7, v3
	v_cndmask_b32_e64 v3, 0, 1, vcc
	v_add_u32_e32 v6, 0xfffffc10, v6
	v_or_b32_e32 v3, v8, v3
	v_lshl_or_b32 v7, v6, 12, v2
	v_cmp_gt_i32_e32 vcc, 1, v6
	v_cndmask_b32_e32 v3, v7, v3, vcc
	v_and_b32_e32 v7, 7, v3
	v_cmp_lt_i32_e32 vcc, 5, v7
	v_cndmask_b32_e64 v8, 0, 1, vcc
	v_cmp_eq_u32_e32 vcc, 3, v7
	v_cndmask_b32_e64 v7, 0, 1, vcc
	v_or_b32_e32 v7, v7, v8
	v_lshrrev_b32_e32 v3, 2, v3
	v_add_u32_e32 v3, v3, v7
	v_mov_b32_e32 v7, 0x7c00
	v_cmp_gt_i32_e32 vcc, 31, v6
	v_cndmask_b32_e32 v3, v7, v3, vcc
	v_mov_b32_e32 v8, 0x7e00
	v_cmp_ne_u32_e32 vcc, 0, v2
	s_movk_i32 s6, 0x40f
	v_cndmask_b32_e32 v2, v7, v8, vcc
	v_cmp_eq_u32_e32 vcc, s6, v6
	v_cndmask_b32_e32 v2, v3, v2, vcc
	v_lshrrev_b32_e32 v3, 16, v1
	s_mov_b32 s6, 0x8000
	v_and_or_b32 v2, v3, s6, v2
	v_and_b32_e32 v2, 0xffff, v2
	global_store_dword v[4:5], v2, off
.LBB11_108:
	s_mov_b64 s[6:7], 0
.LBB11_109:
	s_andn2_b64 vcc, exec, s[6:7]
	s_cbranch_vccnz .LBB11_118
; %bb.110:
	s_cmp_lt_i32 s8, 6
	s_mov_b64 s[6:7], -1
	s_cbranch_scc1 .LBB11_116
; %bb.111:
	s_cmp_gt_i32 s8, 6
	s_cbranch_scc0 .LBB11_113
; %bb.112:
	global_store_dwordx2 v[4:5], v[0:1], off
	s_mov_b64 s[6:7], 0
.LBB11_113:
	s_andn2_b64 vcc, exec, s[6:7]
	s_cbranch_vccnz .LBB11_115
; %bb.114:
	v_cvt_f32_f64_e32 v2, v[0:1]
	global_store_dword v[4:5], v2, off
.LBB11_115:
	s_mov_b64 s[6:7], 0
.LBB11_116:
	s_andn2_b64 vcc, exec, s[6:7]
	s_cbranch_vccnz .LBB11_118
; %bb.117:
	s_movk_i32 s6, 0x1ff
	v_and_or_b32 v2, v1, s6, v0
	v_cmp_ne_u32_e32 vcc, 0, v2
	v_cndmask_b32_e64 v2, 0, 1, vcc
	v_lshrrev_b32_e32 v3, 8, v1
	s_movk_i32 s6, 0xffe
	v_bfe_u32 v6, v1, 20, 11
	v_and_or_b32 v2, v3, s6, v2
	v_sub_u32_e32 v7, 0x3f1, v6
	v_or_b32_e32 v3, 0x1000, v2
	v_med3_i32 v7, v7, 0, 13
	v_lshrrev_b32_e32 v8, v7, v3
	v_lshlrev_b32_e32 v7, v7, v8
	v_cmp_ne_u32_e32 vcc, v7, v3
	v_cndmask_b32_e64 v3, 0, 1, vcc
	v_add_u32_e32 v6, 0xfffffc10, v6
	v_or_b32_e32 v3, v8, v3
	v_lshl_or_b32 v7, v6, 12, v2
	v_cmp_gt_i32_e32 vcc, 1, v6
	v_cndmask_b32_e32 v3, v7, v3, vcc
	v_and_b32_e32 v7, 7, v3
	v_cmp_lt_i32_e32 vcc, 5, v7
	v_cndmask_b32_e64 v8, 0, 1, vcc
	v_cmp_eq_u32_e32 vcc, 3, v7
	v_cndmask_b32_e64 v7, 0, 1, vcc
	v_or_b32_e32 v7, v7, v8
	v_lshrrev_b32_e32 v3, 2, v3
	v_add_u32_e32 v3, v3, v7
	v_mov_b32_e32 v7, 0x7c00
	v_cmp_gt_i32_e32 vcc, 31, v6
	v_cndmask_b32_e32 v3, v7, v3, vcc
	v_mov_b32_e32 v8, 0x7e00
	v_cmp_ne_u32_e32 vcc, 0, v2
	s_movk_i32 s6, 0x40f
	v_cndmask_b32_e32 v2, v7, v8, vcc
	v_cmp_eq_u32_e32 vcc, s6, v6
	v_cndmask_b32_e32 v2, v3, v2, vcc
	v_lshrrev_b32_e32 v3, 16, v1
	s_mov_b32 s6, 0x8000
	v_and_or_b32 v2, v3, s6, v2
	global_store_short v[4:5], v2, off
.LBB11_118:
	s_mov_b64 s[6:7], 0
.LBB11_119:
	s_andn2_b64 vcc, exec, s[6:7]
	s_cbranch_vccnz .LBB11_135
; %bb.120:
	s_cmp_lt_i32 s8, 2
	s_mov_b64 s[6:7], -1
	s_cbranch_scc1 .LBB11_130
; %bb.121:
	s_cmp_lt_i32 s8, 3
	s_cbranch_scc1 .LBB11_127
; %bb.122:
	s_cmp_gt_i32 s8, 3
	s_cbranch_scc0 .LBB11_124
; %bb.123:
	v_trunc_f64_e32 v[2:3], v[0:1]
	s_movk_i32 s6, 0xffe0
	v_ldexp_f64 v[6:7], v[2:3], s6
	s_mov_b32 s6, 0
	s_mov_b32 s7, 0xc1f00000
	v_floor_f64_e32 v[6:7], v[6:7]
	v_fma_f64 v[2:3], v[6:7], s[6:7], v[2:3]
	v_cvt_i32_f64_e32 v7, v[6:7]
	s_mov_b64 s[6:7], 0
	v_cvt_u32_f64_e32 v6, v[2:3]
	global_store_dwordx2 v[4:5], v[6:7], off
.LBB11_124:
	s_andn2_b64 vcc, exec, s[6:7]
	s_cbranch_vccnz .LBB11_126
; %bb.125:
	v_cvt_i32_f64_e32 v2, v[0:1]
	global_store_dword v[4:5], v2, off
.LBB11_126:
	s_mov_b64 s[6:7], 0
.LBB11_127:
	s_andn2_b64 vcc, exec, s[6:7]
	s_cbranch_vccnz .LBB11_129
; %bb.128:
	v_cvt_i32_f64_e32 v2, v[0:1]
	global_store_short v[4:5], v2, off
.LBB11_129:
	s_mov_b64 s[6:7], 0
.LBB11_130:
	s_andn2_b64 vcc, exec, s[6:7]
	s_cbranch_vccnz .LBB11_135
; %bb.131:
	s_cmp_gt_i32 s8, 0
	s_mov_b64 s[6:7], -1
	s_cbranch_scc0 .LBB11_133
; %bb.132:
	v_cvt_i32_f64_e32 v2, v[0:1]
	s_mov_b64 s[6:7], 0
	global_store_byte v[4:5], v2, off
.LBB11_133:
	s_andn2_b64 vcc, exec, s[6:7]
	s_cbranch_vccnz .LBB11_135
; %bb.134:
	v_trunc_f64_e32 v[0:1], v[0:1]
	s_movk_i32 s6, 0xffe0
	v_ldexp_f64 v[2:3], v[0:1], s6
	s_mov_b32 s6, 0
	s_mov_b32 s7, 0xc1f00000
	v_floor_f64_e32 v[2:3], v[2:3]
	v_fma_f64 v[0:1], v[2:3], s[6:7], v[0:1]
	v_cvt_u32_f64_e32 v0, v[0:1]
	global_store_byte v[4:5], v0, off
.LBB11_135:
	s_branch .LBB11_25
.LBB11_136:
	s_mov_b64 s[6:7], 0
                                        ; implicit-def: $vgpr41
.LBB11_137:
	s_and_b64 s[70:71], s[4:5], exec
	s_orn2_b64 s[4:5], s[6:7], exec
.LBB11_138:
	s_or_b64 exec, exec, s[72:73]
	s_mov_b64 s[6:7], 0
                                        ; implicit-def: $sgpr14
                                        ; implicit-def: $vgpr4_vgpr5
                                        ; implicit-def: $vgpr0_vgpr1
	s_and_saveexec_b64 s[72:73], s[4:5]
	s_cbranch_execz .LBB11_145
; %bb.139:
	v_cmp_gt_i32_e32 vcc, s82, v41
	s_mov_b64 s[8:9], -1
	s_mov_b64 s[74:75], s[70:71]
	s_and_saveexec_b64 s[76:77], vcc
	s_cbranch_execz .LBB11_284
; %bb.140:
	s_andn2_b64 vcc, exec, s[58:59]
	s_cbranch_vccnz .LBB11_148
; %bb.141:
	s_andn2_b64 vcc, exec, s[68:69]
	s_cbranch_vccnz .LBB11_149
; %bb.142:
	s_add_i32 s29, s86, 1
	s_cmp_eq_u32 s84, 2
	s_cbranch_scc1 .LBB11_150
; %bb.143:
	s_and_b32 s28, s29, 28
	v_mov_b32_e32 v2, 0
	s_mov_b32 s30, 0
	s_mov_b64 s[24:25], s[46:47]
	s_mov_b64 s[26:27], s[66:67]
	v_mov_b32_e32 v62, 0
	v_mov_b32_e32 v0, v41
.LBB11_144:                             ; =>This Inner Loop Header: Depth=1
	s_load_dwordx8 s[12:19], s[24:25], 0x4
	s_load_dwordx4 s[20:23], s[24:25], 0x24
	s_load_dwordx8 s[4:11], s[26:27], 0x0
	s_add_u32 s24, s24, 48
	s_addc_u32 s25, s25, 0
	s_waitcnt lgkmcnt(0)
	v_mul_hi_u32 v1, s13, v0
	s_add_i32 s30, s30, 4
	s_add_u32 s26, s26, 32
	s_addc_u32 s27, s27, 0
	v_add_u32_e32 v1, v0, v1
	v_lshrrev_b32_e32 v1, s14, v1
	v_mul_lo_u32 v3, v1, s12
	v_mul_hi_u32 v4, s16, v1
	s_cmp_eq_u32 s28, s30
	v_sub_u32_e32 v0, v0, v3
	v_add_u32_e32 v3, v1, v4
	v_mul_lo_u32 v4, v0, s4
	v_mul_lo_u32 v5, v0, s5
	v_lshrrev_b32_e32 v0, s17, v3
	v_mul_lo_u32 v3, v0, s15
	v_mul_hi_u32 v6, s19, v0
	v_sub_u32_e32 v1, v1, v3
	v_add_u32_e32 v3, v0, v6
	v_lshrrev_b32_e32 v3, s20, v3
	v_mul_hi_u32 v7, s22, v3
	v_mul_lo_u32 v8, v3, s18
	v_mul_lo_u32 v6, v1, s6
	;; [unrolled: 1-line block ×3, first 2 shown]
	v_sub_u32_e32 v8, v0, v8
	v_add_u32_e32 v0, v3, v7
	v_lshrrev_b32_e32 v0, s23, v0
	v_mul_lo_u32 v7, v0, s21
	v_mul_lo_u32 v9, v8, s8
	v_mul_lo_u32 v8, v8, s9
	v_add3_u32 v4, v4, v62, v6
	v_sub_u32_e32 v3, v3, v7
	v_mul_lo_u32 v7, v3, s10
	v_mul_lo_u32 v3, v3, s11
	v_add3_u32 v1, v5, v2, v1
	v_add3_u32 v62, v9, v4, v7
	;; [unrolled: 1-line block ×3, first 2 shown]
	s_cbranch_scc0 .LBB11_144
	s_branch .LBB11_151
.LBB11_145:
	s_or_b64 exec, exec, s[72:73]
	s_mov_b64 s[4:5], 0
	s_and_saveexec_b64 s[8:9], s[70:71]
	s_cbranch_execnz .LBB11_530
.LBB11_146:
	s_or_b64 exec, exec, s[8:9]
	s_and_saveexec_b64 s[8:9], s[76:77]
	s_xor_b64 s[8:9], exec, s[8:9]
	s_cbranch_execz .LBB11_531
.LBB11_147:
	v_cmp_neq_f64_e32 vcc, 0, v[0:1]
	v_cndmask_b32_e64 v2, 0, 1, vcc
	global_store_byte v[4:5], v2, off
	s_or_b64 exec, exec, s[8:9]
	s_and_saveexec_b64 s[8:9], s[6:7]
	s_xor_b64 s[6:7], exec, s[8:9]
	s_cbranch_execz .LBB11_569
	s_branch .LBB11_532
.LBB11_148:
                                        ; implicit-def: $vgpr62
                                        ; implicit-def: $vgpr2
	s_branch .LBB11_155
.LBB11_149:
	v_mov_b32_e32 v62, 0
	v_mov_b32_e32 v2, 0
	s_branch .LBB11_154
.LBB11_150:
	s_mov_b32 s28, 0
	v_mov_b32_e32 v62, 0
	v_mov_b32_e32 v2, 0
	v_mov_b32_e32 v0, v41
.LBB11_151:
	s_and_b32 s8, s29, 3
	s_cmp_eq_u32 s8, 0
	s_cbranch_scc1 .LBB11_154
; %bb.152:
	s_lshl_b32 s4, s28, 3
	s_add_u32 s4, s46, s4
	s_addc_u32 s5, s47, 0
	s_add_u32 s4, s4, 0xc4
	s_addc_u32 s5, s5, 0
	s_mul_i32 s6, s28, 12
	s_add_u32 s6, s46, s6
	s_addc_u32 s7, s47, 0
.LBB11_153:                             ; =>This Inner Loop Header: Depth=1
	s_load_dwordx2 s[10:11], s[6:7], 0x4
	s_load_dword s9, s[6:7], 0xc
	s_load_dwordx2 s[12:13], s[4:5], 0x0
	s_add_u32 s6, s6, 12
	s_addc_u32 s7, s7, 0
	s_waitcnt lgkmcnt(0)
	v_mul_hi_u32 v1, s11, v0
	s_add_u32 s4, s4, 8
	s_addc_u32 s5, s5, 0
	s_add_i32 s8, s8, -1
	v_add_u32_e32 v1, v0, v1
	v_lshrrev_b32_e32 v1, s9, v1
	v_mul_lo_u32 v3, v1, s10
	s_cmp_lg_u32 s8, 0
	v_sub_u32_e32 v0, v0, v3
	v_mad_u64_u32 v[62:63], s[10:11], v0, s12, v[62:63]
	v_mad_u64_u32 v[2:3], s[10:11], v0, s13, v[2:3]
	v_mov_b32_e32 v0, v1
	s_cbranch_scc1 .LBB11_153
.LBB11_154:
	s_cbranch_execnz .LBB11_157
.LBB11_155:
	s_waitcnt lgkmcnt(0)
	v_mul_hi_u32 v0, s53, v41
	s_andn2_b64 vcc, exec, s[64:65]
	v_add_u32_e32 v0, v41, v0
	v_lshrrev_b32_e32 v0, s54, v0
	v_mul_lo_u32 v1, v0, s52
	v_sub_u32_e32 v1, v41, v1
	v_mul_lo_u32 v62, v1, s48
	v_mul_lo_u32 v2, v1, s49
	s_cbranch_vccnz .LBB11_157
; %bb.156:
	v_mul_hi_u32 v1, s62, v0
	v_add_u32_e32 v1, v0, v1
	v_lshrrev_b32_e32 v1, s63, v1
	v_mul_lo_u32 v1, v1, s55
	v_sub_u32_e32 v0, v0, v1
	v_mad_u64_u32 v[62:63], s[4:5], v0, s50, v[62:63]
	v_mad_u64_u32 v[2:3], s[4:5], v0, s51, v[2:3]
.LBB11_157:
	s_getpc_b64 s[4:5]
	s_add_u32 s4, s4, _ZN2at6native6invokeIZZZNS0_12_GLOBAL__N_121bessel_j0_kernel_cudaERNS_18TensorIteratorBaseEENKUlvE_clEvENKUlvE_clEvEUldE_j15function_traitsIS7_EEENT1_11result_typeERKT_PrKPcPKT0_PKN3c1010ScalarTypeEi@rel32@lo+4
	s_addc_u32 s5, s5, _ZN2at6native6invokeIZZZNS0_12_GLOBAL__N_121bessel_j0_kernel_cudaERNS_18TensorIteratorBaseEENKUlvE_clEvENKUlvE_clEvEUldE_j15function_traitsIS7_EEENT1_11result_typeERKT_PrKPcPKT0_PKN3c1010ScalarTypeEi@rel32@hi+12
	s_waitcnt lgkmcnt(0)
	v_mov_b32_e32 v0, s38
	v_mov_b32_e32 v1, s39
	v_mov_b32_e32 v3, v40
	s_swappc_b64 s[30:31], s[4:5]
	v_mov_b32_e32 v2, s37
	s_and_b32 s12, s85, 0xff
	v_add_co_u32_e32 v4, vcc, s36, v62
	s_cmp_lt_i32 s12, 11
	v_addc_co_u32_e32 v5, vcc, 0, v2, vcc
	s_cbranch_scc1 .LBB11_164
; %bb.158:
	s_and_b32 s13, 0xffff, s12
	s_cmp_gt_i32 s13, 25
	s_cbranch_scc0 .LBB11_167
; %bb.159:
	s_cmp_gt_i32 s13, 28
	s_cbranch_scc0 .LBB11_168
; %bb.160:
	;; [unrolled: 3-line block ×4, first 2 shown]
	s_mov_b64 s[8:9], 0
	s_mov_b64 s[4:5], -1
	s_cmp_eq_u32 s13, 46
	s_mov_b64 s[6:7], 0
	s_cbranch_scc0 .LBB11_175
; %bb.163:
	v_cvt_f32_f64_e32 v2, v[0:1]
	s_movk_i32 s4, 0x7fff
	v_mov_b32_e32 v3, 0x7fc0
	s_mov_b64 s[6:7], -1
	v_bfe_u32 v6, v2, 16, 1
	v_cmp_o_f32_e32 vcc, v2, v2
	v_add3_u32 v2, v2, v6, s4
	v_cndmask_b32_sdwa v2, v3, v2, vcc dst_sel:DWORD dst_unused:UNUSED_PAD src0_sel:DWORD src1_sel:WORD_1
	global_store_dword v[4:5], v2, off
	s_mov_b64 s[4:5], 0
	s_branch .LBB11_175
.LBB11_164:
	s_mov_b64 s[6:7], 0
	s_mov_b64 s[4:5], s[70:71]
	s_cbranch_execnz .LBB11_244
.LBB11_165:
	s_andn2_b64 vcc, exec, s[6:7]
	s_cbranch_vccnz .LBB11_282
.LBB11_166:
	v_add_u32_e32 v41, 0x80, v41
	s_mov_b64 s[6:7], -1
	s_branch .LBB11_283
.LBB11_167:
	s_mov_b64 s[8:9], -1
	s_mov_b64 s[6:7], 0
	s_mov_b64 s[4:5], s[70:71]
	s_branch .LBB11_202
.LBB11_168:
	s_mov_b64 s[8:9], -1
	s_mov_b64 s[6:7], 0
	s_mov_b64 s[4:5], s[70:71]
	s_branch .LBB11_185
.LBB11_169:
	s_andn2_saveexec_b64 s[10:11], s[10:11]
	s_cbranch_execz .LBB11_51
.LBB11_170:
	s_mov_b32 s14, 0x46000000
	v_add_f32_e64 v3, |v2|, s14
	v_and_b32_e32 v3, 0xff, v3
	v_cmp_ne_u32_e32 vcc, 0, v3
	s_andn2_b64 s[8:9], s[8:9], exec
	s_and_b64 s[14:15], vcc, exec
	s_or_b64 s[8:9], s[8:9], s[14:15]
	s_or_b64 exec, exec, s[10:11]
	v_mov_b32_e32 v6, 0
	s_and_saveexec_b64 s[10:11], s[8:9]
	s_cbranch_execnz .LBB11_52
	s_branch .LBB11_53
.LBB11_171:
	s_mov_b64 s[8:9], -1
	s_mov_b64 s[6:7], 0
	s_mov_b64 s[4:5], s[70:71]
	s_branch .LBB11_181
.LBB11_172:
	s_andn2_saveexec_b64 s[10:11], s[10:11]
	s_cbranch_execz .LBB11_63
.LBB11_173:
	s_mov_b32 s14, 0x42800000
	v_add_f32_e64 v3, |v2|, s14
	v_and_b32_e32 v3, 0xff, v3
	v_cmp_ne_u32_e32 vcc, 0, v3
	s_andn2_b64 s[8:9], s[8:9], exec
	s_and_b64 s[14:15], vcc, exec
	s_or_b64 s[8:9], s[8:9], s[14:15]
	s_or_b64 exec, exec, s[10:11]
	v_mov_b32_e32 v6, 0
	s_and_saveexec_b64 s[10:11], s[8:9]
	s_cbranch_execnz .LBB11_64
	s_branch .LBB11_65
.LBB11_174:
	s_mov_b64 s[8:9], -1
	s_mov_b64 s[6:7], 0
	s_mov_b64 s[4:5], s[70:71]
.LBB11_175:
	s_and_b64 vcc, exec, s[8:9]
	s_cbranch_vccz .LBB11_180
; %bb.176:
	s_cmp_eq_u32 s13, 44
	s_mov_b64 s[4:5], -1
	s_cbranch_scc0 .LBB11_180
; %bb.177:
	v_cvt_f32_f64_e32 v2, v[0:1]
	s_movk_i32 s4, 0xff
	v_mov_b32_e32 v6, 0xff
	v_bfe_u32 v3, v2, 23, 8
	v_cmp_ne_u32_e32 vcc, s4, v3
	s_and_saveexec_b64 s[6:7], vcc
; %bb.178:
	s_mov_b32 s4, 0x3fffff
	v_lshrrev_b32_e32 v6, 23, v2
	v_and_b32_e32 v7, 0x400000, v2
	v_and_or_b32 v2, v2, s4, v3
	v_cmp_ne_u32_e32 vcc, 0, v7
	v_cmp_ne_u32_e64 s[4:5], 0, v2
	s_and_b64 s[4:5], vcc, s[4:5]
	v_cndmask_b32_e64 v2, 0, 1, s[4:5]
	v_add_u32_e32 v6, v6, v2
; %bb.179:
	s_or_b64 exec, exec, s[6:7]
	s_mov_b64 s[6:7], -1
	s_mov_b64 s[4:5], 0
	global_store_byte v[4:5], v6, off
.LBB11_180:
	s_mov_b64 s[8:9], 0
.LBB11_181:
	s_and_b64 vcc, exec, s[8:9]
	s_cbranch_vccz .LBB11_184
; %bb.182:
	s_cmp_eq_u32 s13, 29
	s_mov_b64 s[4:5], -1
	s_cbranch_scc0 .LBB11_184
; %bb.183:
	v_trunc_f64_e32 v[2:3], v[0:1]
	s_movk_i32 s4, 0xffe0
	s_mov_b64 s[6:7], -1
	s_mov_b64 s[8:9], 0
	v_ldexp_f64 v[6:7], v[2:3], s4
	s_mov_b32 s4, 0
	s_mov_b32 s5, 0xc1f00000
	v_floor_f64_e32 v[6:7], v[6:7]
	v_fma_f64 v[2:3], v[6:7], s[4:5], v[2:3]
	v_cvt_u32_f64_e32 v7, v[6:7]
	s_mov_b64 s[4:5], 0
	v_cvt_u32_f64_e32 v6, v[2:3]
	global_store_dwordx2 v[4:5], v[6:7], off
	s_branch .LBB11_185
.LBB11_184:
	s_mov_b64 s[8:9], 0
.LBB11_185:
	s_and_b64 vcc, exec, s[8:9]
	s_cbranch_vccz .LBB11_201
; %bb.186:
	s_cmp_lt_i32 s13, 27
	s_mov_b64 s[6:7], -1
	s_cbranch_scc1 .LBB11_192
; %bb.187:
	v_cvt_u32_f64_e32 v2, v[0:1]
	s_cmp_gt_i32 s13, 27
	s_cbranch_scc0 .LBB11_189
; %bb.188:
	s_mov_b64 s[6:7], 0
	global_store_dword v[4:5], v2, off
.LBB11_189:
	s_andn2_b64 vcc, exec, s[6:7]
	s_cbranch_vccnz .LBB11_191
; %bb.190:
	global_store_short v[4:5], v2, off
.LBB11_191:
	s_mov_b64 s[6:7], 0
.LBB11_192:
	s_andn2_b64 vcc, exec, s[6:7]
	s_cbranch_vccnz .LBB11_200
; %bb.193:
	v_cvt_f32_f64_e32 v2, v[0:1]
	s_mov_b32 s6, 0x43800000
	v_mov_b32_e32 v6, 0x80
	v_and_b32_e32 v3, 0x7fffffff, v2
	v_cmp_gt_u32_e32 vcc, s6, v3
	s_and_saveexec_b64 s[6:7], vcc
	s_cbranch_execz .LBB11_199
; %bb.194:
	s_mov_b32 s8, 0x3bffffff
	v_cmp_lt_u32_e32 vcc, s8, v3
	s_mov_b64 s[8:9], 0
                                        ; implicit-def: $vgpr3
	s_and_saveexec_b64 s[10:11], vcc
	s_xor_b64 s[10:11], exec, s[10:11]
	s_cbranch_execz .LBB11_311
; %bb.195:
	v_bfe_u32 v3, v2, 20, 1
	s_mov_b32 s14, 0x487ffff
	v_add3_u32 v3, v2, v3, s14
	s_mov_b64 s[8:9], exec
	v_lshrrev_b32_e32 v3, 20, v3
	s_andn2_saveexec_b64 s[10:11], s[10:11]
	s_cbranch_execnz .LBB11_312
.LBB11_196:
	s_or_b64 exec, exec, s[10:11]
	v_mov_b32_e32 v6, 0
	s_and_saveexec_b64 s[10:11], s[8:9]
.LBB11_197:
	v_lshrrev_b32_e32 v2, 24, v2
	s_movk_i32 s8, 0x80
	v_and_or_b32 v6, v2, s8, v3
.LBB11_198:
	s_or_b64 exec, exec, s[10:11]
.LBB11_199:
	s_or_b64 exec, exec, s[6:7]
	global_store_byte v[4:5], v6, off
.LBB11_200:
	s_mov_b64 s[6:7], -1
.LBB11_201:
	s_mov_b64 s[8:9], 0
.LBB11_202:
	s_and_b64 vcc, exec, s[8:9]
	s_cbranch_vccz .LBB11_243
; %bb.203:
	s_cmp_gt_i32 s13, 22
	s_mov_b64 s[8:9], -1
	s_cbranch_scc0 .LBB11_235
; %bb.204:
	s_cmp_lt_i32 s13, 24
	s_mov_b64 s[6:7], -1
	s_cbranch_scc1 .LBB11_224
; %bb.205:
	s_cmp_gt_i32 s13, 24
	s_cbranch_scc0 .LBB11_213
; %bb.206:
	v_cvt_f32_f64_e32 v2, v[0:1]
	s_mov_b32 s6, 0x47800000
	v_mov_b32_e32 v6, 0x80
	v_and_b32_e32 v3, 0x7fffffff, v2
	v_cmp_gt_u32_e32 vcc, s6, v3
	s_and_saveexec_b64 s[6:7], vcc
	s_cbranch_execz .LBB11_212
; %bb.207:
	s_mov_b32 s8, 0x37ffffff
	v_cmp_lt_u32_e32 vcc, s8, v3
	s_mov_b64 s[8:9], 0
                                        ; implicit-def: $vgpr3
	s_and_saveexec_b64 s[10:11], vcc
	s_xor_b64 s[10:11], exec, s[10:11]
	s_cbranch_execz .LBB11_314
; %bb.208:
	v_bfe_u32 v3, v2, 21, 1
	s_mov_b32 s14, 0x88fffff
	v_add3_u32 v3, v2, v3, s14
	s_mov_b64 s[8:9], exec
	v_lshrrev_b32_e32 v3, 21, v3
	s_andn2_saveexec_b64 s[10:11], s[10:11]
	s_cbranch_execnz .LBB11_315
.LBB11_209:
	s_or_b64 exec, exec, s[10:11]
	v_mov_b32_e32 v6, 0
	s_and_saveexec_b64 s[10:11], s[8:9]
.LBB11_210:
	v_lshrrev_b32_e32 v2, 24, v2
	s_movk_i32 s8, 0x80
	v_and_or_b32 v6, v2, s8, v3
.LBB11_211:
	s_or_b64 exec, exec, s[10:11]
.LBB11_212:
	s_or_b64 exec, exec, s[6:7]
	s_mov_b64 s[6:7], 0
	global_store_byte v[4:5], v6, off
.LBB11_213:
	s_and_b64 vcc, exec, s[6:7]
	s_cbranch_vccz .LBB11_223
; %bb.214:
	v_cvt_f32_f64_e32 v2, v[0:1]
	s_mov_b32 s6, 0x43f00000
                                        ; implicit-def: $vgpr3
	v_and_b32_e32 v6, 0x7fffffff, v2
	v_cmp_gt_u32_e32 vcc, s6, v6
	s_and_saveexec_b64 s[6:7], vcc
	s_xor_b64 s[6:7], exec, s[6:7]
	s_cbranch_execz .LBB11_220
; %bb.215:
	s_mov_b32 s8, 0x3c7fffff
	v_cmp_lt_u32_e32 vcc, s8, v6
                                        ; implicit-def: $vgpr3
	s_and_saveexec_b64 s[8:9], vcc
	s_xor_b64 s[8:9], exec, s[8:9]
; %bb.216:
	v_bfe_u32 v3, v2, 20, 1
	s_mov_b32 s10, 0x407ffff
	v_add3_u32 v3, v2, v3, s10
	v_lshrrev_b32_e32 v6, 20, v3
	v_and_b32_e32 v3, 0xff00000, v3
	s_mov_b32 s10, 0x7f00000
	v_mov_b32_e32 v7, 0x7e
	v_cmp_ne_u32_e32 vcc, s10, v3
	v_cndmask_b32_e32 v3, v7, v6, vcc
; %bb.217:
	s_andn2_saveexec_b64 s[8:9], s[8:9]
; %bb.218:
	s_mov_b32 s10, 0x46800000
	v_add_f32_e64 v3, |v2|, s10
; %bb.219:
	s_or_b64 exec, exec, s[8:9]
                                        ; implicit-def: $vgpr6
.LBB11_220:
	s_andn2_saveexec_b64 s[6:7], s[6:7]
; %bb.221:
	s_mov_b32 s8, 0x7f800000
	v_mov_b32_e32 v3, 0x7e
	v_mov_b32_e32 v7, 0x7f
	v_cmp_lt_u32_e32 vcc, s8, v6
	v_cndmask_b32_e32 v3, v3, v7, vcc
; %bb.222:
	s_or_b64 exec, exec, s[6:7]
	v_lshrrev_b32_e32 v2, 24, v2
	s_movk_i32 s6, 0x80
	v_and_or_b32 v2, v2, s6, v3
	global_store_byte v[4:5], v2, off
.LBB11_223:
	s_mov_b64 s[6:7], 0
.LBB11_224:
	s_andn2_b64 vcc, exec, s[6:7]
	s_cbranch_vccnz .LBB11_234
; %bb.225:
	v_cvt_f32_f64_e32 v2, v[0:1]
	s_mov_b32 s6, 0x47800000
                                        ; implicit-def: $vgpr3
	v_and_b32_e32 v6, 0x7fffffff, v2
	v_cmp_gt_u32_e32 vcc, s6, v6
	s_and_saveexec_b64 s[6:7], vcc
	s_xor_b64 s[6:7], exec, s[6:7]
	s_cbranch_execz .LBB11_231
; %bb.226:
	s_mov_b32 s8, 0x387fffff
	v_cmp_lt_u32_e32 vcc, s8, v6
                                        ; implicit-def: $vgpr3
	s_and_saveexec_b64 s[8:9], vcc
	s_xor_b64 s[8:9], exec, s[8:9]
; %bb.227:
	v_bfe_u32 v3, v2, 21, 1
	s_mov_b32 s10, 0x80fffff
	v_add3_u32 v3, v2, v3, s10
	v_lshrrev_b32_e32 v3, 21, v3
; %bb.228:
	s_andn2_saveexec_b64 s[8:9], s[8:9]
; %bb.229:
	s_mov_b32 s10, 0x43000000
	v_add_f32_e64 v3, |v2|, s10
; %bb.230:
	s_or_b64 exec, exec, s[8:9]
                                        ; implicit-def: $vgpr6
.LBB11_231:
	s_andn2_saveexec_b64 s[6:7], s[6:7]
; %bb.232:
	s_mov_b32 s8, 0x7f800000
	v_mov_b32_e32 v3, 0x7c
	v_mov_b32_e32 v7, 0x7f
	v_cmp_lt_u32_e32 vcc, s8, v6
	v_cndmask_b32_e32 v3, v3, v7, vcc
; %bb.233:
	s_or_b64 exec, exec, s[6:7]
	v_lshrrev_b32_e32 v2, 24, v2
	s_movk_i32 s6, 0x80
	v_and_or_b32 v2, v2, s6, v3
	global_store_byte v[4:5], v2, off
.LBB11_234:
	s_mov_b64 s[8:9], 0
	s_mov_b64 s[6:7], -1
.LBB11_235:
	s_andn2_b64 vcc, exec, s[8:9]
	s_cbranch_vccnz .LBB11_243
; %bb.236:
	s_cmp_gt_i32 s13, 14
	s_mov_b64 s[8:9], -1
	s_cbranch_scc0 .LBB11_240
; %bb.237:
	s_cmp_eq_u32 s13, 15
	s_mov_b64 s[4:5], -1
	s_cbranch_scc0 .LBB11_239
; %bb.238:
	v_cvt_f32_f64_e32 v2, v[0:1]
	s_movk_i32 s4, 0x7fff
	v_mov_b32_e32 v3, 0x7fc0
	s_mov_b64 s[6:7], -1
	v_bfe_u32 v6, v2, 16, 1
	v_cmp_o_f32_e32 vcc, v2, v2
	v_add3_u32 v2, v2, v6, s4
	v_cndmask_b32_sdwa v2, v3, v2, vcc dst_sel:DWORD dst_unused:UNUSED_PAD src0_sel:DWORD src1_sel:WORD_1
	global_store_short v[4:5], v2, off
	s_mov_b64 s[4:5], 0
.LBB11_239:
	s_mov_b64 s[8:9], 0
.LBB11_240:
	s_and_b64 vcc, exec, s[8:9]
	s_cbranch_vccz .LBB11_243
; %bb.241:
	s_cmp_eq_u32 s13, 11
	s_mov_b64 s[4:5], -1
	s_cbranch_scc0 .LBB11_243
; %bb.242:
	v_cmp_neq_f64_e32 vcc, 0, v[0:1]
	s_mov_b64 s[4:5], 0
	s_mov_b64 s[6:7], -1
	v_cndmask_b32_e64 v2, 0, 1, vcc
	global_store_byte v[4:5], v2, off
.LBB11_243:
	s_branch .LBB11_165
.LBB11_244:
	s_and_b32 s8, 0xffff, s12
	s_cmp_lt_i32 s8, 5
	s_mov_b64 s[6:7], -1
	s_cbranch_scc1 .LBB11_265
; %bb.245:
	s_cmp_lt_i32 s8, 8
	s_cbranch_scc1 .LBB11_255
; %bb.246:
	s_cmp_lt_i32 s8, 9
	s_cbranch_scc1 .LBB11_252
; %bb.247:
	s_cmp_gt_i32 s8, 9
	s_cbranch_scc0 .LBB11_249
; %bb.248:
	v_mov_b32_e32 v2, 0
	v_mov_b32_e32 v3, v2
	s_mov_b64 s[6:7], 0
	global_store_dwordx4 v[4:5], v[0:3], off
.LBB11_249:
	s_andn2_b64 vcc, exec, s[6:7]
	s_cbranch_vccnz .LBB11_251
; %bb.250:
	v_cvt_f32_f64_e32 v2, v[0:1]
	v_mov_b32_e32 v3, 0
	global_store_dwordx2 v[4:5], v[2:3], off
.LBB11_251:
	s_mov_b64 s[6:7], 0
.LBB11_252:
	s_andn2_b64 vcc, exec, s[6:7]
	s_cbranch_vccnz .LBB11_254
; %bb.253:
	s_movk_i32 s6, 0x1ff
	v_and_or_b32 v2, v1, s6, v0
	v_cmp_ne_u32_e32 vcc, 0, v2
	v_cndmask_b32_e64 v2, 0, 1, vcc
	v_lshrrev_b32_e32 v3, 8, v1
	s_movk_i32 s6, 0xffe
	v_bfe_u32 v6, v1, 20, 11
	v_and_or_b32 v2, v3, s6, v2
	v_sub_u32_e32 v7, 0x3f1, v6
	v_or_b32_e32 v3, 0x1000, v2
	v_med3_i32 v7, v7, 0, 13
	v_lshrrev_b32_e32 v8, v7, v3
	v_lshlrev_b32_e32 v7, v7, v8
	v_cmp_ne_u32_e32 vcc, v7, v3
	v_cndmask_b32_e64 v3, 0, 1, vcc
	v_add_u32_e32 v6, 0xfffffc10, v6
	v_or_b32_e32 v3, v8, v3
	v_lshl_or_b32 v7, v6, 12, v2
	v_cmp_gt_i32_e32 vcc, 1, v6
	v_cndmask_b32_e32 v3, v7, v3, vcc
	v_and_b32_e32 v7, 7, v3
	v_cmp_lt_i32_e32 vcc, 5, v7
	v_cndmask_b32_e64 v8, 0, 1, vcc
	v_cmp_eq_u32_e32 vcc, 3, v7
	v_cndmask_b32_e64 v7, 0, 1, vcc
	v_or_b32_e32 v7, v7, v8
	v_lshrrev_b32_e32 v3, 2, v3
	v_add_u32_e32 v3, v3, v7
	v_mov_b32_e32 v7, 0x7c00
	v_cmp_gt_i32_e32 vcc, 31, v6
	v_cndmask_b32_e32 v3, v7, v3, vcc
	v_mov_b32_e32 v8, 0x7e00
	v_cmp_ne_u32_e32 vcc, 0, v2
	s_movk_i32 s6, 0x40f
	v_cndmask_b32_e32 v2, v7, v8, vcc
	v_cmp_eq_u32_e32 vcc, s6, v6
	v_cndmask_b32_e32 v2, v3, v2, vcc
	v_lshrrev_b32_e32 v3, 16, v1
	s_mov_b32 s6, 0x8000
	v_and_or_b32 v2, v3, s6, v2
	v_and_b32_e32 v2, 0xffff, v2
	global_store_dword v[4:5], v2, off
.LBB11_254:
	s_mov_b64 s[6:7], 0
.LBB11_255:
	s_andn2_b64 vcc, exec, s[6:7]
	s_cbranch_vccnz .LBB11_264
; %bb.256:
	s_cmp_lt_i32 s8, 6
	s_mov_b64 s[6:7], -1
	s_cbranch_scc1 .LBB11_262
; %bb.257:
	s_cmp_gt_i32 s8, 6
	s_cbranch_scc0 .LBB11_259
; %bb.258:
	s_mov_b64 s[6:7], 0
	global_store_dwordx2 v[4:5], v[0:1], off
.LBB11_259:
	s_andn2_b64 vcc, exec, s[6:7]
	s_cbranch_vccnz .LBB11_261
; %bb.260:
	v_cvt_f32_f64_e32 v2, v[0:1]
	global_store_dword v[4:5], v2, off
.LBB11_261:
	s_mov_b64 s[6:7], 0
.LBB11_262:
	s_andn2_b64 vcc, exec, s[6:7]
	s_cbranch_vccnz .LBB11_264
; %bb.263:
	s_movk_i32 s6, 0x1ff
	v_and_or_b32 v2, v1, s6, v0
	v_cmp_ne_u32_e32 vcc, 0, v2
	v_cndmask_b32_e64 v2, 0, 1, vcc
	v_lshrrev_b32_e32 v3, 8, v1
	s_movk_i32 s6, 0xffe
	v_bfe_u32 v6, v1, 20, 11
	v_and_or_b32 v2, v3, s6, v2
	v_sub_u32_e32 v7, 0x3f1, v6
	v_or_b32_e32 v3, 0x1000, v2
	v_med3_i32 v7, v7, 0, 13
	v_lshrrev_b32_e32 v8, v7, v3
	v_lshlrev_b32_e32 v7, v7, v8
	v_cmp_ne_u32_e32 vcc, v7, v3
	v_cndmask_b32_e64 v3, 0, 1, vcc
	v_add_u32_e32 v6, 0xfffffc10, v6
	v_or_b32_e32 v3, v8, v3
	v_lshl_or_b32 v7, v6, 12, v2
	v_cmp_gt_i32_e32 vcc, 1, v6
	v_cndmask_b32_e32 v3, v7, v3, vcc
	v_and_b32_e32 v7, 7, v3
	v_cmp_lt_i32_e32 vcc, 5, v7
	v_cndmask_b32_e64 v8, 0, 1, vcc
	v_cmp_eq_u32_e32 vcc, 3, v7
	v_cndmask_b32_e64 v7, 0, 1, vcc
	v_or_b32_e32 v7, v7, v8
	v_lshrrev_b32_e32 v3, 2, v3
	v_add_u32_e32 v3, v3, v7
	v_mov_b32_e32 v7, 0x7c00
	v_cmp_gt_i32_e32 vcc, 31, v6
	v_cndmask_b32_e32 v3, v7, v3, vcc
	v_mov_b32_e32 v8, 0x7e00
	v_cmp_ne_u32_e32 vcc, 0, v2
	s_movk_i32 s6, 0x40f
	v_cndmask_b32_e32 v2, v7, v8, vcc
	v_cmp_eq_u32_e32 vcc, s6, v6
	v_cndmask_b32_e32 v2, v3, v2, vcc
	v_lshrrev_b32_e32 v3, 16, v1
	s_mov_b32 s6, 0x8000
	v_and_or_b32 v2, v3, s6, v2
	global_store_short v[4:5], v2, off
.LBB11_264:
	s_mov_b64 s[6:7], 0
.LBB11_265:
	s_andn2_b64 vcc, exec, s[6:7]
	s_cbranch_vccnz .LBB11_281
; %bb.266:
	s_cmp_lt_i32 s8, 2
	s_mov_b64 s[6:7], -1
	s_cbranch_scc1 .LBB11_276
; %bb.267:
	s_cmp_lt_i32 s8, 3
	s_cbranch_scc1 .LBB11_273
; %bb.268:
	s_cmp_gt_i32 s8, 3
	s_cbranch_scc0 .LBB11_270
; %bb.269:
	v_trunc_f64_e32 v[2:3], v[0:1]
	s_movk_i32 s6, 0xffe0
	v_ldexp_f64 v[6:7], v[2:3], s6
	s_mov_b32 s6, 0
	s_mov_b32 s7, 0xc1f00000
	v_floor_f64_e32 v[6:7], v[6:7]
	v_fma_f64 v[2:3], v[6:7], s[6:7], v[2:3]
	v_cvt_i32_f64_e32 v7, v[6:7]
	s_mov_b64 s[6:7], 0
	v_cvt_u32_f64_e32 v6, v[2:3]
	global_store_dwordx2 v[4:5], v[6:7], off
.LBB11_270:
	s_andn2_b64 vcc, exec, s[6:7]
	s_cbranch_vccnz .LBB11_272
; %bb.271:
	v_cvt_i32_f64_e32 v2, v[0:1]
	global_store_dword v[4:5], v2, off
.LBB11_272:
	s_mov_b64 s[6:7], 0
.LBB11_273:
	s_andn2_b64 vcc, exec, s[6:7]
	s_cbranch_vccnz .LBB11_275
; %bb.274:
	v_cvt_i32_f64_e32 v2, v[0:1]
	global_store_short v[4:5], v2, off
.LBB11_275:
	s_mov_b64 s[6:7], 0
.LBB11_276:
	s_andn2_b64 vcc, exec, s[6:7]
	s_cbranch_vccnz .LBB11_281
; %bb.277:
	s_cmp_gt_i32 s8, 0
	s_mov_b64 s[6:7], -1
	s_cbranch_scc0 .LBB11_279
; %bb.278:
	v_cvt_i32_f64_e32 v2, v[0:1]
	s_mov_b64 s[6:7], 0
	global_store_byte v[4:5], v2, off
.LBB11_279:
	s_andn2_b64 vcc, exec, s[6:7]
	s_cbranch_vccnz .LBB11_281
; %bb.280:
	v_trunc_f64_e32 v[0:1], v[0:1]
	s_movk_i32 s6, 0xffe0
	v_ldexp_f64 v[2:3], v[0:1], s6
	s_mov_b32 s6, 0
	s_mov_b32 s7, 0xc1f00000
	v_floor_f64_e32 v[2:3], v[2:3]
	v_fma_f64 v[0:1], v[2:3], s[6:7], v[0:1]
	v_cvt_u32_f64_e32 v0, v[0:1]
	global_store_byte v[4:5], v0, off
.LBB11_281:
	s_branch .LBB11_166
.LBB11_282:
	s_mov_b64 s[6:7], 0
                                        ; implicit-def: $vgpr41
.LBB11_283:
	s_andn2_b64 s[8:9], s[70:71], exec
	s_and_b64 s[4:5], s[4:5], exec
	s_or_b64 s[74:75], s[8:9], s[4:5]
	s_orn2_b64 s[8:9], s[6:7], exec
.LBB11_284:
	s_or_b64 exec, exec, s[76:77]
	s_mov_b64 s[4:5], 0
	s_mov_b64 s[6:7], 0
                                        ; implicit-def: $sgpr14
                                        ; implicit-def: $vgpr4_vgpr5
                                        ; implicit-def: $vgpr0_vgpr1
	s_and_saveexec_b64 s[76:77], s[8:9]
	s_cbranch_execz .LBB11_529
; %bb.285:
	v_cmp_gt_i32_e32 vcc, s82, v41
	s_mov_b64 s[6:7], -1
	s_mov_b64 s[80:81], s[74:75]
	s_and_saveexec_b64 s[78:79], vcc
	s_cbranch_execz .LBB11_429
; %bb.286:
	s_andn2_b64 vcc, exec, s[58:59]
	s_cbranch_vccnz .LBB11_291
; %bb.287:
	s_andn2_b64 vcc, exec, s[68:69]
	s_cbranch_vccnz .LBB11_292
; %bb.288:
	s_add_i32 s29, s86, 1
	s_cmp_eq_u32 s84, 2
	s_cbranch_scc1 .LBB11_293
; %bb.289:
	s_and_b32 s28, s29, 28
	v_mov_b32_e32 v2, 0
	s_mov_b32 s30, 0
	s_mov_b64 s[24:25], s[46:47]
	s_mov_b64 s[26:27], s[66:67]
	v_mov_b32_e32 v62, 0
	v_mov_b32_e32 v0, v41
.LBB11_290:                             ; =>This Inner Loop Header: Depth=1
	s_load_dwordx8 s[12:19], s[24:25], 0x4
	s_load_dwordx4 s[20:23], s[24:25], 0x24
	s_load_dwordx8 s[4:11], s[26:27], 0x0
	s_add_u32 s24, s24, 48
	s_addc_u32 s25, s25, 0
	s_waitcnt lgkmcnt(0)
	v_mul_hi_u32 v1, s13, v0
	s_add_i32 s30, s30, 4
	s_add_u32 s26, s26, 32
	s_addc_u32 s27, s27, 0
	v_add_u32_e32 v1, v0, v1
	v_lshrrev_b32_e32 v1, s14, v1
	v_mul_lo_u32 v3, v1, s12
	v_mul_hi_u32 v4, s16, v1
	s_cmp_eq_u32 s28, s30
	v_sub_u32_e32 v0, v0, v3
	v_add_u32_e32 v3, v1, v4
	v_mul_lo_u32 v4, v0, s4
	v_mul_lo_u32 v5, v0, s5
	v_lshrrev_b32_e32 v0, s17, v3
	v_mul_lo_u32 v3, v0, s15
	v_mul_hi_u32 v6, s19, v0
	v_sub_u32_e32 v1, v1, v3
	v_add_u32_e32 v3, v0, v6
	v_lshrrev_b32_e32 v3, s20, v3
	v_mul_hi_u32 v7, s22, v3
	v_mul_lo_u32 v8, v3, s18
	v_mul_lo_u32 v6, v1, s6
	;; [unrolled: 1-line block ×3, first 2 shown]
	v_sub_u32_e32 v8, v0, v8
	v_add_u32_e32 v0, v3, v7
	v_lshrrev_b32_e32 v0, s23, v0
	v_mul_lo_u32 v7, v0, s21
	v_mul_lo_u32 v9, v8, s8
	;; [unrolled: 1-line block ×3, first 2 shown]
	v_add3_u32 v4, v4, v62, v6
	v_sub_u32_e32 v3, v3, v7
	v_mul_lo_u32 v7, v3, s10
	v_mul_lo_u32 v3, v3, s11
	v_add3_u32 v1, v5, v2, v1
	v_add3_u32 v62, v9, v4, v7
	v_add3_u32 v2, v8, v1, v3
	s_cbranch_scc0 .LBB11_290
	s_branch .LBB11_294
.LBB11_291:
	s_mov_b64 s[4:5], -1
                                        ; implicit-def: $vgpr62
                                        ; implicit-def: $vgpr2
	s_branch .LBB11_298
.LBB11_292:
	v_mov_b32_e32 v62, 0
	v_mov_b32_e32 v2, 0
	s_branch .LBB11_297
.LBB11_293:
	s_mov_b32 s28, 0
	v_mov_b32_e32 v62, 0
	v_mov_b32_e32 v2, 0
	;; [unrolled: 1-line block ×3, first 2 shown]
.LBB11_294:
	s_and_b32 s8, s29, 3
	s_cmp_eq_u32 s8, 0
	s_cbranch_scc1 .LBB11_297
; %bb.295:
	s_lshl_b32 s4, s28, 3
	s_add_u32 s4, s46, s4
	s_addc_u32 s5, s47, 0
	s_add_u32 s4, s4, 0xc4
	s_addc_u32 s5, s5, 0
	s_mul_i32 s6, s28, 12
	s_add_u32 s6, s46, s6
	s_addc_u32 s7, s47, 0
.LBB11_296:                             ; =>This Inner Loop Header: Depth=1
	s_load_dwordx2 s[10:11], s[6:7], 0x4
	s_load_dword s9, s[6:7], 0xc
	s_load_dwordx2 s[12:13], s[4:5], 0x0
	s_add_u32 s6, s6, 12
	s_addc_u32 s7, s7, 0
	s_waitcnt lgkmcnt(0)
	v_mul_hi_u32 v1, s11, v0
	s_add_u32 s4, s4, 8
	s_addc_u32 s5, s5, 0
	s_add_i32 s8, s8, -1
	v_add_u32_e32 v1, v0, v1
	v_lshrrev_b32_e32 v1, s9, v1
	v_mul_lo_u32 v3, v1, s10
	s_cmp_lg_u32 s8, 0
	v_sub_u32_e32 v0, v0, v3
	v_mad_u64_u32 v[62:63], s[10:11], v0, s12, v[62:63]
	v_mad_u64_u32 v[2:3], s[10:11], v0, s13, v[2:3]
	v_mov_b32_e32 v0, v1
	s_cbranch_scc1 .LBB11_296
.LBB11_297:
	s_mov_b64 s[4:5], 0
.LBB11_298:
	s_andn2_b64 vcc, exec, s[4:5]
	s_cbranch_vccnz .LBB11_301
; %bb.299:
	s_waitcnt lgkmcnt(0)
	v_mul_hi_u32 v0, s53, v41
	s_andn2_b64 vcc, exec, s[64:65]
	v_add_u32_e32 v0, v41, v0
	v_lshrrev_b32_e32 v0, s54, v0
	v_mul_lo_u32 v1, v0, s52
	v_sub_u32_e32 v1, v41, v1
	v_mul_lo_u32 v62, v1, s48
	v_mul_lo_u32 v2, v1, s49
	s_cbranch_vccnz .LBB11_301
; %bb.300:
	v_mul_hi_u32 v1, s62, v0
	v_add_u32_e32 v1, v0, v1
	v_lshrrev_b32_e32 v1, s63, v1
	v_mul_lo_u32 v1, v1, s55
	v_sub_u32_e32 v0, v0, v1
	v_mad_u64_u32 v[62:63], s[4:5], v0, s50, v[62:63]
	v_mad_u64_u32 v[2:3], s[4:5], v0, s51, v[2:3]
.LBB11_301:
	s_getpc_b64 s[4:5]
	s_add_u32 s4, s4, _ZN2at6native6invokeIZZZNS0_12_GLOBAL__N_121bessel_j0_kernel_cudaERNS_18TensorIteratorBaseEENKUlvE_clEvENKUlvE_clEvEUldE_j15function_traitsIS7_EEENT1_11result_typeERKT_PrKPcPKT0_PKN3c1010ScalarTypeEi@rel32@lo+4
	s_addc_u32 s5, s5, _ZN2at6native6invokeIZZZNS0_12_GLOBAL__N_121bessel_j0_kernel_cudaERNS_18TensorIteratorBaseEENKUlvE_clEvENKUlvE_clEvEUldE_j15function_traitsIS7_EEENT1_11result_typeERKT_PrKPcPKT0_PKN3c1010ScalarTypeEi@rel32@hi+12
	s_waitcnt lgkmcnt(0)
	v_mov_b32_e32 v0, s38
	v_mov_b32_e32 v1, s39
	;; [unrolled: 1-line block ×3, first 2 shown]
	s_swappc_b64 s[30:31], s[4:5]
	v_mov_b32_e32 v2, s37
	s_and_b32 s12, s85, 0xff
	v_add_co_u32_e32 v4, vcc, s36, v62
	s_cmp_lt_i32 s12, 11
	v_addc_co_u32_e32 v5, vcc, 0, v2, vcc
	s_cbranch_scc1 .LBB11_308
; %bb.302:
	s_and_b32 s13, 0xffff, s12
	s_cmp_gt_i32 s13, 25
	s_cbranch_scc0 .LBB11_309
; %bb.303:
	s_cmp_gt_i32 s13, 28
	s_cbranch_scc0 .LBB11_310
; %bb.304:
	;; [unrolled: 3-line block ×4, first 2 shown]
	s_mov_b64 s[8:9], 0
	s_mov_b64 s[4:5], -1
	s_cmp_eq_u32 s13, 46
	s_mov_b64 s[6:7], 0
	s_cbranch_scc0 .LBB11_317
; %bb.307:
	v_cvt_f32_f64_e32 v2, v[0:1]
	s_movk_i32 s4, 0x7fff
	v_mov_b32_e32 v3, 0x7fc0
	s_mov_b64 s[6:7], -1
	v_bfe_u32 v6, v2, 16, 1
	v_cmp_o_f32_e32 vcc, v2, v2
	v_add3_u32 v2, v2, v6, s4
	v_cndmask_b32_sdwa v2, v3, v2, vcc dst_sel:DWORD dst_unused:UNUSED_PAD src0_sel:DWORD src1_sel:WORD_1
	global_store_dword v[4:5], v2, off
	s_mov_b64 s[4:5], 0
	s_branch .LBB11_317
.LBB11_308:
	s_mov_b64 s[8:9], -1
	s_mov_b64 s[6:7], 0
	s_mov_b64 s[4:5], s[74:75]
	s_branch .LBB11_386
.LBB11_309:
	s_mov_b64 s[8:9], -1
	s_mov_b64 s[6:7], 0
	s_mov_b64 s[4:5], s[74:75]
	s_branch .LBB11_344
.LBB11_310:
	s_mov_b64 s[8:9], -1
	s_mov_b64 s[6:7], 0
	s_mov_b64 s[4:5], s[74:75]
	s_branch .LBB11_327
.LBB11_311:
	s_andn2_saveexec_b64 s[10:11], s[10:11]
	s_cbranch_execz .LBB11_196
.LBB11_312:
	s_mov_b32 s14, 0x46000000
	v_add_f32_e64 v3, |v2|, s14
	v_and_b32_e32 v3, 0xff, v3
	v_cmp_ne_u32_e32 vcc, 0, v3
	s_andn2_b64 s[8:9], s[8:9], exec
	s_and_b64 s[14:15], vcc, exec
	s_or_b64 s[8:9], s[8:9], s[14:15]
	s_or_b64 exec, exec, s[10:11]
	v_mov_b32_e32 v6, 0
	s_and_saveexec_b64 s[10:11], s[8:9]
	s_cbranch_execnz .LBB11_197
	s_branch .LBB11_198
.LBB11_313:
	s_mov_b64 s[8:9], -1
	s_mov_b64 s[6:7], 0
	s_mov_b64 s[4:5], s[74:75]
	s_branch .LBB11_323
.LBB11_314:
	s_andn2_saveexec_b64 s[10:11], s[10:11]
	s_cbranch_execz .LBB11_209
.LBB11_315:
	s_mov_b32 s14, 0x42800000
	v_add_f32_e64 v3, |v2|, s14
	v_and_b32_e32 v3, 0xff, v3
	v_cmp_ne_u32_e32 vcc, 0, v3
	s_andn2_b64 s[8:9], s[8:9], exec
	s_and_b64 s[14:15], vcc, exec
	s_or_b64 s[8:9], s[8:9], s[14:15]
	s_or_b64 exec, exec, s[10:11]
	v_mov_b32_e32 v6, 0
	s_and_saveexec_b64 s[10:11], s[8:9]
	s_cbranch_execnz .LBB11_210
	s_branch .LBB11_211
.LBB11_316:
	s_mov_b64 s[8:9], -1
	s_mov_b64 s[6:7], 0
	s_mov_b64 s[4:5], s[74:75]
.LBB11_317:
	s_and_b64 vcc, exec, s[8:9]
	s_cbranch_vccz .LBB11_322
; %bb.318:
	s_cmp_eq_u32 s13, 44
	s_mov_b64 s[4:5], -1
	s_cbranch_scc0 .LBB11_322
; %bb.319:
	v_cvt_f32_f64_e32 v2, v[0:1]
	s_movk_i32 s4, 0xff
	v_mov_b32_e32 v6, 0xff
	v_bfe_u32 v3, v2, 23, 8
	v_cmp_ne_u32_e32 vcc, s4, v3
	s_and_saveexec_b64 s[6:7], vcc
; %bb.320:
	s_mov_b32 s4, 0x3fffff
	v_lshrrev_b32_e32 v6, 23, v2
	v_and_b32_e32 v7, 0x400000, v2
	v_and_or_b32 v2, v2, s4, v3
	v_cmp_ne_u32_e32 vcc, 0, v7
	v_cmp_ne_u32_e64 s[4:5], 0, v2
	s_and_b64 s[4:5], vcc, s[4:5]
	v_cndmask_b32_e64 v2, 0, 1, s[4:5]
	v_add_u32_e32 v6, v6, v2
; %bb.321:
	s_or_b64 exec, exec, s[6:7]
	s_mov_b64 s[6:7], -1
	s_mov_b64 s[4:5], 0
	global_store_byte v[4:5], v6, off
.LBB11_322:
	s_mov_b64 s[8:9], 0
.LBB11_323:
	s_and_b64 vcc, exec, s[8:9]
	s_cbranch_vccz .LBB11_326
; %bb.324:
	s_cmp_eq_u32 s13, 29
	s_mov_b64 s[4:5], -1
	s_cbranch_scc0 .LBB11_326
; %bb.325:
	v_trunc_f64_e32 v[2:3], v[0:1]
	s_movk_i32 s4, 0xffe0
	s_mov_b64 s[6:7], -1
	s_mov_b64 s[8:9], 0
	v_ldexp_f64 v[6:7], v[2:3], s4
	s_mov_b32 s4, 0
	s_mov_b32 s5, 0xc1f00000
	v_floor_f64_e32 v[6:7], v[6:7]
	v_fma_f64 v[2:3], v[6:7], s[4:5], v[2:3]
	v_cvt_u32_f64_e32 v7, v[6:7]
	s_mov_b64 s[4:5], 0
	v_cvt_u32_f64_e32 v6, v[2:3]
	global_store_dwordx2 v[4:5], v[6:7], off
	s_branch .LBB11_327
.LBB11_326:
	s_mov_b64 s[8:9], 0
.LBB11_327:
	s_and_b64 vcc, exec, s[8:9]
	s_cbranch_vccz .LBB11_343
; %bb.328:
	s_cmp_lt_i32 s13, 27
	s_mov_b64 s[6:7], -1
	s_cbranch_scc1 .LBB11_334
; %bb.329:
	v_cvt_u32_f64_e32 v2, v[0:1]
	s_cmp_gt_i32 s13, 27
	s_cbranch_scc0 .LBB11_331
; %bb.330:
	s_mov_b64 s[6:7], 0
	global_store_dword v[4:5], v2, off
.LBB11_331:
	s_andn2_b64 vcc, exec, s[6:7]
	s_cbranch_vccnz .LBB11_333
; %bb.332:
	global_store_short v[4:5], v2, off
.LBB11_333:
	s_mov_b64 s[6:7], 0
.LBB11_334:
	s_andn2_b64 vcc, exec, s[6:7]
	s_cbranch_vccnz .LBB11_342
; %bb.335:
	v_cvt_f32_f64_e32 v2, v[0:1]
	s_mov_b32 s6, 0x43800000
	v_mov_b32_e32 v6, 0x80
	v_and_b32_e32 v3, 0x7fffffff, v2
	v_cmp_gt_u32_e32 vcc, s6, v3
	s_and_saveexec_b64 s[6:7], vcc
	s_cbranch_execz .LBB11_341
; %bb.336:
	s_mov_b32 s8, 0x3bffffff
	v_cmp_lt_u32_e32 vcc, s8, v3
	s_mov_b64 s[8:9], 0
                                        ; implicit-def: $vgpr3
	s_and_saveexec_b64 s[10:11], vcc
	s_xor_b64 s[10:11], exec, s[10:11]
	s_cbranch_execz .LBB11_454
; %bb.337:
	v_bfe_u32 v3, v2, 20, 1
	s_mov_b32 s14, 0x487ffff
	v_add3_u32 v3, v2, v3, s14
	s_mov_b64 s[8:9], exec
	v_lshrrev_b32_e32 v3, 20, v3
	s_andn2_saveexec_b64 s[10:11], s[10:11]
	s_cbranch_execnz .LBB11_455
.LBB11_338:
	s_or_b64 exec, exec, s[10:11]
	v_mov_b32_e32 v6, 0
	s_and_saveexec_b64 s[10:11], s[8:9]
.LBB11_339:
	v_lshrrev_b32_e32 v2, 24, v2
	s_movk_i32 s8, 0x80
	v_and_or_b32 v6, v2, s8, v3
.LBB11_340:
	s_or_b64 exec, exec, s[10:11]
.LBB11_341:
	s_or_b64 exec, exec, s[6:7]
	global_store_byte v[4:5], v6, off
.LBB11_342:
	s_mov_b64 s[6:7], -1
.LBB11_343:
	s_mov_b64 s[8:9], 0
.LBB11_344:
	s_and_b64 vcc, exec, s[8:9]
	s_cbranch_vccz .LBB11_385
; %bb.345:
	s_cmp_gt_i32 s13, 22
	s_mov_b64 s[8:9], -1
	s_cbranch_scc0 .LBB11_377
; %bb.346:
	s_cmp_lt_i32 s13, 24
	s_mov_b64 s[6:7], -1
	s_cbranch_scc1 .LBB11_366
; %bb.347:
	s_cmp_gt_i32 s13, 24
	s_cbranch_scc0 .LBB11_355
; %bb.348:
	v_cvt_f32_f64_e32 v2, v[0:1]
	s_mov_b32 s6, 0x47800000
	v_mov_b32_e32 v6, 0x80
	v_and_b32_e32 v3, 0x7fffffff, v2
	v_cmp_gt_u32_e32 vcc, s6, v3
	s_and_saveexec_b64 s[6:7], vcc
	s_cbranch_execz .LBB11_354
; %bb.349:
	s_mov_b32 s8, 0x37ffffff
	v_cmp_lt_u32_e32 vcc, s8, v3
	s_mov_b64 s[8:9], 0
                                        ; implicit-def: $vgpr3
	s_and_saveexec_b64 s[10:11], vcc
	s_xor_b64 s[10:11], exec, s[10:11]
	s_cbranch_execz .LBB11_456
; %bb.350:
	v_bfe_u32 v3, v2, 21, 1
	s_mov_b32 s14, 0x88fffff
	v_add3_u32 v3, v2, v3, s14
	s_mov_b64 s[8:9], exec
	v_lshrrev_b32_e32 v3, 21, v3
	s_andn2_saveexec_b64 s[10:11], s[10:11]
	s_cbranch_execnz .LBB11_457
.LBB11_351:
	s_or_b64 exec, exec, s[10:11]
	v_mov_b32_e32 v6, 0
	s_and_saveexec_b64 s[10:11], s[8:9]
.LBB11_352:
	v_lshrrev_b32_e32 v2, 24, v2
	s_movk_i32 s8, 0x80
	v_and_or_b32 v6, v2, s8, v3
.LBB11_353:
	s_or_b64 exec, exec, s[10:11]
.LBB11_354:
	s_or_b64 exec, exec, s[6:7]
	s_mov_b64 s[6:7], 0
	global_store_byte v[4:5], v6, off
.LBB11_355:
	s_and_b64 vcc, exec, s[6:7]
	s_cbranch_vccz .LBB11_365
; %bb.356:
	v_cvt_f32_f64_e32 v2, v[0:1]
	s_mov_b32 s6, 0x43f00000
                                        ; implicit-def: $vgpr3
	v_and_b32_e32 v6, 0x7fffffff, v2
	v_cmp_gt_u32_e32 vcc, s6, v6
	s_and_saveexec_b64 s[6:7], vcc
	s_xor_b64 s[6:7], exec, s[6:7]
	s_cbranch_execz .LBB11_362
; %bb.357:
	s_mov_b32 s8, 0x3c7fffff
	v_cmp_lt_u32_e32 vcc, s8, v6
                                        ; implicit-def: $vgpr3
	s_and_saveexec_b64 s[8:9], vcc
	s_xor_b64 s[8:9], exec, s[8:9]
; %bb.358:
	v_bfe_u32 v3, v2, 20, 1
	s_mov_b32 s10, 0x407ffff
	v_add3_u32 v3, v2, v3, s10
	v_lshrrev_b32_e32 v6, 20, v3
	v_and_b32_e32 v3, 0xff00000, v3
	s_mov_b32 s10, 0x7f00000
	v_mov_b32_e32 v7, 0x7e
	v_cmp_ne_u32_e32 vcc, s10, v3
	v_cndmask_b32_e32 v3, v7, v6, vcc
; %bb.359:
	s_andn2_saveexec_b64 s[8:9], s[8:9]
; %bb.360:
	s_mov_b32 s10, 0x46800000
	v_add_f32_e64 v3, |v2|, s10
; %bb.361:
	s_or_b64 exec, exec, s[8:9]
                                        ; implicit-def: $vgpr6
.LBB11_362:
	s_andn2_saveexec_b64 s[6:7], s[6:7]
; %bb.363:
	s_mov_b32 s8, 0x7f800000
	v_mov_b32_e32 v3, 0x7e
	v_mov_b32_e32 v7, 0x7f
	v_cmp_lt_u32_e32 vcc, s8, v6
	v_cndmask_b32_e32 v3, v3, v7, vcc
; %bb.364:
	s_or_b64 exec, exec, s[6:7]
	v_lshrrev_b32_e32 v2, 24, v2
	s_movk_i32 s6, 0x80
	v_and_or_b32 v2, v2, s6, v3
	global_store_byte v[4:5], v2, off
.LBB11_365:
	s_mov_b64 s[6:7], 0
.LBB11_366:
	s_andn2_b64 vcc, exec, s[6:7]
	s_cbranch_vccnz .LBB11_376
; %bb.367:
	v_cvt_f32_f64_e32 v2, v[0:1]
	s_mov_b32 s6, 0x47800000
                                        ; implicit-def: $vgpr3
	v_and_b32_e32 v6, 0x7fffffff, v2
	v_cmp_gt_u32_e32 vcc, s6, v6
	s_and_saveexec_b64 s[6:7], vcc
	s_xor_b64 s[6:7], exec, s[6:7]
	s_cbranch_execz .LBB11_373
; %bb.368:
	s_mov_b32 s8, 0x387fffff
	v_cmp_lt_u32_e32 vcc, s8, v6
                                        ; implicit-def: $vgpr3
	s_and_saveexec_b64 s[8:9], vcc
	s_xor_b64 s[8:9], exec, s[8:9]
; %bb.369:
	v_bfe_u32 v3, v2, 21, 1
	s_mov_b32 s10, 0x80fffff
	v_add3_u32 v3, v2, v3, s10
	v_lshrrev_b32_e32 v3, 21, v3
; %bb.370:
	s_andn2_saveexec_b64 s[8:9], s[8:9]
; %bb.371:
	s_mov_b32 s10, 0x43000000
	v_add_f32_e64 v3, |v2|, s10
; %bb.372:
	s_or_b64 exec, exec, s[8:9]
                                        ; implicit-def: $vgpr6
.LBB11_373:
	s_andn2_saveexec_b64 s[6:7], s[6:7]
; %bb.374:
	s_mov_b32 s8, 0x7f800000
	v_mov_b32_e32 v3, 0x7c
	v_mov_b32_e32 v7, 0x7f
	v_cmp_lt_u32_e32 vcc, s8, v6
	v_cndmask_b32_e32 v3, v3, v7, vcc
; %bb.375:
	s_or_b64 exec, exec, s[6:7]
	v_lshrrev_b32_e32 v2, 24, v2
	s_movk_i32 s6, 0x80
	v_and_or_b32 v2, v2, s6, v3
	global_store_byte v[4:5], v2, off
.LBB11_376:
	s_mov_b64 s[8:9], 0
	s_mov_b64 s[6:7], -1
.LBB11_377:
	s_andn2_b64 vcc, exec, s[8:9]
	s_cbranch_vccnz .LBB11_385
; %bb.378:
	s_cmp_gt_i32 s13, 14
	s_mov_b64 s[8:9], -1
	s_cbranch_scc0 .LBB11_382
; %bb.379:
	s_cmp_eq_u32 s13, 15
	s_mov_b64 s[4:5], -1
	s_cbranch_scc0 .LBB11_381
; %bb.380:
	v_cvt_f32_f64_e32 v2, v[0:1]
	s_movk_i32 s4, 0x7fff
	v_mov_b32_e32 v3, 0x7fc0
	s_mov_b64 s[6:7], -1
	v_bfe_u32 v6, v2, 16, 1
	v_cmp_o_f32_e32 vcc, v2, v2
	v_add3_u32 v2, v2, v6, s4
	v_cndmask_b32_sdwa v2, v3, v2, vcc dst_sel:DWORD dst_unused:UNUSED_PAD src0_sel:DWORD src1_sel:WORD_1
	global_store_short v[4:5], v2, off
	s_mov_b64 s[4:5], 0
.LBB11_381:
	s_mov_b64 s[8:9], 0
.LBB11_382:
	s_and_b64 vcc, exec, s[8:9]
	s_cbranch_vccz .LBB11_385
; %bb.383:
	s_cmp_eq_u32 s13, 11
	s_mov_b64 s[4:5], -1
	s_cbranch_scc0 .LBB11_385
; %bb.384:
	v_cmp_neq_f64_e32 vcc, 0, v[0:1]
	s_mov_b64 s[4:5], 0
	s_mov_b64 s[6:7], -1
	v_cndmask_b32_e64 v2, 0, 1, vcc
	global_store_byte v[4:5], v2, off
.LBB11_385:
	s_mov_b64 s[8:9], 0
.LBB11_386:
	s_and_b64 vcc, exec, s[8:9]
	s_cbranch_vccz .LBB11_425
; %bb.387:
	s_and_b32 s8, 0xffff, s12
	s_cmp_lt_i32 s8, 5
	s_mov_b64 s[6:7], -1
	s_cbranch_scc1 .LBB11_408
; %bb.388:
	s_cmp_lt_i32 s8, 8
	s_cbranch_scc1 .LBB11_398
; %bb.389:
	s_cmp_lt_i32 s8, 9
	s_cbranch_scc1 .LBB11_395
; %bb.390:
	s_cmp_gt_i32 s8, 9
	s_cbranch_scc0 .LBB11_392
; %bb.391:
	v_mov_b32_e32 v2, 0
	v_mov_b32_e32 v3, v2
	s_mov_b64 s[6:7], 0
	global_store_dwordx4 v[4:5], v[0:3], off
.LBB11_392:
	s_andn2_b64 vcc, exec, s[6:7]
	s_cbranch_vccnz .LBB11_394
; %bb.393:
	v_cvt_f32_f64_e32 v2, v[0:1]
	v_mov_b32_e32 v3, 0
	global_store_dwordx2 v[4:5], v[2:3], off
.LBB11_394:
	s_mov_b64 s[6:7], 0
.LBB11_395:
	s_andn2_b64 vcc, exec, s[6:7]
	s_cbranch_vccnz .LBB11_397
; %bb.396:
	s_movk_i32 s6, 0x1ff
	v_and_or_b32 v2, v1, s6, v0
	v_cmp_ne_u32_e32 vcc, 0, v2
	v_cndmask_b32_e64 v2, 0, 1, vcc
	v_lshrrev_b32_e32 v3, 8, v1
	s_movk_i32 s6, 0xffe
	v_bfe_u32 v6, v1, 20, 11
	v_and_or_b32 v2, v3, s6, v2
	v_sub_u32_e32 v7, 0x3f1, v6
	v_or_b32_e32 v3, 0x1000, v2
	v_med3_i32 v7, v7, 0, 13
	v_lshrrev_b32_e32 v8, v7, v3
	v_lshlrev_b32_e32 v7, v7, v8
	v_cmp_ne_u32_e32 vcc, v7, v3
	v_cndmask_b32_e64 v3, 0, 1, vcc
	v_add_u32_e32 v6, 0xfffffc10, v6
	v_or_b32_e32 v3, v8, v3
	v_lshl_or_b32 v7, v6, 12, v2
	v_cmp_gt_i32_e32 vcc, 1, v6
	v_cndmask_b32_e32 v3, v7, v3, vcc
	v_and_b32_e32 v7, 7, v3
	v_cmp_lt_i32_e32 vcc, 5, v7
	v_cndmask_b32_e64 v8, 0, 1, vcc
	v_cmp_eq_u32_e32 vcc, 3, v7
	v_cndmask_b32_e64 v7, 0, 1, vcc
	v_or_b32_e32 v7, v7, v8
	v_lshrrev_b32_e32 v3, 2, v3
	v_add_u32_e32 v3, v3, v7
	v_mov_b32_e32 v7, 0x7c00
	v_cmp_gt_i32_e32 vcc, 31, v6
	v_cndmask_b32_e32 v3, v7, v3, vcc
	v_mov_b32_e32 v8, 0x7e00
	v_cmp_ne_u32_e32 vcc, 0, v2
	s_movk_i32 s6, 0x40f
	v_cndmask_b32_e32 v2, v7, v8, vcc
	v_cmp_eq_u32_e32 vcc, s6, v6
	v_cndmask_b32_e32 v2, v3, v2, vcc
	v_lshrrev_b32_e32 v3, 16, v1
	s_mov_b32 s6, 0x8000
	v_and_or_b32 v2, v3, s6, v2
	v_and_b32_e32 v2, 0xffff, v2
	global_store_dword v[4:5], v2, off
.LBB11_397:
	s_mov_b64 s[6:7], 0
.LBB11_398:
	s_andn2_b64 vcc, exec, s[6:7]
	s_cbranch_vccnz .LBB11_407
; %bb.399:
	s_cmp_lt_i32 s8, 6
	s_mov_b64 s[6:7], -1
	s_cbranch_scc1 .LBB11_405
; %bb.400:
	s_cmp_gt_i32 s8, 6
	s_cbranch_scc0 .LBB11_402
; %bb.401:
	s_mov_b64 s[6:7], 0
	global_store_dwordx2 v[4:5], v[0:1], off
.LBB11_402:
	s_andn2_b64 vcc, exec, s[6:7]
	s_cbranch_vccnz .LBB11_404
; %bb.403:
	v_cvt_f32_f64_e32 v2, v[0:1]
	global_store_dword v[4:5], v2, off
.LBB11_404:
	s_mov_b64 s[6:7], 0
.LBB11_405:
	s_andn2_b64 vcc, exec, s[6:7]
	s_cbranch_vccnz .LBB11_407
; %bb.406:
	s_movk_i32 s6, 0x1ff
	v_and_or_b32 v2, v1, s6, v0
	v_cmp_ne_u32_e32 vcc, 0, v2
	v_cndmask_b32_e64 v2, 0, 1, vcc
	v_lshrrev_b32_e32 v3, 8, v1
	s_movk_i32 s6, 0xffe
	v_bfe_u32 v6, v1, 20, 11
	v_and_or_b32 v2, v3, s6, v2
	v_sub_u32_e32 v7, 0x3f1, v6
	v_or_b32_e32 v3, 0x1000, v2
	v_med3_i32 v7, v7, 0, 13
	v_lshrrev_b32_e32 v8, v7, v3
	v_lshlrev_b32_e32 v7, v7, v8
	v_cmp_ne_u32_e32 vcc, v7, v3
	v_cndmask_b32_e64 v3, 0, 1, vcc
	v_add_u32_e32 v6, 0xfffffc10, v6
	v_or_b32_e32 v3, v8, v3
	v_lshl_or_b32 v7, v6, 12, v2
	v_cmp_gt_i32_e32 vcc, 1, v6
	v_cndmask_b32_e32 v3, v7, v3, vcc
	v_and_b32_e32 v7, 7, v3
	v_cmp_lt_i32_e32 vcc, 5, v7
	v_cndmask_b32_e64 v8, 0, 1, vcc
	v_cmp_eq_u32_e32 vcc, 3, v7
	v_cndmask_b32_e64 v7, 0, 1, vcc
	v_or_b32_e32 v7, v7, v8
	v_lshrrev_b32_e32 v3, 2, v3
	v_add_u32_e32 v3, v3, v7
	v_mov_b32_e32 v7, 0x7c00
	v_cmp_gt_i32_e32 vcc, 31, v6
	v_cndmask_b32_e32 v3, v7, v3, vcc
	v_mov_b32_e32 v8, 0x7e00
	v_cmp_ne_u32_e32 vcc, 0, v2
	s_movk_i32 s6, 0x40f
	v_cndmask_b32_e32 v2, v7, v8, vcc
	v_cmp_eq_u32_e32 vcc, s6, v6
	v_cndmask_b32_e32 v2, v3, v2, vcc
	v_lshrrev_b32_e32 v3, 16, v1
	s_mov_b32 s6, 0x8000
	v_and_or_b32 v2, v3, s6, v2
	global_store_short v[4:5], v2, off
.LBB11_407:
	s_mov_b64 s[6:7], 0
.LBB11_408:
	s_andn2_b64 vcc, exec, s[6:7]
	s_cbranch_vccnz .LBB11_424
; %bb.409:
	s_cmp_lt_i32 s8, 2
	s_mov_b64 s[6:7], -1
	s_cbranch_scc1 .LBB11_419
; %bb.410:
	s_cmp_lt_i32 s8, 3
	s_cbranch_scc1 .LBB11_416
; %bb.411:
	s_cmp_gt_i32 s8, 3
	s_cbranch_scc0 .LBB11_413
; %bb.412:
	v_trunc_f64_e32 v[2:3], v[0:1]
	s_movk_i32 s6, 0xffe0
	v_ldexp_f64 v[6:7], v[2:3], s6
	s_mov_b32 s6, 0
	s_mov_b32 s7, 0xc1f00000
	v_floor_f64_e32 v[6:7], v[6:7]
	v_fma_f64 v[2:3], v[6:7], s[6:7], v[2:3]
	v_cvt_i32_f64_e32 v7, v[6:7]
	s_mov_b64 s[6:7], 0
	v_cvt_u32_f64_e32 v6, v[2:3]
	global_store_dwordx2 v[4:5], v[6:7], off
.LBB11_413:
	s_andn2_b64 vcc, exec, s[6:7]
	s_cbranch_vccnz .LBB11_415
; %bb.414:
	v_cvt_i32_f64_e32 v2, v[0:1]
	global_store_dword v[4:5], v2, off
.LBB11_415:
	s_mov_b64 s[6:7], 0
.LBB11_416:
	s_andn2_b64 vcc, exec, s[6:7]
	s_cbranch_vccnz .LBB11_418
; %bb.417:
	v_cvt_i32_f64_e32 v2, v[0:1]
	global_store_short v[4:5], v2, off
.LBB11_418:
	s_mov_b64 s[6:7], 0
.LBB11_419:
	s_andn2_b64 vcc, exec, s[6:7]
	s_cbranch_vccnz .LBB11_424
; %bb.420:
	s_cmp_gt_i32 s8, 0
	s_mov_b64 s[6:7], -1
	s_cbranch_scc0 .LBB11_422
; %bb.421:
	v_cvt_i32_f64_e32 v2, v[0:1]
	s_mov_b64 s[6:7], 0
	global_store_byte v[4:5], v2, off
.LBB11_422:
	s_andn2_b64 vcc, exec, s[6:7]
	s_cbranch_vccnz .LBB11_424
; %bb.423:
	v_trunc_f64_e32 v[0:1], v[0:1]
	s_movk_i32 s6, 0xffe0
	v_ldexp_f64 v[2:3], v[0:1], s6
	s_mov_b32 s6, 0
	s_mov_b32 s7, 0xc1f00000
	v_floor_f64_e32 v[2:3], v[2:3]
	v_fma_f64 v[0:1], v[2:3], s[6:7], v[0:1]
	v_cvt_u32_f64_e32 v0, v[0:1]
	global_store_byte v[4:5], v0, off
.LBB11_424:
	s_mov_b64 s[6:7], -1
.LBB11_425:
	s_andn2_b64 vcc, exec, s[6:7]
	s_cbranch_vccnz .LBB11_427
; %bb.426:
	v_add_u32_e32 v41, 0x80, v41
	s_mov_b64 s[6:7], -1
	s_branch .LBB11_428
.LBB11_427:
	s_mov_b64 s[6:7], 0
                                        ; implicit-def: $vgpr41
.LBB11_428:
	s_andn2_b64 s[8:9], s[74:75], exec
	s_and_b64 s[4:5], s[4:5], exec
	s_or_b64 s[80:81], s[8:9], s[4:5]
	s_orn2_b64 s[6:7], s[6:7], exec
.LBB11_429:
	s_or_b64 exec, exec, s[78:79]
	s_mov_b64 s[4:5], 0
	s_mov_b64 s[10:11], 0
                                        ; implicit-def: $sgpr14
                                        ; implicit-def: $vgpr4_vgpr5
                                        ; implicit-def: $vgpr0_vgpr1
	s_and_saveexec_b64 s[78:79], s[6:7]
	s_cbranch_execz .LBB11_528
; %bb.430:
	v_cmp_gt_i32_e32 vcc, s82, v41
	s_mov_b64 s[6:7], 0
	s_mov_b64 s[8:9], s[80:81]
                                        ; implicit-def: $sgpr14
                                        ; implicit-def: $vgpr4_vgpr5
                                        ; implicit-def: $vgpr0_vgpr1
	s_and_saveexec_b64 s[82:83], vcc
	s_cbranch_execz .LBB11_527
; %bb.431:
	s_andn2_b64 vcc, exec, s[58:59]
	s_cbranch_vccnz .LBB11_436
; %bb.432:
	s_andn2_b64 vcc, exec, s[68:69]
	s_cbranch_vccnz .LBB11_437
; %bb.433:
	s_add_i32 s86, s86, 1
	s_cmp_eq_u32 s84, 2
	s_cbranch_scc1 .LBB11_438
; %bb.434:
	s_and_b32 s26, s86, 28
	v_mov_b32_e32 v2, 0
	s_mov_b32 s27, 0
	s_mov_b64 s[24:25], s[46:47]
	v_mov_b32_e32 v62, 0
	v_mov_b32_e32 v0, v41
.LBB11_435:                             ; =>This Inner Loop Header: Depth=1
	s_load_dwordx8 s[12:19], s[24:25], 0x4
	s_load_dwordx4 s[20:23], s[24:25], 0x24
	s_load_dwordx8 s[4:11], s[66:67], 0x0
	s_add_u32 s24, s24, 48
	s_addc_u32 s25, s25, 0
	s_waitcnt lgkmcnt(0)
	v_mul_hi_u32 v1, s13, v0
	s_add_i32 s27, s27, 4
	s_add_u32 s66, s66, 32
	s_addc_u32 s67, s67, 0
	v_add_u32_e32 v1, v0, v1
	v_lshrrev_b32_e32 v1, s14, v1
	v_mul_lo_u32 v3, v1, s12
	v_mul_hi_u32 v4, s16, v1
	s_cmp_eq_u32 s26, s27
	v_sub_u32_e32 v0, v0, v3
	v_add_u32_e32 v3, v1, v4
	v_mul_lo_u32 v4, v0, s4
	v_mul_lo_u32 v5, v0, s5
	v_lshrrev_b32_e32 v0, s17, v3
	v_mul_lo_u32 v3, v0, s15
	v_mul_hi_u32 v6, s19, v0
	v_sub_u32_e32 v1, v1, v3
	v_add_u32_e32 v3, v0, v6
	v_lshrrev_b32_e32 v3, s20, v3
	v_mul_hi_u32 v7, s22, v3
	v_mul_lo_u32 v8, v3, s18
	v_mul_lo_u32 v6, v1, s6
	;; [unrolled: 1-line block ×3, first 2 shown]
	v_sub_u32_e32 v8, v0, v8
	v_add_u32_e32 v0, v3, v7
	v_lshrrev_b32_e32 v0, s23, v0
	v_mul_lo_u32 v7, v0, s21
	v_mul_lo_u32 v9, v8, s8
	;; [unrolled: 1-line block ×3, first 2 shown]
	v_add3_u32 v4, v4, v62, v6
	v_sub_u32_e32 v3, v3, v7
	v_mul_lo_u32 v7, v3, s10
	v_mul_lo_u32 v3, v3, s11
	v_add3_u32 v1, v5, v2, v1
	v_add3_u32 v62, v9, v4, v7
	v_add3_u32 v2, v8, v1, v3
	s_cbranch_scc0 .LBB11_435
	s_branch .LBB11_439
.LBB11_436:
	s_mov_b64 s[4:5], -1
                                        ; implicit-def: $vgpr62
                                        ; implicit-def: $vgpr2
	s_branch .LBB11_443
.LBB11_437:
	v_mov_b32_e32 v62, 0
	v_mov_b32_e32 v2, 0
	s_branch .LBB11_442
.LBB11_438:
	s_mov_b32 s26, 0
	v_mov_b32_e32 v62, 0
	v_mov_b32_e32 v2, 0
	;; [unrolled: 1-line block ×3, first 2 shown]
.LBB11_439:
	s_and_b32 s8, s86, 3
	s_cmp_eq_u32 s8, 0
	s_cbranch_scc1 .LBB11_442
; %bb.440:
	s_lshl_b32 s4, s26, 3
	s_add_u32 s4, s46, s4
	s_addc_u32 s5, s47, 0
	s_add_u32 s4, s4, 0xc4
	s_addc_u32 s5, s5, 0
	s_mul_i32 s6, s26, 12
	s_add_u32 s6, s46, s6
	s_addc_u32 s7, s47, 0
.LBB11_441:                             ; =>This Inner Loop Header: Depth=1
	s_load_dwordx2 s[10:11], s[6:7], 0x4
	s_load_dword s9, s[6:7], 0xc
	s_load_dwordx2 s[12:13], s[4:5], 0x0
	s_add_u32 s6, s6, 12
	s_addc_u32 s7, s7, 0
	s_waitcnt lgkmcnt(0)
	v_mul_hi_u32 v1, s11, v0
	s_add_u32 s4, s4, 8
	s_addc_u32 s5, s5, 0
	s_add_i32 s8, s8, -1
	v_add_u32_e32 v1, v0, v1
	v_lshrrev_b32_e32 v1, s9, v1
	v_mul_lo_u32 v3, v1, s10
	s_cmp_lg_u32 s8, 0
	v_sub_u32_e32 v0, v0, v3
	v_mad_u64_u32 v[62:63], s[10:11], v0, s12, v[62:63]
	v_mad_u64_u32 v[2:3], s[10:11], v0, s13, v[2:3]
	v_mov_b32_e32 v0, v1
	s_cbranch_scc1 .LBB11_441
.LBB11_442:
	s_mov_b64 s[4:5], 0
.LBB11_443:
	s_andn2_b64 vcc, exec, s[4:5]
	s_cbranch_vccnz .LBB11_446
; %bb.444:
	s_waitcnt lgkmcnt(0)
	v_mul_hi_u32 v0, s53, v41
	s_andn2_b64 vcc, exec, s[64:65]
	v_add_u32_e32 v0, v41, v0
	v_lshrrev_b32_e32 v0, s54, v0
	v_mul_lo_u32 v1, v0, s52
	v_sub_u32_e32 v1, v41, v1
	v_mul_lo_u32 v62, v1, s48
	v_mul_lo_u32 v2, v1, s49
	s_cbranch_vccnz .LBB11_446
; %bb.445:
	v_mul_hi_u32 v1, s62, v0
	v_add_u32_e32 v1, v0, v1
	v_lshrrev_b32_e32 v1, s63, v1
	v_mul_lo_u32 v1, v1, s55
	v_sub_u32_e32 v0, v0, v1
	v_mad_u64_u32 v[62:63], s[4:5], v0, s50, v[62:63]
	v_mad_u64_u32 v[2:3], s[4:5], v0, s51, v[2:3]
.LBB11_446:
	s_getpc_b64 s[4:5]
	s_add_u32 s4, s4, _ZN2at6native6invokeIZZZNS0_12_GLOBAL__N_121bessel_j0_kernel_cudaERNS_18TensorIteratorBaseEENKUlvE_clEvENKUlvE_clEvEUldE_j15function_traitsIS7_EEENT1_11result_typeERKT_PrKPcPKT0_PKN3c1010ScalarTypeEi@rel32@lo+4
	s_addc_u32 s5, s5, _ZN2at6native6invokeIZZZNS0_12_GLOBAL__N_121bessel_j0_kernel_cudaERNS_18TensorIteratorBaseEENKUlvE_clEvENKUlvE_clEvEUldE_j15function_traitsIS7_EEENT1_11result_typeERKT_PrKPcPKT0_PKN3c1010ScalarTypeEi@rel32@hi+12
	s_waitcnt lgkmcnt(0)
	v_mov_b32_e32 v0, s38
	v_mov_b32_e32 v1, s39
	;; [unrolled: 1-line block ×3, first 2 shown]
	s_swappc_b64 s[30:31], s[4:5]
	v_mov_b32_e32 v2, s37
	s_and_b32 s14, s85, 0xff
	v_add_co_u32_e32 v4, vcc, s36, v62
	s_cmp_lt_i32 s14, 11
	v_addc_co_u32_e32 v5, vcc, 0, v2, vcc
	s_cbranch_scc1 .LBB11_453
; %bb.447:
	s_and_b32 s15, 0xffff, s14
	s_mov_b64 s[8:9], -1
	s_cmp_gt_i32 s15, 25
	s_mov_b64 s[4:5], s[80:81]
	s_cbranch_scc0 .LBB11_485
; %bb.448:
	s_mov_b64 s[6:7], -1
	s_cmp_gt_i32 s15, 28
	s_mov_b64 s[4:5], s[80:81]
	s_cbranch_scc0 .LBB11_469
; %bb.449:
	s_cmp_gt_i32 s15, 43
	s_mov_b64 s[4:5], s[80:81]
	s_cbranch_scc0 .LBB11_465
; %bb.450:
	s_cmp_gt_i32 s15, 45
	s_mov_b64 s[4:5], s[80:81]
	s_cbranch_scc0 .LBB11_459
; %bb.451:
	s_cmp_eq_u32 s15, 46
	s_mov_b64 s[4:5], -1
	s_cbranch_scc0 .LBB11_458
; %bb.452:
	v_cvt_f32_f64_e32 v2, v[0:1]
	s_movk_i32 s4, 0x7fff
	v_mov_b32_e32 v3, 0x7fc0
	s_mov_b64 s[6:7], 0
	v_bfe_u32 v6, v2, 16, 1
	v_cmp_o_f32_e32 vcc, v2, v2
	v_add3_u32 v2, v2, v6, s4
	v_cndmask_b32_sdwa v2, v3, v2, vcc dst_sel:DWORD dst_unused:UNUSED_PAD src0_sel:DWORD src1_sel:WORD_1
	global_store_dword v[4:5], v2, off
	s_mov_b64 s[4:5], 0
	s_branch .LBB11_459
.LBB11_453:
	s_mov_b64 s[8:9], 0
	s_mov_b64 s[6:7], -1
	s_mov_b64 s[4:5], s[80:81]
	s_branch .LBB11_526
.LBB11_454:
	s_andn2_saveexec_b64 s[10:11], s[10:11]
	s_cbranch_execz .LBB11_338
.LBB11_455:
	s_mov_b32 s14, 0x46000000
	v_add_f32_e64 v3, |v2|, s14
	v_and_b32_e32 v3, 0xff, v3
	v_cmp_ne_u32_e32 vcc, 0, v3
	s_andn2_b64 s[8:9], s[8:9], exec
	s_and_b64 s[14:15], vcc, exec
	s_or_b64 s[8:9], s[8:9], s[14:15]
	s_or_b64 exec, exec, s[10:11]
	v_mov_b32_e32 v6, 0
	s_and_saveexec_b64 s[10:11], s[8:9]
	s_cbranch_execnz .LBB11_339
	s_branch .LBB11_340
.LBB11_456:
	s_andn2_saveexec_b64 s[10:11], s[10:11]
	s_cbranch_execz .LBB11_351
.LBB11_457:
	s_mov_b32 s14, 0x42800000
	v_add_f32_e64 v3, |v2|, s14
	v_and_b32_e32 v3, 0xff, v3
	v_cmp_ne_u32_e32 vcc, 0, v3
	s_andn2_b64 s[8:9], s[8:9], exec
	s_and_b64 s[14:15], vcc, exec
	s_or_b64 s[8:9], s[8:9], s[14:15]
	s_or_b64 exec, exec, s[10:11]
	v_mov_b32_e32 v6, 0
	s_and_saveexec_b64 s[10:11], s[8:9]
	s_cbranch_execnz .LBB11_352
	s_branch .LBB11_353
.LBB11_458:
	s_mov_b64 s[6:7], 0
.LBB11_459:
	s_and_b64 vcc, exec, s[6:7]
	s_cbranch_vccz .LBB11_464
; %bb.460:
	s_cmp_eq_u32 s15, 44
	s_mov_b64 s[4:5], -1
	s_cbranch_scc0 .LBB11_464
; %bb.461:
	v_cvt_f32_f64_e32 v2, v[0:1]
	s_movk_i32 s4, 0xff
	v_mov_b32_e32 v6, 0xff
	v_bfe_u32 v3, v2, 23, 8
	v_cmp_ne_u32_e32 vcc, s4, v3
	s_and_saveexec_b64 s[6:7], vcc
; %bb.462:
	s_mov_b32 s4, 0x3fffff
	v_lshrrev_b32_e32 v6, 23, v2
	v_and_b32_e32 v7, 0x400000, v2
	v_and_or_b32 v2, v2, s4, v3
	v_cmp_ne_u32_e32 vcc, 0, v7
	v_cmp_ne_u32_e64 s[4:5], 0, v2
	s_and_b64 s[4:5], vcc, s[4:5]
	v_cndmask_b32_e64 v2, 0, 1, s[4:5]
	v_add_u32_e32 v6, v6, v2
; %bb.463:
	s_or_b64 exec, exec, s[6:7]
	s_mov_b64 s[4:5], 0
	global_store_byte v[4:5], v6, off
.LBB11_464:
	s_mov_b64 s[6:7], 0
.LBB11_465:
	s_and_b64 vcc, exec, s[6:7]
	s_cbranch_vccz .LBB11_468
; %bb.466:
	s_cmp_eq_u32 s15, 29
	s_mov_b64 s[4:5], -1
	s_cbranch_scc0 .LBB11_468
; %bb.467:
	v_trunc_f64_e32 v[2:3], v[0:1]
	s_movk_i32 s4, 0xffe0
	s_mov_b64 s[6:7], 0
	v_ldexp_f64 v[6:7], v[2:3], s4
	s_mov_b32 s4, 0
	s_mov_b32 s5, 0xc1f00000
	v_floor_f64_e32 v[6:7], v[6:7]
	v_fma_f64 v[2:3], v[6:7], s[4:5], v[2:3]
	v_cvt_u32_f64_e32 v7, v[6:7]
	s_mov_b64 s[4:5], 0
	v_cvt_u32_f64_e32 v6, v[2:3]
	global_store_dwordx2 v[4:5], v[6:7], off
	s_branch .LBB11_469
.LBB11_468:
	s_mov_b64 s[6:7], 0
.LBB11_469:
	s_and_b64 vcc, exec, s[6:7]
	s_cbranch_vccz .LBB11_484
; %bb.470:
	s_cmp_lt_i32 s15, 27
	s_mov_b64 s[6:7], -1
	s_cbranch_scc1 .LBB11_476
; %bb.471:
	v_cvt_u32_f64_e32 v2, v[0:1]
	s_cmp_gt_i32 s15, 27
	s_cbranch_scc0 .LBB11_473
; %bb.472:
	s_mov_b64 s[6:7], 0
	global_store_dword v[4:5], v2, off
.LBB11_473:
	s_andn2_b64 vcc, exec, s[6:7]
	s_cbranch_vccnz .LBB11_475
; %bb.474:
	global_store_short v[4:5], v2, off
.LBB11_475:
	s_mov_b64 s[6:7], 0
.LBB11_476:
	s_andn2_b64 vcc, exec, s[6:7]
	s_cbranch_vccnz .LBB11_484
; %bb.477:
	v_cvt_f32_f64_e32 v2, v[0:1]
	s_mov_b32 s6, 0x43800000
	v_mov_b32_e32 v6, 0x80
	v_and_b32_e32 v3, 0x7fffffff, v2
	v_cmp_gt_u32_e32 vcc, s6, v3
	s_and_saveexec_b64 s[6:7], vcc
	s_cbranch_execz .LBB11_483
; %bb.478:
	s_mov_b32 s8, 0x3bffffff
	v_cmp_lt_u32_e32 vcc, s8, v3
	s_mov_b64 s[8:9], 0
                                        ; implicit-def: $vgpr3
	s_and_saveexec_b64 s[10:11], vcc
	s_xor_b64 s[10:11], exec, s[10:11]
	s_cbranch_execz .LBB11_1121
; %bb.479:
	v_bfe_u32 v3, v2, 20, 1
	s_mov_b32 s12, 0x487ffff
	v_add3_u32 v3, v2, v3, s12
	s_mov_b64 s[8:9], exec
	v_lshrrev_b32_e32 v3, 20, v3
	s_andn2_saveexec_b64 s[10:11], s[10:11]
	s_cbranch_execnz .LBB11_1122
.LBB11_480:
	s_or_b64 exec, exec, s[10:11]
	v_mov_b32_e32 v6, 0
	s_and_saveexec_b64 s[10:11], s[8:9]
.LBB11_481:
	v_lshrrev_b32_e32 v2, 24, v2
	s_movk_i32 s8, 0x80
	v_and_or_b32 v6, v2, s8, v3
.LBB11_482:
	s_or_b64 exec, exec, s[10:11]
.LBB11_483:
	s_or_b64 exec, exec, s[6:7]
	global_store_byte v[4:5], v6, off
.LBB11_484:
	s_mov_b64 s[8:9], 0
.LBB11_485:
	s_mov_b64 s[6:7], 0
	s_and_b64 vcc, exec, s[8:9]
	s_cbranch_vccz .LBB11_525
; %bb.486:
	s_cmp_gt_i32 s15, 22
	s_mov_b64 s[8:9], -1
	s_cbranch_scc0 .LBB11_518
; %bb.487:
	s_cmp_lt_i32 s15, 24
	s_cbranch_scc1 .LBB11_507
; %bb.488:
	s_cmp_gt_i32 s15, 24
	s_cbranch_scc0 .LBB11_496
; %bb.489:
	v_cvt_f32_f64_e32 v2, v[0:1]
	s_mov_b32 s8, 0x47800000
	v_mov_b32_e32 v6, 0x80
	v_and_b32_e32 v3, 0x7fffffff, v2
	v_cmp_gt_u32_e32 vcc, s8, v3
	s_and_saveexec_b64 s[8:9], vcc
	s_cbranch_execz .LBB11_495
; %bb.490:
	s_mov_b32 s10, 0x37ffffff
	v_cmp_lt_u32_e32 vcc, s10, v3
	s_mov_b64 s[10:11], 0
                                        ; implicit-def: $vgpr3
	s_and_saveexec_b64 s[12:13], vcc
	s_xor_b64 s[12:13], exec, s[12:13]
	s_cbranch_execz .LBB11_1125
; %bb.491:
	v_bfe_u32 v3, v2, 21, 1
	s_mov_b32 s16, 0x88fffff
	v_add3_u32 v3, v2, v3, s16
	s_mov_b64 s[10:11], exec
	v_lshrrev_b32_e32 v3, 21, v3
	s_andn2_saveexec_b64 s[12:13], s[12:13]
	s_cbranch_execnz .LBB11_1126
.LBB11_492:
	s_or_b64 exec, exec, s[12:13]
	v_mov_b32_e32 v6, 0
	s_and_saveexec_b64 s[12:13], s[10:11]
.LBB11_493:
	v_lshrrev_b32_e32 v2, 24, v2
	s_movk_i32 s10, 0x80
	v_and_or_b32 v6, v2, s10, v3
.LBB11_494:
	s_or_b64 exec, exec, s[12:13]
.LBB11_495:
	s_or_b64 exec, exec, s[8:9]
	s_mov_b64 s[8:9], 0
	global_store_byte v[4:5], v6, off
.LBB11_496:
	s_and_b64 vcc, exec, s[8:9]
	s_cbranch_vccz .LBB11_506
; %bb.497:
	v_cvt_f32_f64_e32 v2, v[0:1]
	s_mov_b32 s8, 0x43f00000
                                        ; implicit-def: $vgpr3
	v_and_b32_e32 v6, 0x7fffffff, v2
	v_cmp_gt_u32_e32 vcc, s8, v6
	s_and_saveexec_b64 s[8:9], vcc
	s_xor_b64 s[8:9], exec, s[8:9]
	s_cbranch_execz .LBB11_503
; %bb.498:
	s_mov_b32 s10, 0x3c7fffff
	v_cmp_lt_u32_e32 vcc, s10, v6
                                        ; implicit-def: $vgpr3
	s_and_saveexec_b64 s[10:11], vcc
	s_xor_b64 s[10:11], exec, s[10:11]
; %bb.499:
	v_bfe_u32 v3, v2, 20, 1
	s_mov_b32 s12, 0x407ffff
	v_add3_u32 v3, v2, v3, s12
	v_lshrrev_b32_e32 v6, 20, v3
	v_and_b32_e32 v3, 0xff00000, v3
	s_mov_b32 s12, 0x7f00000
	v_mov_b32_e32 v7, 0x7e
	v_cmp_ne_u32_e32 vcc, s12, v3
	v_cndmask_b32_e32 v3, v7, v6, vcc
; %bb.500:
	s_andn2_saveexec_b64 s[10:11], s[10:11]
; %bb.501:
	s_mov_b32 s12, 0x46800000
	v_add_f32_e64 v3, |v2|, s12
; %bb.502:
	s_or_b64 exec, exec, s[10:11]
                                        ; implicit-def: $vgpr6
.LBB11_503:
	s_andn2_saveexec_b64 s[8:9], s[8:9]
; %bb.504:
	s_mov_b32 s10, 0x7f800000
	v_mov_b32_e32 v3, 0x7e
	v_mov_b32_e32 v7, 0x7f
	v_cmp_lt_u32_e32 vcc, s10, v6
	v_cndmask_b32_e32 v3, v3, v7, vcc
; %bb.505:
	s_or_b64 exec, exec, s[8:9]
	v_lshrrev_b32_e32 v2, 24, v2
	s_movk_i32 s8, 0x80
	v_and_or_b32 v2, v2, s8, v3
	global_store_byte v[4:5], v2, off
.LBB11_506:
	s_mov_b64 s[8:9], 0
.LBB11_507:
	s_andn2_b64 vcc, exec, s[8:9]
	s_cbranch_vccnz .LBB11_517
; %bb.508:
	v_cvt_f32_f64_e32 v2, v[0:1]
	s_mov_b32 s8, 0x47800000
                                        ; implicit-def: $vgpr3
	v_and_b32_e32 v6, 0x7fffffff, v2
	v_cmp_gt_u32_e32 vcc, s8, v6
	s_and_saveexec_b64 s[8:9], vcc
	s_xor_b64 s[8:9], exec, s[8:9]
	s_cbranch_execz .LBB11_514
; %bb.509:
	s_mov_b32 s10, 0x387fffff
	v_cmp_lt_u32_e32 vcc, s10, v6
                                        ; implicit-def: $vgpr3
	s_and_saveexec_b64 s[10:11], vcc
	s_xor_b64 s[10:11], exec, s[10:11]
; %bb.510:
	v_bfe_u32 v3, v2, 21, 1
	s_mov_b32 s12, 0x80fffff
	v_add3_u32 v3, v2, v3, s12
	v_lshrrev_b32_e32 v3, 21, v3
; %bb.511:
	s_andn2_saveexec_b64 s[10:11], s[10:11]
; %bb.512:
	s_mov_b32 s12, 0x43000000
	v_add_f32_e64 v3, |v2|, s12
; %bb.513:
	s_or_b64 exec, exec, s[10:11]
                                        ; implicit-def: $vgpr6
.LBB11_514:
	s_andn2_saveexec_b64 s[8:9], s[8:9]
; %bb.515:
	s_mov_b32 s10, 0x7f800000
	v_mov_b32_e32 v3, 0x7c
	v_mov_b32_e32 v7, 0x7f
	v_cmp_lt_u32_e32 vcc, s10, v6
	v_cndmask_b32_e32 v3, v3, v7, vcc
; %bb.516:
	s_or_b64 exec, exec, s[8:9]
	v_lshrrev_b32_e32 v2, 24, v2
	s_movk_i32 s8, 0x80
	v_and_or_b32 v2, v2, s8, v3
	global_store_byte v[4:5], v2, off
.LBB11_517:
	s_mov_b64 s[8:9], 0
.LBB11_518:
	s_andn2_b64 vcc, exec, s[8:9]
	s_mov_b64 s[8:9], 0
	s_cbranch_vccnz .LBB11_526
; %bb.519:
	s_cmp_gt_i32 s15, 14
	s_mov_b64 s[10:11], -1
	s_cbranch_scc0 .LBB11_523
; %bb.520:
	s_cmp_eq_u32 s15, 15
	s_mov_b64 s[4:5], -1
	s_cbranch_scc0 .LBB11_522
; %bb.521:
	v_cvt_f32_f64_e32 v2, v[0:1]
	s_movk_i32 s4, 0x7fff
	v_mov_b32_e32 v3, 0x7fc0
	v_bfe_u32 v6, v2, 16, 1
	v_cmp_o_f32_e32 vcc, v2, v2
	v_add3_u32 v2, v2, v6, s4
	v_cndmask_b32_sdwa v2, v3, v2, vcc dst_sel:DWORD dst_unused:UNUSED_PAD src0_sel:DWORD src1_sel:WORD_1
	global_store_short v[4:5], v2, off
	s_mov_b64 s[4:5], 0
.LBB11_522:
	s_mov_b64 s[10:11], 0
.LBB11_523:
	s_and_b64 vcc, exec, s[10:11]
	s_cbranch_vccz .LBB11_526
; %bb.524:
	s_cmp_lg_u32 s15, 11
	s_cselect_b64 s[10:11], -1, 0
	s_andn2_b64 s[4:5], s[4:5], exec
	s_and_b64 s[10:11], s[10:11], exec
	s_mov_b64 s[8:9], -1
	s_or_b64 s[4:5], s[4:5], s[10:11]
	s_branch .LBB11_526
.LBB11_525:
	s_mov_b64 s[8:9], 0
.LBB11_526:
	s_and_b64 s[10:11], s[6:7], exec
	s_and_b64 s[6:7], s[8:9], exec
	s_andn2_b64 s[8:9], s[80:81], exec
	s_and_b64 s[4:5], s[4:5], exec
	s_or_b64 s[8:9], s[8:9], s[4:5]
.LBB11_527:
	s_or_b64 exec, exec, s[82:83]
	s_and_b64 s[4:5], s[6:7], exec
	s_andn2_b64 s[6:7], s[80:81], exec
	s_and_b64 s[8:9], s[8:9], exec
	s_and_b64 s[10:11], s[10:11], exec
	s_or_b64 s[80:81], s[6:7], s[8:9]
.LBB11_528:
	s_or_b64 exec, exec, s[78:79]
	s_and_b64 s[6:7], s[10:11], exec
	s_andn2_b64 s[8:9], s[74:75], exec
	s_and_b64 s[10:11], s[80:81], exec
	s_and_b64 s[4:5], s[4:5], exec
	s_or_b64 s[74:75], s[8:9], s[10:11]
.LBB11_529:
	s_or_b64 exec, exec, s[76:77]
	s_and_b64 s[76:77], s[4:5], exec
	s_andn2_b64 s[4:5], s[70:71], exec
	s_and_b64 s[8:9], s[74:75], exec
	s_and_b64 s[6:7], s[6:7], exec
	s_or_b64 s[70:71], s[4:5], s[8:9]
	s_or_b64 exec, exec, s[72:73]
	s_mov_b64 s[4:5], 0
	s_and_saveexec_b64 s[8:9], s[70:71]
	s_cbranch_execz .LBB11_146
.LBB11_530:
	s_mov_b64 s[4:5], exec
	s_andn2_b64 s[76:77], s[76:77], exec
	s_trap 2
	s_or_b64 exec, exec, s[8:9]
	s_and_saveexec_b64 s[8:9], s[76:77]
	s_xor_b64 s[8:9], exec, s[8:9]
	s_cbranch_execnz .LBB11_147
.LBB11_531:
	s_or_b64 exec, exec, s[8:9]
	s_and_saveexec_b64 s[8:9], s[6:7]
	s_xor_b64 s[6:7], exec, s[8:9]
	s_cbranch_execz .LBB11_569
.LBB11_532:
	s_sext_i32_i16 s10, s14
	s_cmp_lt_i32 s10, 5
	s_mov_b64 s[8:9], -1
	s_cbranch_scc1 .LBB11_553
; %bb.533:
	s_cmp_lt_i32 s10, 8
	s_cbranch_scc1 .LBB11_543
; %bb.534:
	s_cmp_lt_i32 s10, 9
	s_cbranch_scc1 .LBB11_540
; %bb.535:
	s_cmp_gt_i32 s10, 9
	s_cbranch_scc0 .LBB11_537
; %bb.536:
	v_mov_b32_e32 v2, 0
	v_mov_b32_e32 v3, v2
	s_mov_b64 s[8:9], 0
	global_store_dwordx4 v[4:5], v[0:3], off
.LBB11_537:
	s_andn2_b64 vcc, exec, s[8:9]
	s_cbranch_vccnz .LBB11_539
; %bb.538:
	v_cvt_f32_f64_e32 v2, v[0:1]
	v_mov_b32_e32 v3, 0
	global_store_dwordx2 v[4:5], v[2:3], off
.LBB11_539:
	s_mov_b64 s[8:9], 0
.LBB11_540:
	s_andn2_b64 vcc, exec, s[8:9]
	s_cbranch_vccnz .LBB11_542
; %bb.541:
	s_movk_i32 s8, 0x1ff
	v_and_or_b32 v2, v1, s8, v0
	v_cmp_ne_u32_e32 vcc, 0, v2
	v_cndmask_b32_e64 v2, 0, 1, vcc
	v_lshrrev_b32_e32 v3, 8, v1
	s_movk_i32 s8, 0xffe
	v_bfe_u32 v6, v1, 20, 11
	v_and_or_b32 v2, v3, s8, v2
	v_sub_u32_e32 v7, 0x3f1, v6
	v_or_b32_e32 v3, 0x1000, v2
	v_med3_i32 v7, v7, 0, 13
	v_lshrrev_b32_e32 v8, v7, v3
	v_lshlrev_b32_e32 v7, v7, v8
	v_cmp_ne_u32_e32 vcc, v7, v3
	v_cndmask_b32_e64 v3, 0, 1, vcc
	v_add_u32_e32 v6, 0xfffffc10, v6
	v_or_b32_e32 v3, v8, v3
	v_lshl_or_b32 v7, v6, 12, v2
	v_cmp_gt_i32_e32 vcc, 1, v6
	v_cndmask_b32_e32 v3, v7, v3, vcc
	v_and_b32_e32 v7, 7, v3
	v_cmp_lt_i32_e32 vcc, 5, v7
	v_cndmask_b32_e64 v8, 0, 1, vcc
	v_cmp_eq_u32_e32 vcc, 3, v7
	v_cndmask_b32_e64 v7, 0, 1, vcc
	v_or_b32_e32 v7, v7, v8
	v_lshrrev_b32_e32 v3, 2, v3
	v_add_u32_e32 v3, v3, v7
	v_mov_b32_e32 v7, 0x7c00
	v_cmp_gt_i32_e32 vcc, 31, v6
	v_cndmask_b32_e32 v3, v7, v3, vcc
	v_mov_b32_e32 v8, 0x7e00
	v_cmp_ne_u32_e32 vcc, 0, v2
	s_movk_i32 s8, 0x40f
	v_cndmask_b32_e32 v2, v7, v8, vcc
	v_cmp_eq_u32_e32 vcc, s8, v6
	v_cndmask_b32_e32 v2, v3, v2, vcc
	v_lshrrev_b32_e32 v3, 16, v1
	s_mov_b32 s8, 0x8000
	v_and_or_b32 v2, v3, s8, v2
	v_and_b32_e32 v2, 0xffff, v2
	global_store_dword v[4:5], v2, off
.LBB11_542:
	s_mov_b64 s[8:9], 0
.LBB11_543:
	s_andn2_b64 vcc, exec, s[8:9]
	s_cbranch_vccnz .LBB11_552
; %bb.544:
	s_sext_i32_i16 s10, s14
	s_cmp_lt_i32 s10, 6
	s_mov_b64 s[8:9], -1
	s_cbranch_scc1 .LBB11_550
; %bb.545:
	s_cmp_gt_i32 s10, 6
	s_cbranch_scc0 .LBB11_547
; %bb.546:
	s_mov_b64 s[8:9], 0
	global_store_dwordx2 v[4:5], v[0:1], off
.LBB11_547:
	s_andn2_b64 vcc, exec, s[8:9]
	s_cbranch_vccnz .LBB11_549
; %bb.548:
	v_cvt_f32_f64_e32 v2, v[0:1]
	global_store_dword v[4:5], v2, off
.LBB11_549:
	s_mov_b64 s[8:9], 0
.LBB11_550:
	s_andn2_b64 vcc, exec, s[8:9]
	s_cbranch_vccnz .LBB11_552
; %bb.551:
	s_movk_i32 s8, 0x1ff
	v_and_or_b32 v2, v1, s8, v0
	v_cmp_ne_u32_e32 vcc, 0, v2
	v_cndmask_b32_e64 v2, 0, 1, vcc
	v_lshrrev_b32_e32 v3, 8, v1
	s_movk_i32 s8, 0xffe
	v_bfe_u32 v6, v1, 20, 11
	v_and_or_b32 v2, v3, s8, v2
	v_sub_u32_e32 v7, 0x3f1, v6
	v_or_b32_e32 v3, 0x1000, v2
	v_med3_i32 v7, v7, 0, 13
	v_lshrrev_b32_e32 v8, v7, v3
	v_lshlrev_b32_e32 v7, v7, v8
	v_cmp_ne_u32_e32 vcc, v7, v3
	v_cndmask_b32_e64 v3, 0, 1, vcc
	v_add_u32_e32 v6, 0xfffffc10, v6
	v_or_b32_e32 v3, v8, v3
	v_lshl_or_b32 v7, v6, 12, v2
	v_cmp_gt_i32_e32 vcc, 1, v6
	v_cndmask_b32_e32 v3, v7, v3, vcc
	v_and_b32_e32 v7, 7, v3
	v_cmp_lt_i32_e32 vcc, 5, v7
	v_cndmask_b32_e64 v8, 0, 1, vcc
	v_cmp_eq_u32_e32 vcc, 3, v7
	v_cndmask_b32_e64 v7, 0, 1, vcc
	v_or_b32_e32 v7, v7, v8
	v_lshrrev_b32_e32 v3, 2, v3
	v_add_u32_e32 v3, v3, v7
	v_mov_b32_e32 v7, 0x7c00
	v_cmp_gt_i32_e32 vcc, 31, v6
	v_cndmask_b32_e32 v3, v7, v3, vcc
	v_mov_b32_e32 v8, 0x7e00
	v_cmp_ne_u32_e32 vcc, 0, v2
	s_movk_i32 s8, 0x40f
	v_cndmask_b32_e32 v2, v7, v8, vcc
	v_cmp_eq_u32_e32 vcc, s8, v6
	v_cndmask_b32_e32 v2, v3, v2, vcc
	v_lshrrev_b32_e32 v3, 16, v1
	s_mov_b32 s8, 0x8000
	v_and_or_b32 v2, v3, s8, v2
	global_store_short v[4:5], v2, off
.LBB11_552:
	s_mov_b64 s[8:9], 0
.LBB11_553:
	s_andn2_b64 vcc, exec, s[8:9]
	s_cbranch_vccnz .LBB11_569
; %bb.554:
	s_sext_i32_i16 s10, s14
	s_cmp_lt_i32 s10, 2
	s_mov_b64 s[8:9], -1
	s_cbranch_scc1 .LBB11_564
; %bb.555:
	s_cmp_lt_i32 s10, 3
	s_cbranch_scc1 .LBB11_561
; %bb.556:
	s_cmp_gt_i32 s10, 3
	s_cbranch_scc0 .LBB11_558
; %bb.557:
	v_trunc_f64_e32 v[2:3], v[0:1]
	s_movk_i32 s8, 0xffe0
	v_ldexp_f64 v[6:7], v[2:3], s8
	s_mov_b32 s8, 0
	s_mov_b32 s9, 0xc1f00000
	v_floor_f64_e32 v[6:7], v[6:7]
	v_fma_f64 v[2:3], v[6:7], s[8:9], v[2:3]
	v_cvt_i32_f64_e32 v7, v[6:7]
	s_mov_b64 s[8:9], 0
	v_cvt_u32_f64_e32 v6, v[2:3]
	global_store_dwordx2 v[4:5], v[6:7], off
.LBB11_558:
	s_andn2_b64 vcc, exec, s[8:9]
	s_cbranch_vccnz .LBB11_560
; %bb.559:
	v_cvt_i32_f64_e32 v2, v[0:1]
	global_store_dword v[4:5], v2, off
.LBB11_560:
	s_mov_b64 s[8:9], 0
.LBB11_561:
	s_andn2_b64 vcc, exec, s[8:9]
	s_cbranch_vccnz .LBB11_563
; %bb.562:
	v_cvt_i32_f64_e32 v2, v[0:1]
	global_store_short v[4:5], v2, off
.LBB11_563:
	s_mov_b64 s[8:9], 0
.LBB11_564:
	s_andn2_b64 vcc, exec, s[8:9]
	s_cbranch_vccnz .LBB11_569
; %bb.565:
	s_sext_i32_i16 s8, s14
	s_cmp_gt_i32 s8, 0
	s_mov_b64 s[8:9], -1
	s_cbranch_scc0 .LBB11_567
; %bb.566:
	v_cvt_i32_f64_e32 v2, v[0:1]
	s_mov_b64 s[8:9], 0
	global_store_byte v[4:5], v2, off
.LBB11_567:
	s_andn2_b64 vcc, exec, s[8:9]
	s_cbranch_vccnz .LBB11_569
; %bb.568:
	v_trunc_f64_e32 v[0:1], v[0:1]
	s_movk_i32 s8, 0xffe0
	v_ldexp_f64 v[2:3], v[0:1], s8
	s_mov_b32 s8, 0
	s_mov_b32 s9, 0xc1f00000
	v_floor_f64_e32 v[2:3], v[2:3]
	v_fma_f64 v[0:1], v[2:3], s[8:9], v[0:1]
	v_cvt_u32_f64_e32 v0, v[0:1]
	global_store_byte v[4:5], v0, off
.LBB11_569:
	s_or_b64 exec, exec, s[6:7]
	s_waitcnt lgkmcnt(0)
	s_and_b64 s[48:49], s[4:5], exec
                                        ; implicit-def: $vgpr6
                                        ; implicit-def: $vgpr41
.LBB11_570:
	s_or_saveexec_b64 s[50:51], s[60:61]
	s_mov_b64 s[4:5], 0
                                        ; implicit-def: $sgpr16
                                        ; implicit-def: $vgpr4_vgpr5
                                        ; implicit-def: $vgpr0_vgpr1
	s_xor_b64 exec, exec, s[50:51]
	s_cbranch_execz .LBB11_1059
; %bb.571:
	v_cndmask_b32_e64 v0, 0, 1, s[58:59]
	v_cmp_ne_u32_e64 s[4:5], 1, v0
	s_andn2_b64 vcc, exec, s[58:59]
	s_cbranch_vccnz .LBB11_577
; %bb.572:
	s_cmp_lg_u32 s33, 0
	s_mov_b32 s30, 0
	s_cbranch_scc0 .LBB11_578
; %bb.573:
	s_min_u32 s31, s84, 15
	s_add_i32 s31, s31, 1
	s_cmp_eq_u32 s84, 2
	s_cbranch_scc1 .LBB11_579
; %bb.574:
	s_and_b32 s30, s31, 28
	s_add_u32 s6, s46, 0xc4
	s_addc_u32 s7, s47, 0
	v_mov_b32_e32 v2, 0
	s_mov_b32 s36, 0
	s_mov_b64 s[28:29], s[46:47]
	v_mov_b32_e32 v11, 0
	v_mov_b32_e32 v0, v41
.LBB11_575:                             ; =>This Inner Loop Header: Depth=1
	s_load_dwordx8 s[16:23], s[28:29], 0x4
	s_load_dwordx4 s[24:27], s[28:29], 0x24
	s_load_dwordx8 s[8:15], s[6:7], 0x0
	s_add_u32 s28, s28, 48
	s_addc_u32 s29, s29, 0
	s_waitcnt lgkmcnt(0)
	v_mul_hi_u32 v1, s17, v0
	s_add_i32 s36, s36, 4
	s_add_u32 s6, s6, 32
	s_addc_u32 s7, s7, 0
	v_add_u32_e32 v1, v0, v1
	v_lshrrev_b32_e32 v1, s18, v1
	v_mul_lo_u32 v3, v1, s16
	v_mul_hi_u32 v4, s20, v1
	s_cmp_lg_u32 s30, s36
	v_sub_u32_e32 v0, v0, v3
	v_add_u32_e32 v3, v1, v4
	v_mul_lo_u32 v4, v0, s8
	v_mul_lo_u32 v5, v0, s9
	v_lshrrev_b32_e32 v0, s21, v3
	v_mul_lo_u32 v3, v0, s19
	v_mul_hi_u32 v7, s23, v0
	v_sub_u32_e32 v1, v1, v3
	v_add_u32_e32 v3, v0, v7
	v_lshrrev_b32_e32 v3, s24, v3
	v_mul_hi_u32 v8, s26, v3
	v_mul_lo_u32 v9, v3, s22
	v_mul_lo_u32 v7, v1, s10
	;; [unrolled: 1-line block ×3, first 2 shown]
	v_sub_u32_e32 v9, v0, v9
	v_add_u32_e32 v0, v3, v8
	v_lshrrev_b32_e32 v0, s27, v0
	v_mul_lo_u32 v8, v0, s25
	v_mul_lo_u32 v10, v9, s12
	v_mul_lo_u32 v9, v9, s13
	v_add3_u32 v4, v4, v11, v7
	v_sub_u32_e32 v3, v3, v8
	v_mul_lo_u32 v8, v3, s14
	v_mul_lo_u32 v3, v3, s15
	v_add3_u32 v1, v5, v2, v1
	v_add3_u32 v11, v10, v4, v8
	;; [unrolled: 1-line block ×3, first 2 shown]
	s_cbranch_scc1 .LBB11_575
; %bb.576:
	s_and_b32 s10, s31, 3
	s_cmp_eq_u32 s10, 0
	s_cbranch_scc0 .LBB11_580
	s_branch .LBB11_582
.LBB11_577:
                                        ; implicit-def: $vgpr11
                                        ; implicit-def: $vgpr2
	s_branch .LBB11_583
.LBB11_578:
	v_mov_b32_e32 v11, 0
	v_mov_b32_e32 v2, 0
	s_branch .LBB11_582
.LBB11_579:
	v_mov_b32_e32 v11, 0
	v_mov_b32_e32 v2, 0
	;; [unrolled: 1-line block ×3, first 2 shown]
	s_and_b32 s10, s31, 3
	s_cmp_eq_u32 s10, 0
	s_cbranch_scc1 .LBB11_582
.LBB11_580:
	s_lshl_b32 s6, s30, 3
	s_add_u32 s6, s46, s6
	s_addc_u32 s7, s47, 0
	s_add_u32 s6, s6, 0xc4
	s_addc_u32 s7, s7, 0
	s_mul_i32 s8, s30, 12
	s_add_u32 s8, s46, s8
	s_addc_u32 s9, s47, 0
.LBB11_581:                             ; =>This Inner Loop Header: Depth=1
	s_load_dwordx2 s[12:13], s[8:9], 0x4
	s_load_dword s11, s[8:9], 0xc
	s_load_dwordx2 s[14:15], s[6:7], 0x0
	s_add_u32 s8, s8, 12
	s_addc_u32 s9, s9, 0
	s_waitcnt lgkmcnt(0)
	v_mul_hi_u32 v1, s13, v0
	s_add_u32 s6, s6, 8
	s_addc_u32 s7, s7, 0
	s_add_i32 s10, s10, -1
	v_add_u32_e32 v1, v0, v1
	v_lshrrev_b32_e32 v1, s11, v1
	v_mul_lo_u32 v3, v1, s12
	s_cmp_lg_u32 s10, 0
	v_sub_u32_e32 v0, v0, v3
	v_mad_u64_u32 v[11:12], s[12:13], v0, s14, v[11:12]
	v_mad_u64_u32 v[2:3], s[12:13], v0, s15, v[2:3]
	v_mov_b32_e32 v0, v1
	s_cbranch_scc1 .LBB11_581
.LBB11_582:
	s_cbranch_execnz .LBB11_585
.LBB11_583:
	s_load_dwordx4 s[8:11], s[46:47], 0x4
	s_load_dwordx2 s[6:7], s[46:47], 0xc4
	s_cmp_lt_u32 s33, 2
	s_waitcnt lgkmcnt(0)
	v_mul_hi_u32 v0, s9, v41
	v_add_u32_e32 v0, v41, v0
	v_lshrrev_b32_e32 v0, s10, v0
	v_mul_lo_u32 v1, v0, s8
	v_sub_u32_e32 v1, v41, v1
	v_mul_lo_u32 v11, v1, s6
	v_mul_lo_u32 v2, v1, s7
	s_cbranch_scc1 .LBB11_585
; %bb.584:
	s_load_dwordx4 s[8:11], s[46:47], 0x10
	s_load_dwordx2 s[6:7], s[46:47], 0xcc
	s_waitcnt lgkmcnt(0)
	v_mul_hi_u32 v1, s9, v0
	v_add_u32_e32 v1, v0, v1
	v_lshrrev_b32_e32 v1, s10, v1
	v_mul_lo_u32 v1, v1, s8
	v_sub_u32_e32 v0, v0, v1
	v_mad_u64_u32 v[11:12], s[8:9], v0, s6, v[11:12]
	v_mad_u64_u32 v[2:3], s[6:7], v0, s7, v[2:3]
.LBB11_585:
	s_and_b64 vcc, exec, s[4:5]
	v_add_u32_e32 v0, 0x80, v41
	buffer_store_dword v11, off, s[0:3], 0 offset:24 ; 4-byte Folded Spill
	s_nop 0
	buffer_store_dword v12, off, s[0:3], 0 offset:28 ; 4-byte Folded Spill
	s_cbranch_vccnz .LBB11_591
; %bb.586:
	s_cmp_lg_u32 s33, 0
	s_mov_b32 s30, 0
	s_cbranch_scc0 .LBB11_592
; %bb.587:
	s_min_u32 s31, s84, 15
	s_add_i32 s31, s31, 1
	s_cmp_eq_u32 s84, 2
	s_cbranch_scc1 .LBB11_593
; %bb.588:
	s_and_b32 s30, s31, 28
	s_add_u32 s6, s46, 0xc4
	s_addc_u32 s7, s47, 0
	v_mov_b32_e32 v15, 0
	s_mov_b32 s36, 0
	s_mov_b64 s[28:29], s[46:47]
	v_mov_b32_e32 v12, 0
	v_mov_b32_e32 v1, v0
.LBB11_589:                             ; =>This Inner Loop Header: Depth=1
	s_load_dwordx8 s[16:23], s[28:29], 0x4
	s_load_dwordx4 s[24:27], s[28:29], 0x24
	s_load_dwordx8 s[8:15], s[6:7], 0x0
	s_add_u32 s28, s28, 48
	s_addc_u32 s29, s29, 0
	s_waitcnt lgkmcnt(0)
	v_mul_hi_u32 v3, s17, v1
	s_add_i32 s36, s36, 4
	s_add_u32 s6, s6, 32
	s_addc_u32 s7, s7, 0
	v_add_u32_e32 v3, v1, v3
	v_lshrrev_b32_e32 v3, s18, v3
	v_mul_lo_u32 v4, v3, s16
	v_mul_hi_u32 v5, s20, v3
	s_cmp_lg_u32 s30, s36
	v_sub_u32_e32 v1, v1, v4
	v_add_u32_e32 v4, v3, v5
	v_mul_lo_u32 v5, v1, s8
	v_mul_lo_u32 v7, v1, s9
	v_lshrrev_b32_e32 v1, s21, v4
	v_mul_lo_u32 v4, v1, s19
	v_mul_hi_u32 v8, s23, v1
	v_sub_u32_e32 v3, v3, v4
	v_add_u32_e32 v4, v1, v8
	v_lshrrev_b32_e32 v4, s24, v4
	v_mul_hi_u32 v9, s26, v4
	v_mul_lo_u32 v10, v4, s22
	v_mul_lo_u32 v8, v3, s10
	;; [unrolled: 1-line block ×3, first 2 shown]
	v_sub_u32_e32 v10, v1, v10
	v_add_u32_e32 v1, v4, v9
	v_lshrrev_b32_e32 v1, s27, v1
	v_mul_lo_u32 v9, v1, s25
	v_mul_lo_u32 v11, v10, s12
	;; [unrolled: 1-line block ×3, first 2 shown]
	v_add3_u32 v5, v5, v12, v8
	v_sub_u32_e32 v4, v4, v9
	v_mul_lo_u32 v9, v4, s14
	v_mul_lo_u32 v4, v4, s15
	v_add3_u32 v3, v7, v15, v3
	v_add3_u32 v12, v11, v5, v9
	;; [unrolled: 1-line block ×3, first 2 shown]
	s_cbranch_scc1 .LBB11_589
; %bb.590:
	s_and_b32 s10, s31, 3
	s_cmp_eq_u32 s10, 0
	s_cbranch_scc0 .LBB11_594
	s_branch .LBB11_596
.LBB11_591:
                                        ; implicit-def: $vgpr12
                                        ; implicit-def: $vgpr15
	s_branch .LBB11_597
.LBB11_592:
	v_mov_b32_e32 v12, 0
	v_mov_b32_e32 v15, 0
	s_branch .LBB11_596
.LBB11_593:
	v_mov_b32_e32 v12, 0
	v_mov_b32_e32 v15, 0
	;; [unrolled: 1-line block ×3, first 2 shown]
	s_and_b32 s10, s31, 3
	s_cmp_eq_u32 s10, 0
	s_cbranch_scc1 .LBB11_596
.LBB11_594:
	s_lshl_b32 s6, s30, 3
	s_add_u32 s6, s46, s6
	s_addc_u32 s7, s47, 0
	s_add_u32 s6, s6, 0xc4
	s_addc_u32 s7, s7, 0
	s_mul_i32 s8, s30, 12
	s_add_u32 s8, s46, s8
	s_addc_u32 s9, s47, 0
.LBB11_595:                             ; =>This Inner Loop Header: Depth=1
	s_load_dwordx2 s[12:13], s[8:9], 0x4
	s_load_dword s11, s[8:9], 0xc
	s_load_dwordx2 s[14:15], s[6:7], 0x0
	s_add_u32 s8, s8, 12
	s_addc_u32 s9, s9, 0
	s_waitcnt lgkmcnt(0)
	v_mul_hi_u32 v3, s13, v1
	s_add_u32 s6, s6, 8
	s_addc_u32 s7, s7, 0
	s_add_i32 s10, s10, -1
	v_add_u32_e32 v3, v1, v3
	v_lshrrev_b32_e32 v3, s11, v3
	v_mul_lo_u32 v4, v3, s12
	s_cmp_lg_u32 s10, 0
	v_sub_u32_e32 v1, v1, v4
	v_mad_u64_u32 v[12:13], s[12:13], v1, s14, v[12:13]
	v_mad_u64_u32 v[15:16], s[12:13], v1, s15, v[15:16]
	v_mov_b32_e32 v1, v3
	s_cbranch_scc1 .LBB11_595
.LBB11_596:
	s_cbranch_execnz .LBB11_599
.LBB11_597:
	s_load_dwordx4 s[8:11], s[46:47], 0x4
	s_load_dwordx2 s[6:7], s[46:47], 0xc4
	s_cmp_lt_u32 s33, 2
	s_waitcnt lgkmcnt(0)
	v_mul_hi_u32 v1, s9, v0
	v_add_u32_e32 v1, v0, v1
	v_lshrrev_b32_e32 v1, s10, v1
	v_mul_lo_u32 v3, v1, s8
	v_sub_u32_e32 v0, v0, v3
	v_mul_lo_u32 v12, v0, s6
	v_mul_lo_u32 v15, v0, s7
	s_cbranch_scc1 .LBB11_599
; %bb.598:
	s_load_dwordx4 s[8:11], s[46:47], 0x10
	s_load_dwordx2 s[6:7], s[46:47], 0xcc
	s_waitcnt lgkmcnt(0)
	v_mul_hi_u32 v0, s9, v1
	v_add_u32_e32 v0, v1, v0
	v_lshrrev_b32_e32 v0, s10, v0
	v_mul_lo_u32 v0, v0, s8
	v_sub_u32_e32 v0, v1, v0
	v_mad_u64_u32 v[12:13], s[8:9], v0, s6, v[12:13]
	v_mad_u64_u32 v[15:16], s[6:7], v0, s7, v[15:16]
.LBB11_599:
	s_and_b64 vcc, exec, s[4:5]
	v_add_u32_e32 v0, 0x100, v41
	buffer_store_dword v12, off, s[0:3], 0 offset:16 ; 4-byte Folded Spill
	s_nop 0
	buffer_store_dword v13, off, s[0:3], 0 offset:20 ; 4-byte Folded Spill
	s_cbranch_vccnz .LBB11_605
; %bb.600:
	s_cmp_lg_u32 s33, 0
	s_mov_b32 s30, 0
	s_cbranch_scc0 .LBB11_606
; %bb.601:
	s_min_u32 s31, s84, 15
	s_add_i32 s31, s31, 1
	s_cmp_eq_u32 s84, 2
	s_cbranch_scc1 .LBB11_607
; %bb.602:
	s_and_b32 s30, s31, 28
	s_add_u32 s6, s46, 0xc4
	s_addc_u32 s7, s47, 0
	v_mov_b32_e32 v16, 0
	s_mov_b32 s36, 0
	s_mov_b64 s[28:29], s[46:47]
	v_mov_b32_e32 v13, 0
	v_mov_b32_e32 v1, v0
.LBB11_603:                             ; =>This Inner Loop Header: Depth=1
	s_load_dwordx8 s[16:23], s[28:29], 0x4
	s_load_dwordx4 s[24:27], s[28:29], 0x24
	s_load_dwordx8 s[8:15], s[6:7], 0x0
	s_add_u32 s28, s28, 48
	s_addc_u32 s29, s29, 0
	s_waitcnt lgkmcnt(0)
	v_mul_hi_u32 v3, s17, v1
	s_add_i32 s36, s36, 4
	s_add_u32 s6, s6, 32
	s_addc_u32 s7, s7, 0
	v_add_u32_e32 v3, v1, v3
	v_lshrrev_b32_e32 v3, s18, v3
	v_mul_lo_u32 v4, v3, s16
	v_mul_hi_u32 v5, s20, v3
	s_cmp_lg_u32 s30, s36
	v_sub_u32_e32 v1, v1, v4
	v_add_u32_e32 v4, v3, v5
	v_mul_lo_u32 v5, v1, s8
	v_mul_lo_u32 v7, v1, s9
	v_lshrrev_b32_e32 v1, s21, v4
	v_mul_lo_u32 v4, v1, s19
	v_mul_hi_u32 v8, s23, v1
	v_sub_u32_e32 v3, v3, v4
	v_add_u32_e32 v4, v1, v8
	v_lshrrev_b32_e32 v4, s24, v4
	v_mul_hi_u32 v9, s26, v4
	v_mul_lo_u32 v10, v4, s22
	v_mul_lo_u32 v8, v3, s10
	;; [unrolled: 1-line block ×3, first 2 shown]
	v_sub_u32_e32 v10, v1, v10
	v_add_u32_e32 v1, v4, v9
	v_lshrrev_b32_e32 v1, s27, v1
	v_mul_lo_u32 v9, v1, s25
	v_mul_lo_u32 v11, v10, s12
	;; [unrolled: 1-line block ×3, first 2 shown]
	v_add3_u32 v5, v5, v13, v8
	v_sub_u32_e32 v4, v4, v9
	v_mul_lo_u32 v9, v4, s14
	v_mul_lo_u32 v4, v4, s15
	v_add3_u32 v3, v7, v16, v3
	v_add3_u32 v13, v11, v5, v9
	;; [unrolled: 1-line block ×3, first 2 shown]
	s_cbranch_scc1 .LBB11_603
; %bb.604:
	s_and_b32 s10, s31, 3
	s_cmp_eq_u32 s10, 0
	s_cbranch_scc0 .LBB11_608
	s_branch .LBB11_610
.LBB11_605:
                                        ; implicit-def: $vgpr13
                                        ; implicit-def: $vgpr16
	s_branch .LBB11_611
.LBB11_606:
	v_mov_b32_e32 v13, 0
	v_mov_b32_e32 v16, 0
	s_branch .LBB11_610
.LBB11_607:
	v_mov_b32_e32 v13, 0
	v_mov_b32_e32 v16, 0
	;; [unrolled: 1-line block ×3, first 2 shown]
	s_and_b32 s10, s31, 3
	s_cmp_eq_u32 s10, 0
	s_cbranch_scc1 .LBB11_610
.LBB11_608:
	s_lshl_b32 s6, s30, 3
	s_add_u32 s6, s46, s6
	s_addc_u32 s7, s47, 0
	s_add_u32 s6, s6, 0xc4
	s_addc_u32 s7, s7, 0
	s_mul_i32 s8, s30, 12
	s_add_u32 s8, s46, s8
	s_addc_u32 s9, s47, 0
.LBB11_609:                             ; =>This Inner Loop Header: Depth=1
	s_load_dwordx2 s[12:13], s[8:9], 0x4
	s_load_dword s11, s[8:9], 0xc
	s_load_dwordx2 s[14:15], s[6:7], 0x0
	s_add_u32 s8, s8, 12
	s_addc_u32 s9, s9, 0
	s_waitcnt lgkmcnt(0)
	v_mul_hi_u32 v3, s13, v1
	s_add_u32 s6, s6, 8
	s_addc_u32 s7, s7, 0
	s_add_i32 s10, s10, -1
	v_add_u32_e32 v3, v1, v3
	v_lshrrev_b32_e32 v3, s11, v3
	v_mul_lo_u32 v4, v3, s12
	s_cmp_lg_u32 s10, 0
	v_sub_u32_e32 v1, v1, v4
	v_mad_u64_u32 v[13:14], s[12:13], v1, s14, v[13:14]
	v_mad_u64_u32 v[16:17], s[12:13], v1, s15, v[16:17]
	v_mov_b32_e32 v1, v3
	s_cbranch_scc1 .LBB11_609
.LBB11_610:
	s_cbranch_execnz .LBB11_613
.LBB11_611:
	s_load_dwordx4 s[8:11], s[46:47], 0x4
	s_load_dwordx2 s[6:7], s[46:47], 0xc4
	s_cmp_lt_u32 s33, 2
	s_waitcnt lgkmcnt(0)
	v_mul_hi_u32 v1, s9, v0
	v_add_u32_e32 v1, v0, v1
	v_lshrrev_b32_e32 v1, s10, v1
	v_mul_lo_u32 v3, v1, s8
	v_sub_u32_e32 v0, v0, v3
	v_mul_lo_u32 v13, v0, s6
	v_mul_lo_u32 v16, v0, s7
	s_cbranch_scc1 .LBB11_613
; %bb.612:
	s_load_dwordx4 s[8:11], s[46:47], 0x10
	s_load_dwordx2 s[6:7], s[46:47], 0xcc
	s_waitcnt lgkmcnt(0)
	v_mul_hi_u32 v0, s9, v1
	v_add_u32_e32 v0, v1, v0
	v_lshrrev_b32_e32 v0, s10, v0
	v_mul_lo_u32 v0, v0, s8
	v_sub_u32_e32 v0, v1, v0
	v_mad_u64_u32 v[13:14], s[8:9], v0, s6, v[13:14]
	v_mad_u64_u32 v[16:17], s[6:7], v0, s7, v[16:17]
.LBB11_613:
	s_and_b64 vcc, exec, s[4:5]
	buffer_store_dword v15, off, s[0:3], 0 offset:48 ; 4-byte Folded Spill
	s_nop 0
	buffer_store_dword v16, off, s[0:3], 0 offset:52 ; 4-byte Folded Spill
	buffer_store_dword v16, off, s[0:3], 0 offset:64 ; 4-byte Folded Spill
	s_nop 0
	buffer_store_dword v17, off, s[0:3], 0 offset:68 ; 4-byte Folded Spill
	s_cbranch_vccnz .LBB11_619
; %bb.614:
	s_cmp_lg_u32 s33, 0
	s_mov_b32 s28, 0
	s_cbranch_scc0 .LBB11_620
; %bb.615:
	s_min_u32 s29, s84, 15
	s_add_i32 s29, s29, 1
	s_cmp_eq_u32 s84, 2
	s_cbranch_scc1 .LBB11_621
; %bb.616:
	s_and_b32 s28, s29, 28
	s_add_u32 s24, s46, 0xc4
	s_addc_u32 s25, s47, 0
	v_mov_b32_e32 v62, 0
	s_mov_b32 s30, 0
	s_mov_b64 s[26:27], s[46:47]
	v_mov_b32_e32 v11, 0
	v_mov_b32_e32 v0, v6
.LBB11_617:                             ; =>This Inner Loop Header: Depth=1
	s_load_dwordx8 s[12:19], s[26:27], 0x4
	s_load_dwordx4 s[20:23], s[26:27], 0x24
	s_load_dwordx8 s[4:11], s[24:25], 0x0
	s_add_u32 s26, s26, 48
	s_addc_u32 s27, s27, 0
	s_waitcnt lgkmcnt(0)
	v_mul_hi_u32 v1, s13, v0
	s_add_i32 s30, s30, 4
	s_add_u32 s24, s24, 32
	s_addc_u32 s25, s25, 0
	v_add_u32_e32 v1, v0, v1
	v_lshrrev_b32_e32 v1, s14, v1
	v_mul_lo_u32 v3, v1, s12
	v_mul_hi_u32 v4, s16, v1
	s_cmp_lg_u32 s28, s30
	v_sub_u32_e32 v0, v0, v3
	v_add_u32_e32 v3, v1, v4
	v_mul_lo_u32 v4, v0, s4
	v_mul_lo_u32 v5, v0, s5
	v_lshrrev_b32_e32 v0, s17, v3
	v_mul_lo_u32 v3, v0, s15
	v_mul_hi_u32 v7, s19, v0
	v_sub_u32_e32 v1, v1, v3
	v_add_u32_e32 v3, v0, v7
	v_lshrrev_b32_e32 v3, s20, v3
	v_mul_hi_u32 v8, s22, v3
	v_mul_lo_u32 v9, v3, s18
	v_mul_lo_u32 v7, v1, s6
	;; [unrolled: 1-line block ×3, first 2 shown]
	v_sub_u32_e32 v9, v0, v9
	v_add_u32_e32 v0, v3, v8
	v_lshrrev_b32_e32 v0, s23, v0
	v_mul_lo_u32 v8, v0, s21
	v_mul_lo_u32 v10, v9, s8
	;; [unrolled: 1-line block ×3, first 2 shown]
	v_add3_u32 v4, v4, v11, v7
	v_sub_u32_e32 v3, v3, v8
	v_mul_lo_u32 v8, v3, s10
	v_mul_lo_u32 v3, v3, s11
	v_add3_u32 v1, v5, v62, v1
	v_add3_u32 v11, v10, v4, v8
	;; [unrolled: 1-line block ×3, first 2 shown]
	s_cbranch_scc1 .LBB11_617
; %bb.618:
	s_and_b32 s8, s29, 3
	s_cmp_eq_u32 s8, 0
	s_cbranch_scc0 .LBB11_622
	s_branch .LBB11_624
.LBB11_619:
                                        ; implicit-def: $vgpr11
                                        ; implicit-def: $vgpr62
	s_branch .LBB11_625
.LBB11_620:
	v_mov_b32_e32 v11, 0
	v_mov_b32_e32 v62, 0
	s_branch .LBB11_624
.LBB11_621:
	v_mov_b32_e32 v11, 0
	v_mov_b32_e32 v62, 0
	;; [unrolled: 1-line block ×3, first 2 shown]
	s_and_b32 s8, s29, 3
	s_cmp_eq_u32 s8, 0
	s_cbranch_scc1 .LBB11_624
.LBB11_622:
	s_lshl_b32 s4, s28, 3
	s_add_u32 s4, s46, s4
	s_addc_u32 s5, s47, 0
	s_add_u32 s4, s4, 0xc4
	s_addc_u32 s5, s5, 0
	s_mul_i32 s6, s28, 12
	s_add_u32 s6, s46, s6
	s_addc_u32 s7, s47, 0
.LBB11_623:                             ; =>This Inner Loop Header: Depth=1
	s_load_dwordx2 s[10:11], s[6:7], 0x4
	s_load_dword s9, s[6:7], 0xc
	s_load_dwordx2 s[12:13], s[4:5], 0x0
	s_add_u32 s6, s6, 12
	s_addc_u32 s7, s7, 0
	s_waitcnt lgkmcnt(0)
	v_mul_hi_u32 v1, s11, v0
	s_add_u32 s4, s4, 8
	s_addc_u32 s5, s5, 0
	s_add_i32 s8, s8, -1
	v_add_u32_e32 v1, v0, v1
	v_lshrrev_b32_e32 v1, s9, v1
	v_mul_lo_u32 v3, v1, s10
	s_cmp_lg_u32 s8, 0
	v_sub_u32_e32 v0, v0, v3
	v_mad_u64_u32 v[11:12], s[10:11], v0, s12, v[11:12]
	v_mad_u64_u32 v[62:63], s[10:11], v0, s13, v[62:63]
	v_mov_b32_e32 v0, v1
	s_cbranch_scc1 .LBB11_623
.LBB11_624:
	s_cbranch_execnz .LBB11_627
.LBB11_625:
	s_load_dwordx4 s[4:7], s[46:47], 0x4
	s_load_dwordx2 s[8:9], s[46:47], 0xc4
	s_cmp_lt_u32 s33, 2
	s_waitcnt lgkmcnt(0)
	v_mul_hi_u32 v0, s5, v6
	v_add_u32_e32 v0, v6, v0
	v_lshrrev_b32_e32 v0, s6, v0
	v_mul_lo_u32 v1, v0, s4
	v_sub_u32_e32 v1, v6, v1
	v_mul_lo_u32 v11, v1, s8
	v_mul_lo_u32 v62, v1, s9
	s_cbranch_scc1 .LBB11_627
; %bb.626:
	s_load_dwordx4 s[4:7], s[46:47], 0x10
	s_load_dwordx2 s[8:9], s[46:47], 0xcc
	s_waitcnt lgkmcnt(0)
	v_mul_hi_u32 v1, s5, v0
	v_add_u32_e32 v1, v0, v1
	v_lshrrev_b32_e32 v1, s6, v1
	v_mul_lo_u32 v1, v1, s4
	v_sub_u32_e32 v0, v0, v1
	v_mad_u64_u32 v[11:12], s[4:5], v0, s8, v[11:12]
	v_mad_u64_u32 v[62:63], s[4:5], v0, s9, v[62:63]
.LBB11_627:
	buffer_store_dword v13, off, s[0:3], 0 offset:8 ; 4-byte Folded Spill
	s_nop 0
	buffer_store_dword v14, off, s[0:3], 0 offset:12 ; 4-byte Folded Spill
	buffer_store_dword v11, off, s[0:3], 0  ; 4-byte Folded Spill
	s_nop 0
	buffer_store_dword v12, off, s[0:3], 0 offset:4 ; 4-byte Folded Spill
	s_load_dword s33, s[34:35], 0x160
	s_load_dwordx4 s[36:39], s[46:47], 0x148
	s_getpc_b64 s[34:35]
	s_add_u32 s34, s34, _ZN2at6native6invokeIZZZNS0_12_GLOBAL__N_121bessel_j0_kernel_cudaERNS_18TensorIteratorBaseEENKUlvE_clEvENKUlvE_clEvEUldE_j15function_traitsIS7_EEENT1_11result_typeERKT_PrKPcPKT0_PKN3c1010ScalarTypeEi@rel32@lo+4
	s_addc_u32 s35, s35, _ZN2at6native6invokeIZZZNS0_12_GLOBAL__N_121bessel_j0_kernel_cudaERNS_18TensorIteratorBaseEENKUlvE_clEvENKUlvE_clEvEUldE_j15function_traitsIS7_EEENT1_11result_typeERKT_PrKPcPKT0_PKN3c1010ScalarTypeEi@rel32@hi+12
	s_waitcnt lgkmcnt(0)
	s_lshr_b32 s46, s33, 16
	v_mov_b32_e32 v0, s38
	v_mov_b32_e32 v1, s39
	;; [unrolled: 1-line block ×3, first 2 shown]
	s_swappc_b64 s[30:31], s[34:35]
	buffer_store_dword v0, off, s[0:3], 0 offset:32 ; 4-byte Folded Spill
	s_nop 0
	buffer_store_dword v1, off, s[0:3], 0 offset:36 ; 4-byte Folded Spill
	buffer_store_dword v2, off, s[0:3], 0 offset:40 ; 4-byte Folded Spill
	;; [unrolled: 1-line block ×3, first 2 shown]
	buffer_load_dword v2, off, s[0:3], 0 offset:48 ; 4-byte Folded Reload
	s_nop 0
	buffer_load_dword v3, off, s[0:3], 0 offset:52 ; 4-byte Folded Reload
	v_mov_b32_e32 v0, s38
	v_mov_b32_e32 v1, s39
	s_waitcnt vmcnt(0)
	v_mov_b32_e32 v3, s46
	s_swappc_b64 s[30:31], s[34:35]
	buffer_store_dword v0, off, s[0:3], 0 offset:48 ; 4-byte Folded Spill
	s_nop 0
	buffer_store_dword v1, off, s[0:3], 0 offset:52 ; 4-byte Folded Spill
	buffer_store_dword v2, off, s[0:3], 0 offset:56 ; 4-byte Folded Spill
	;; [unrolled: 1-line block ×3, first 2 shown]
	buffer_load_dword v2, off, s[0:3], 0 offset:64 ; 4-byte Folded Reload
	s_nop 0
	buffer_load_dword v3, off, s[0:3], 0 offset:68 ; 4-byte Folded Reload
	v_mov_b32_e32 v0, s38
	v_mov_b32_e32 v1, s39
	s_waitcnt vmcnt(0)
	v_mov_b32_e32 v3, s46
	s_swappc_b64 s[30:31], s[34:35]
	buffer_store_dword v0, off, s[0:3], 0 offset:64 ; 4-byte Folded Spill
	s_nop 0
	buffer_store_dword v1, off, s[0:3], 0 offset:68 ; 4-byte Folded Spill
	buffer_store_dword v2, off, s[0:3], 0 offset:72 ; 4-byte Folded Spill
	;; [unrolled: 1-line block ×3, first 2 shown]
	v_mov_b32_e32 v0, s38
	v_mov_b32_e32 v1, s39
	;; [unrolled: 1-line block ×4, first 2 shown]
	s_swappc_b64 s[30:31], s[34:35]
	buffer_load_dword v4, off, s[0:3], 0 offset:24 ; 4-byte Folded Reload
	buffer_load_dword v5, off, s[0:3], 0 offset:28 ; 4-byte Folded Reload
	;; [unrolled: 1-line block ×4, first 2 shown]
	v_mov_b32_e32 v3, s37
	s_bfe_u32 s14, s33, 0x80008
	s_cmp_lt_i32 s14, 11
	s_waitcnt vmcnt(3)
	v_add_co_u32_e32 v2, vcc, s36, v4
	v_addc_co_u32_e32 v3, vcc, 0, v3, vcc
	s_cbranch_scc1 .LBB11_706
; %bb.628:
	buffer_load_dword v9, off, s[0:3], 0    ; 4-byte Folded Reload
	buffer_load_dword v10, off, s[0:3], 0 offset:4 ; 4-byte Folded Reload
	buffer_load_dword v10, off, s[0:3], 0 offset:8 ; 4-byte Folded Reload
	;; [unrolled: 1-line block ×7, first 2 shown]
	s_and_b32 s15, 0xffff, s14
	s_mov_b64 s[6:7], -1
	s_mov_b64 s[8:9], 0
	s_cmp_gt_i32 s15, 25
	s_mov_b64 s[10:11], 0
	s_mov_b64 s[4:5], 0
	s_cbranch_scc0 .LBB11_661
; %bb.629:
	s_cmp_gt_i32 s15, 28
	s_cbranch_scc0 .LBB11_644
; %bb.630:
	s_cmp_gt_i32 s15, 43
	;; [unrolled: 3-line block ×3, first 2 shown]
	s_cbranch_scc0 .LBB11_634
; %bb.632:
	s_mov_b64 s[4:5], -1
	s_mov_b64 s[6:7], 0
	s_cmp_eq_u32 s15, 46
	s_cbranch_scc0 .LBB11_634
; %bb.633:
	s_waitcnt vmcnt(2)
	v_cvt_f32_f64_e32 v4, v[13:14]
	s_movk_i32 s4, 0x7fff
	v_mov_b32_e32 v5, 0x7fc0
	s_mov_b64 s[10:11], -1
	v_bfe_u32 v6, v4, 16, 1
	v_cmp_o_f32_e32 vcc, v4, v4
	v_add3_u32 v4, v4, v6, s4
	v_cndmask_b32_sdwa v4, v5, v4, vcc dst_sel:DWORD dst_unused:UNUSED_PAD src0_sel:DWORD src1_sel:WORD_1
	global_store_dword v[2:3], v4, off
	s_mov_b64 s[4:5], 0
.LBB11_634:
	s_and_b64 vcc, exec, s[6:7]
	s_cbranch_vccz .LBB11_639
; %bb.635:
	s_cmp_eq_u32 s15, 44
	s_mov_b64 s[4:5], -1
	s_cbranch_scc0 .LBB11_639
; %bb.636:
	s_waitcnt vmcnt(2)
	v_cvt_f32_f64_e32 v4, v[13:14]
	s_movk_i32 s4, 0xff
	v_mov_b32_e32 v6, 0xff
	v_bfe_u32 v5, v4, 23, 8
	v_cmp_ne_u32_e32 vcc, s4, v5
	s_and_saveexec_b64 s[6:7], vcc
; %bb.637:
	s_mov_b32 s4, 0x3fffff
	v_lshrrev_b32_e32 v6, 23, v4
	v_and_b32_e32 v7, 0x400000, v4
	v_and_or_b32 v4, v4, s4, v5
	v_cmp_ne_u32_e32 vcc, 0, v7
	v_cmp_ne_u32_e64 s[4:5], 0, v4
	s_and_b64 s[4:5], vcc, s[4:5]
	v_cndmask_b32_e64 v4, 0, 1, s[4:5]
	v_add_u32_e32 v6, v6, v4
; %bb.638:
	s_or_b64 exec, exec, s[6:7]
	s_mov_b64 s[4:5], 0
	s_mov_b64 s[10:11], -1
	global_store_byte v[2:3], v6, off
.LBB11_639:
	s_mov_b64 s[6:7], 0
.LBB11_640:
	s_and_b64 vcc, exec, s[6:7]
	s_cbranch_vccz .LBB11_643
; %bb.641:
	s_cmp_eq_u32 s15, 29
	s_mov_b64 s[4:5], -1
	s_cbranch_scc0 .LBB11_643
; %bb.642:
	s_waitcnt vmcnt(2)
	v_trunc_f64_e32 v[4:5], v[13:14]
	s_movk_i32 s4, 0xffe0
	s_mov_b64 s[10:11], -1
	v_ldexp_f64 v[6:7], v[4:5], s4
	s_mov_b32 s4, 0
	s_mov_b32 s5, 0xc1f00000
	v_floor_f64_e32 v[6:7], v[6:7]
	v_fma_f64 v[4:5], v[6:7], s[4:5], v[4:5]
	v_cvt_u32_f64_e32 v6, v[6:7]
	s_mov_b64 s[4:5], 0
	v_cvt_u32_f64_e32 v5, v[4:5]
	global_store_dwordx2 v[2:3], v[5:6], off
.LBB11_643:
	s_mov_b64 s[6:7], 0
.LBB11_644:
	s_and_b64 vcc, exec, s[6:7]
	s_cbranch_vccz .LBB11_660
; %bb.645:
	s_cmp_lt_i32 s15, 27
	s_mov_b64 s[6:7], -1
	s_cbranch_scc1 .LBB11_651
; %bb.646:
	s_cmp_gt_i32 s15, 27
	s_cbranch_scc0 .LBB11_648
; %bb.647:
	s_waitcnt vmcnt(2)
	v_cvt_u32_f64_e32 v4, v[13:14]
	s_mov_b64 s[6:7], 0
	global_store_dword v[2:3], v4, off
.LBB11_648:
	s_andn2_b64 vcc, exec, s[6:7]
	s_cbranch_vccnz .LBB11_650
; %bb.649:
	s_waitcnt vmcnt(2)
	v_cvt_u32_f64_e32 v4, v[13:14]
	global_store_short v[2:3], v4, off
.LBB11_650:
	s_mov_b64 s[6:7], 0
.LBB11_651:
	s_andn2_b64 vcc, exec, s[6:7]
	s_cbranch_vccnz .LBB11_659
; %bb.652:
	s_waitcnt vmcnt(2)
	v_cvt_f32_f64_e32 v4, v[13:14]
	s_mov_b32 s6, 0x43800000
	v_mov_b32_e32 v6, 0x80
	v_and_b32_e32 v5, 0x7fffffff, v4
	v_cmp_gt_u32_e32 vcc, s6, v5
	s_and_saveexec_b64 s[6:7], vcc
	s_cbranch_execz .LBB11_658
; %bb.653:
	s_mov_b32 s10, 0x3bffffff
	v_cmp_lt_u32_e32 vcc, s10, v5
	s_mov_b64 s[10:11], 0
                                        ; implicit-def: $vgpr5
	s_and_saveexec_b64 s[12:13], vcc
	s_xor_b64 s[12:13], exec, s[12:13]
	s_cbranch_execz .LBB11_1103
; %bb.654:
	v_bfe_u32 v5, v4, 20, 1
	s_mov_b32 s16, 0x487ffff
	v_add3_u32 v5, v4, v5, s16
	s_mov_b64 s[10:11], exec
	v_lshrrev_b32_e32 v5, 20, v5
	s_andn2_saveexec_b64 s[12:13], s[12:13]
	s_cbranch_execnz .LBB11_1104
.LBB11_655:
	s_or_b64 exec, exec, s[12:13]
	v_mov_b32_e32 v6, 0
	s_and_saveexec_b64 s[12:13], s[10:11]
.LBB11_656:
	v_lshrrev_b32_e32 v4, 24, v4
	s_movk_i32 s10, 0x80
	v_and_or_b32 v6, v4, s10, v5
.LBB11_657:
	s_or_b64 exec, exec, s[12:13]
.LBB11_658:
	s_or_b64 exec, exec, s[6:7]
	global_store_byte v[2:3], v6, off
.LBB11_659:
	s_mov_b64 s[10:11], -1
.LBB11_660:
	s_mov_b64 s[6:7], 0
.LBB11_661:
	s_and_b64 vcc, exec, s[6:7]
	s_cbranch_vccz .LBB11_701
; %bb.662:
	s_cmp_gt_i32 s15, 22
	s_mov_b64 s[6:7], -1
	s_cbranch_scc0 .LBB11_694
; %bb.663:
	s_cmp_lt_i32 s15, 24
	s_cbranch_scc1 .LBB11_683
; %bb.664:
	s_cmp_gt_i32 s15, 24
	s_cbranch_scc0 .LBB11_672
; %bb.665:
	s_waitcnt vmcnt(2)
	v_cvt_f32_f64_e32 v4, v[13:14]
	s_mov_b32 s6, 0x47800000
	v_mov_b32_e32 v6, 0x80
	v_and_b32_e32 v5, 0x7fffffff, v4
	v_cmp_gt_u32_e32 vcc, s6, v5
	s_and_saveexec_b64 s[6:7], vcc
	s_cbranch_execz .LBB11_671
; %bb.666:
	s_mov_b32 s8, 0x37ffffff
	v_cmp_lt_u32_e32 vcc, s8, v5
	s_mov_b64 s[8:9], 0
                                        ; implicit-def: $vgpr5
	s_and_saveexec_b64 s[10:11], vcc
	s_xor_b64 s[10:11], exec, s[10:11]
	s_cbranch_execz .LBB11_1106
; %bb.667:
	v_bfe_u32 v5, v4, 21, 1
	s_mov_b32 s12, 0x88fffff
	v_add3_u32 v5, v4, v5, s12
	s_mov_b64 s[8:9], exec
	v_lshrrev_b32_e32 v5, 21, v5
	s_andn2_saveexec_b64 s[10:11], s[10:11]
	s_cbranch_execnz .LBB11_1107
.LBB11_668:
	s_or_b64 exec, exec, s[10:11]
	v_mov_b32_e32 v6, 0
	s_and_saveexec_b64 s[10:11], s[8:9]
.LBB11_669:
	v_lshrrev_b32_e32 v4, 24, v4
	s_movk_i32 s8, 0x80
	v_and_or_b32 v6, v4, s8, v5
.LBB11_670:
	s_or_b64 exec, exec, s[10:11]
.LBB11_671:
	s_or_b64 exec, exec, s[6:7]
	s_mov_b64 s[6:7], 0
	global_store_byte v[2:3], v6, off
.LBB11_672:
	s_and_b64 vcc, exec, s[6:7]
	s_cbranch_vccz .LBB11_682
; %bb.673:
	s_waitcnt vmcnt(2)
	v_cvt_f32_f64_e32 v4, v[13:14]
	s_mov_b32 s6, 0x43f00000
                                        ; implicit-def: $vgpr5
	v_and_b32_e32 v6, 0x7fffffff, v4
	v_cmp_gt_u32_e32 vcc, s6, v6
	s_and_saveexec_b64 s[6:7], vcc
	s_xor_b64 s[6:7], exec, s[6:7]
	s_cbranch_execz .LBB11_679
; %bb.674:
	s_mov_b32 s8, 0x3c7fffff
	v_cmp_lt_u32_e32 vcc, s8, v6
                                        ; implicit-def: $vgpr5
	s_and_saveexec_b64 s[8:9], vcc
	s_xor_b64 s[8:9], exec, s[8:9]
; %bb.675:
	v_bfe_u32 v5, v4, 20, 1
	s_mov_b32 s10, 0x407ffff
	v_add3_u32 v5, v4, v5, s10
	v_lshrrev_b32_e32 v6, 20, v5
	v_and_b32_e32 v5, 0xff00000, v5
	s_mov_b32 s10, 0x7f00000
	v_mov_b32_e32 v7, 0x7e
	v_cmp_ne_u32_e32 vcc, s10, v5
	v_cndmask_b32_e32 v5, v7, v6, vcc
; %bb.676:
	s_andn2_saveexec_b64 s[8:9], s[8:9]
; %bb.677:
	s_mov_b32 s10, 0x46800000
	v_add_f32_e64 v5, |v4|, s10
; %bb.678:
	s_or_b64 exec, exec, s[8:9]
                                        ; implicit-def: $vgpr6
.LBB11_679:
	s_andn2_saveexec_b64 s[6:7], s[6:7]
; %bb.680:
	s_mov_b32 s8, 0x7f800000
	v_mov_b32_e32 v5, 0x7e
	v_mov_b32_e32 v7, 0x7f
	v_cmp_lt_u32_e32 vcc, s8, v6
	v_cndmask_b32_e32 v5, v5, v7, vcc
; %bb.681:
	s_or_b64 exec, exec, s[6:7]
	v_lshrrev_b32_e32 v4, 24, v4
	s_movk_i32 s6, 0x80
	v_and_or_b32 v4, v4, s6, v5
	global_store_byte v[2:3], v4, off
.LBB11_682:
	s_mov_b64 s[6:7], 0
.LBB11_683:
	s_andn2_b64 vcc, exec, s[6:7]
	s_cbranch_vccnz .LBB11_693
; %bb.684:
	s_waitcnt vmcnt(2)
	v_cvt_f32_f64_e32 v4, v[13:14]
	s_mov_b32 s6, 0x47800000
                                        ; implicit-def: $vgpr5
	v_and_b32_e32 v6, 0x7fffffff, v4
	v_cmp_gt_u32_e32 vcc, s6, v6
	s_and_saveexec_b64 s[6:7], vcc
	s_xor_b64 s[6:7], exec, s[6:7]
	s_cbranch_execz .LBB11_690
; %bb.685:
	s_mov_b32 s8, 0x387fffff
	v_cmp_lt_u32_e32 vcc, s8, v6
                                        ; implicit-def: $vgpr5
	s_and_saveexec_b64 s[8:9], vcc
	s_xor_b64 s[8:9], exec, s[8:9]
; %bb.686:
	v_bfe_u32 v5, v4, 21, 1
	s_mov_b32 s10, 0x80fffff
	v_add3_u32 v5, v4, v5, s10
	v_lshrrev_b32_e32 v5, 21, v5
; %bb.687:
	s_andn2_saveexec_b64 s[8:9], s[8:9]
; %bb.688:
	s_mov_b32 s10, 0x43000000
	v_add_f32_e64 v5, |v4|, s10
; %bb.689:
	s_or_b64 exec, exec, s[8:9]
                                        ; implicit-def: $vgpr6
.LBB11_690:
	s_andn2_saveexec_b64 s[6:7], s[6:7]
; %bb.691:
	s_mov_b32 s8, 0x7f800000
	v_mov_b32_e32 v5, 0x7c
	v_mov_b32_e32 v7, 0x7f
	v_cmp_lt_u32_e32 vcc, s8, v6
	v_cndmask_b32_e32 v5, v5, v7, vcc
; %bb.692:
	s_or_b64 exec, exec, s[6:7]
	v_lshrrev_b32_e32 v4, 24, v4
	s_movk_i32 s6, 0x80
	v_and_or_b32 v4, v4, s6, v5
	global_store_byte v[2:3], v4, off
.LBB11_693:
	s_mov_b64 s[6:7], 0
	s_mov_b64 s[10:11], -1
.LBB11_694:
	s_andn2_b64 vcc, exec, s[6:7]
	s_mov_b64 s[8:9], 0
	s_cbranch_vccnz .LBB11_701
; %bb.695:
	s_cmp_gt_i32 s15, 14
	s_mov_b64 s[6:7], -1
	s_cbranch_scc0 .LBB11_699
; %bb.696:
	s_cmp_eq_u32 s15, 15
	s_mov_b64 s[4:5], -1
	s_cbranch_scc0 .LBB11_698
; %bb.697:
	s_waitcnt vmcnt(2)
	v_cvt_f32_f64_e32 v4, v[13:14]
	s_movk_i32 s4, 0x7fff
	v_mov_b32_e32 v5, 0x7fc0
	s_mov_b64 s[10:11], -1
	v_bfe_u32 v6, v4, 16, 1
	v_cmp_o_f32_e32 vcc, v4, v4
	v_add3_u32 v4, v4, v6, s4
	v_cndmask_b32_sdwa v4, v5, v4, vcc dst_sel:DWORD dst_unused:UNUSED_PAD src0_sel:DWORD src1_sel:WORD_1
	global_store_short v[2:3], v4, off
	s_mov_b64 s[4:5], 0
.LBB11_698:
	s_mov_b64 s[6:7], 0
.LBB11_699:
	s_and_b64 vcc, exec, s[6:7]
	s_cbranch_vccz .LBB11_701
; %bb.700:
	s_cmp_lg_u32 s15, 11
	s_mov_b64 s[8:9], -1
	s_cselect_b64 s[4:5], -1, 0
.LBB11_701:
	s_and_b64 vcc, exec, s[4:5]
	s_mov_b64 s[6:7], s[48:49]
	s_cbranch_vccnz .LBB11_1105
; %bb.702:
	s_andn2_b64 vcc, exec, s[8:9]
	s_cbranch_vccnz .LBB11_704
.LBB11_703:
	s_waitcnt vmcnt(2)
	v_cmp_neq_f64_e32 vcc, 0, v[13:14]
	s_mov_b64 s[10:11], -1
	v_cndmask_b32_e64 v4, 0, 1, vcc
	global_store_byte v[2:3], v4, off
.LBB11_704:
.LBB11_705:
	s_andn2_b64 vcc, exec, s[10:11]
	s_cbranch_vccz .LBB11_745
	s_branch .LBB11_1057
.LBB11_706:
	buffer_load_dword v9, off, s[0:3], 0    ; 4-byte Folded Reload
	buffer_load_dword v10, off, s[0:3], 0 offset:4 ; 4-byte Folded Reload
	buffer_load_dword v10, off, s[0:3], 0 offset:8 ; 4-byte Folded Reload
	;; [unrolled: 1-line block ×7, first 2 shown]
	s_mov_b64 s[10:11], 0
	s_mov_b64 s[6:7], s[48:49]
	s_cbranch_execz .LBB11_705
; %bb.707:
	s_and_b32 s8, 0xffff, s14
	s_cmp_lt_i32 s8, 5
	s_mov_b64 s[4:5], -1
	s_cbranch_scc1 .LBB11_728
; %bb.708:
	s_cmp_lt_i32 s8, 8
	s_cbranch_scc1 .LBB11_718
; %bb.709:
	s_cmp_lt_i32 s8, 9
	s_cbranch_scc1 .LBB11_715
; %bb.710:
	s_cmp_gt_i32 s8, 9
	s_cbranch_scc0 .LBB11_712
; %bb.711:
	s_waitcnt vmcnt(1)
	v_mov_b32_e32 v15, 0
	s_waitcnt vmcnt(0)
	v_mov_b32_e32 v16, v15
	global_store_dwordx4 v[2:3], v[13:16], off
	s_mov_b64 s[4:5], 0
.LBB11_712:
	s_andn2_b64 vcc, exec, s[4:5]
	s_cbranch_vccnz .LBB11_714
; %bb.713:
	s_waitcnt vmcnt(2)
	v_cvt_f32_f64_e32 v4, v[13:14]
	v_mov_b32_e32 v5, 0
	global_store_dwordx2 v[2:3], v[4:5], off
.LBB11_714:
	s_mov_b64 s[4:5], 0
.LBB11_715:
	s_andn2_b64 vcc, exec, s[4:5]
	s_cbranch_vccnz .LBB11_717
; %bb.716:
	s_movk_i32 s4, 0x1ff
	s_waitcnt vmcnt(2)
	v_and_or_b32 v4, v14, s4, v13
	v_cmp_ne_u32_e32 vcc, 0, v4
	v_cndmask_b32_e64 v4, 0, 1, vcc
	v_lshrrev_b32_e32 v5, 8, v14
	s_movk_i32 s4, 0xffe
	v_bfe_u32 v6, v14, 20, 11
	v_and_or_b32 v4, v5, s4, v4
	v_sub_u32_e32 v7, 0x3f1, v6
	v_or_b32_e32 v5, 0x1000, v4
	v_med3_i32 v7, v7, 0, 13
	v_lshrrev_b32_e32 v8, v7, v5
	v_lshlrev_b32_e32 v7, v7, v8
	v_cmp_ne_u32_e32 vcc, v7, v5
	v_cndmask_b32_e64 v5, 0, 1, vcc
	v_add_u32_e32 v6, 0xfffffc10, v6
	v_or_b32_e32 v5, v8, v5
	v_lshl_or_b32 v7, v6, 12, v4
	v_cmp_gt_i32_e32 vcc, 1, v6
	v_cndmask_b32_e32 v5, v7, v5, vcc
	v_and_b32_e32 v7, 7, v5
	v_cmp_lt_i32_e32 vcc, 5, v7
	v_cndmask_b32_e64 v8, 0, 1, vcc
	v_cmp_eq_u32_e32 vcc, 3, v7
	v_cndmask_b32_e64 v7, 0, 1, vcc
	v_or_b32_e32 v7, v7, v8
	v_lshrrev_b32_e32 v5, 2, v5
	v_add_u32_e32 v5, v5, v7
	v_mov_b32_e32 v7, 0x7c00
	v_cmp_gt_i32_e32 vcc, 31, v6
	v_cndmask_b32_e32 v5, v7, v5, vcc
	v_mov_b32_e32 v8, 0x7e00
	v_cmp_ne_u32_e32 vcc, 0, v4
	s_movk_i32 s4, 0x40f
	v_cndmask_b32_e32 v4, v7, v8, vcc
	v_cmp_eq_u32_e32 vcc, s4, v6
	v_cndmask_b32_e32 v4, v5, v4, vcc
	v_lshrrev_b32_e32 v5, 16, v14
	s_mov_b32 s4, 0x8000
	v_and_or_b32 v4, v5, s4, v4
	v_and_b32_e32 v4, 0xffff, v4
	global_store_dword v[2:3], v4, off
.LBB11_717:
	s_mov_b64 s[4:5], 0
.LBB11_718:
	s_andn2_b64 vcc, exec, s[4:5]
	s_cbranch_vccnz .LBB11_727
; %bb.719:
	s_cmp_lt_i32 s8, 6
	s_mov_b64 s[4:5], -1
	s_cbranch_scc1 .LBB11_725
; %bb.720:
	s_cmp_gt_i32 s8, 6
	s_cbranch_scc0 .LBB11_722
; %bb.721:
	s_waitcnt vmcnt(2)
	global_store_dwordx2 v[2:3], v[13:14], off
	s_mov_b64 s[4:5], 0
.LBB11_722:
	s_andn2_b64 vcc, exec, s[4:5]
	s_cbranch_vccnz .LBB11_724
; %bb.723:
	s_waitcnt vmcnt(2)
	v_cvt_f32_f64_e32 v4, v[13:14]
	global_store_dword v[2:3], v4, off
.LBB11_724:
	s_mov_b64 s[4:5], 0
.LBB11_725:
	s_andn2_b64 vcc, exec, s[4:5]
	s_cbranch_vccnz .LBB11_727
; %bb.726:
	s_movk_i32 s4, 0x1ff
	s_waitcnt vmcnt(2)
	v_and_or_b32 v4, v14, s4, v13
	v_cmp_ne_u32_e32 vcc, 0, v4
	v_cndmask_b32_e64 v4, 0, 1, vcc
	v_lshrrev_b32_e32 v5, 8, v14
	s_movk_i32 s4, 0xffe
	v_bfe_u32 v6, v14, 20, 11
	v_and_or_b32 v4, v5, s4, v4
	v_sub_u32_e32 v7, 0x3f1, v6
	v_or_b32_e32 v5, 0x1000, v4
	v_med3_i32 v7, v7, 0, 13
	v_lshrrev_b32_e32 v8, v7, v5
	v_lshlrev_b32_e32 v7, v7, v8
	v_cmp_ne_u32_e32 vcc, v7, v5
	v_cndmask_b32_e64 v5, 0, 1, vcc
	v_add_u32_e32 v6, 0xfffffc10, v6
	v_or_b32_e32 v5, v8, v5
	v_lshl_or_b32 v7, v6, 12, v4
	v_cmp_gt_i32_e32 vcc, 1, v6
	v_cndmask_b32_e32 v5, v7, v5, vcc
	v_and_b32_e32 v7, 7, v5
	v_cmp_lt_i32_e32 vcc, 5, v7
	v_cndmask_b32_e64 v8, 0, 1, vcc
	v_cmp_eq_u32_e32 vcc, 3, v7
	v_cndmask_b32_e64 v7, 0, 1, vcc
	v_or_b32_e32 v7, v7, v8
	v_lshrrev_b32_e32 v5, 2, v5
	v_add_u32_e32 v5, v5, v7
	v_mov_b32_e32 v7, 0x7c00
	v_cmp_gt_i32_e32 vcc, 31, v6
	v_cndmask_b32_e32 v5, v7, v5, vcc
	v_mov_b32_e32 v8, 0x7e00
	v_cmp_ne_u32_e32 vcc, 0, v4
	s_movk_i32 s4, 0x40f
	v_cndmask_b32_e32 v4, v7, v8, vcc
	v_cmp_eq_u32_e32 vcc, s4, v6
	v_cndmask_b32_e32 v4, v5, v4, vcc
	v_lshrrev_b32_e32 v5, 16, v14
	s_mov_b32 s4, 0x8000
	v_and_or_b32 v4, v5, s4, v4
	global_store_short v[2:3], v4, off
.LBB11_727:
	s_mov_b64 s[4:5], 0
.LBB11_728:
	s_andn2_b64 vcc, exec, s[4:5]
	s_cbranch_vccnz .LBB11_744
; %bb.729:
	s_cmp_lt_i32 s8, 2
	s_mov_b64 s[4:5], -1
	s_cbranch_scc1 .LBB11_739
; %bb.730:
	s_cmp_lt_i32 s8, 3
	s_cbranch_scc1 .LBB11_736
; %bb.731:
	s_cmp_gt_i32 s8, 3
	s_cbranch_scc0 .LBB11_733
; %bb.732:
	s_waitcnt vmcnt(2)
	v_trunc_f64_e32 v[4:5], v[13:14]
	s_movk_i32 s4, 0xffe0
	v_ldexp_f64 v[6:7], v[4:5], s4
	s_mov_b32 s4, 0
	s_mov_b32 s5, 0xc1f00000
	v_floor_f64_e32 v[6:7], v[6:7]
	v_fma_f64 v[4:5], v[6:7], s[4:5], v[4:5]
	v_cvt_i32_f64_e32 v6, v[6:7]
	s_mov_b64 s[4:5], 0
	v_cvt_u32_f64_e32 v5, v[4:5]
	global_store_dwordx2 v[2:3], v[5:6], off
.LBB11_733:
	s_andn2_b64 vcc, exec, s[4:5]
	s_cbranch_vccnz .LBB11_735
; %bb.734:
	s_waitcnt vmcnt(2)
	v_cvt_i32_f64_e32 v4, v[13:14]
	global_store_dword v[2:3], v4, off
.LBB11_735:
	s_mov_b64 s[4:5], 0
.LBB11_736:
	s_andn2_b64 vcc, exec, s[4:5]
	s_cbranch_vccnz .LBB11_738
; %bb.737:
	s_waitcnt vmcnt(2)
	v_cvt_i32_f64_e32 v4, v[13:14]
	global_store_short v[2:3], v4, off
.LBB11_738:
	s_mov_b64 s[4:5], 0
.LBB11_739:
	s_andn2_b64 vcc, exec, s[4:5]
	s_cbranch_vccnz .LBB11_744
; %bb.740:
	s_cmp_gt_i32 s8, 0
	s_mov_b64 s[4:5], -1
	s_cbranch_scc0 .LBB11_742
; %bb.741:
	s_waitcnt vmcnt(2)
	v_cvt_i32_f64_e32 v4, v[13:14]
	s_mov_b64 s[4:5], 0
	global_store_byte v[2:3], v4, off
.LBB11_742:
	s_andn2_b64 vcc, exec, s[4:5]
	s_cbranch_vccnz .LBB11_744
; %bb.743:
	s_waitcnt vmcnt(2)
	v_trunc_f64_e32 v[4:5], v[13:14]
	s_movk_i32 s4, 0xffe0
	v_ldexp_f64 v[6:7], v[4:5], s4
	s_mov_b32 s4, 0
	s_mov_b32 s5, 0xc1f00000
	v_floor_f64_e32 v[6:7], v[6:7]
	v_fma_f64 v[4:5], v[6:7], s[4:5], v[4:5]
	v_cvt_u32_f64_e32 v4, v[4:5]
	global_store_byte v[2:3], v4, off
.LBB11_744:
.LBB11_745:
	s_lshr_b32 s4, s33, 8
	v_mov_b32_e32 v3, s37
	s_and_b32 s16, s4, 0xff
	s_waitcnt vmcnt(9)
	v_add_co_u32_e32 v2, vcc, s36, v12
	s_cmp_lt_i32 s16, 11
	v_addc_co_u32_e32 v3, vcc, 0, v3, vcc
	s_cbranch_scc1 .LBB11_824
; %bb.746:
	s_and_b32 s17, 0xffff, s16
	s_mov_b64 s[12:13], -1
	s_mov_b64 s[8:9], 0
	s_cmp_gt_i32 s17, 25
	s_mov_b64 s[10:11], 0
	s_mov_b64 s[4:5], 0
	s_cbranch_scc0 .LBB11_779
; %bb.747:
	s_cmp_gt_i32 s17, 28
	s_cbranch_scc0 .LBB11_762
; %bb.748:
	s_cmp_gt_i32 s17, 43
	;; [unrolled: 3-line block ×3, first 2 shown]
	s_cbranch_scc0 .LBB11_752
; %bb.750:
	s_mov_b64 s[4:5], -1
	s_mov_b64 s[12:13], 0
	s_cmp_eq_u32 s17, 46
	s_cbranch_scc0 .LBB11_752
; %bb.751:
	buffer_load_dword v4, off, s[0:3], 0 offset:48 ; 4-byte Folded Reload
	buffer_load_dword v5, off, s[0:3], 0 offset:52 ; 4-byte Folded Reload
	buffer_load_dword v6, off, s[0:3], 0 offset:56 ; 4-byte Folded Reload
	buffer_load_dword v7, off, s[0:3], 0 offset:60 ; 4-byte Folded Reload
	s_movk_i32 s4, 0x7fff
	s_mov_b64 s[10:11], -1
	s_waitcnt vmcnt(2)
	v_cvt_f32_f64_e32 v4, v[4:5]
	v_mov_b32_e32 v5, 0x7fc0
	s_waitcnt vmcnt(1)
	v_bfe_u32 v6, v4, 16, 1
	v_cmp_o_f32_e32 vcc, v4, v4
	v_add3_u32 v4, v4, v6, s4
	v_cndmask_b32_sdwa v4, v5, v4, vcc dst_sel:DWORD dst_unused:UNUSED_PAD src0_sel:DWORD src1_sel:WORD_1
	global_store_dword v[2:3], v4, off
	s_mov_b64 s[4:5], 0
.LBB11_752:
	s_and_b64 vcc, exec, s[12:13]
	s_cbranch_vccz .LBB11_757
; %bb.753:
	s_cmp_eq_u32 s17, 44
	s_mov_b64 s[4:5], -1
	s_cbranch_scc0 .LBB11_757
; %bb.754:
	buffer_load_dword v4, off, s[0:3], 0 offset:48 ; 4-byte Folded Reload
	buffer_load_dword v5, off, s[0:3], 0 offset:52 ; 4-byte Folded Reload
	;; [unrolled: 1-line block ×4, first 2 shown]
	s_movk_i32 s4, 0xff
	s_waitcnt vmcnt(1)
	v_mov_b32_e32 v6, 0xff
	v_cvt_f32_f64_e32 v4, v[4:5]
	v_bfe_u32 v5, v4, 23, 8
	v_cmp_ne_u32_e32 vcc, s4, v5
	s_and_saveexec_b64 s[10:11], vcc
	s_cbranch_execz .LBB11_756
; %bb.755:
	s_mov_b32 s4, 0x3fffff
	v_lshrrev_b32_e32 v6, 23, v4
	s_waitcnt vmcnt(0)
	v_and_b32_e32 v7, 0x400000, v4
	v_and_or_b32 v4, v4, s4, v5
	v_cmp_ne_u32_e32 vcc, 0, v7
	v_cmp_ne_u32_e64 s[4:5], 0, v4
	s_and_b64 s[4:5], vcc, s[4:5]
	v_cndmask_b32_e64 v4, 0, 1, s[4:5]
	v_add_u32_e32 v6, v6, v4
.LBB11_756:
	s_or_b64 exec, exec, s[10:11]
	s_mov_b64 s[4:5], 0
	s_mov_b64 s[10:11], -1
	global_store_byte v[2:3], v6, off
.LBB11_757:
	s_mov_b64 s[12:13], 0
.LBB11_758:
	s_and_b64 vcc, exec, s[12:13]
	s_cbranch_vccz .LBB11_761
; %bb.759:
	s_cmp_eq_u32 s17, 29
	s_mov_b64 s[4:5], -1
	s_cbranch_scc0 .LBB11_761
; %bb.760:
	buffer_load_dword v4, off, s[0:3], 0 offset:48 ; 4-byte Folded Reload
	buffer_load_dword v5, off, s[0:3], 0 offset:52 ; 4-byte Folded Reload
	;; [unrolled: 1-line block ×4, first 2 shown]
	s_movk_i32 s4, 0xffe0
	s_mov_b64 s[10:11], -1
	s_waitcnt vmcnt(2)
	v_trunc_f64_e32 v[4:5], v[4:5]
	s_waitcnt vmcnt(0)
	v_ldexp_f64 v[6:7], v[4:5], s4
	s_mov_b32 s4, 0
	s_mov_b32 s5, 0xc1f00000
	v_floor_f64_e32 v[6:7], v[6:7]
	v_fma_f64 v[4:5], v[6:7], s[4:5], v[4:5]
	v_cvt_u32_f64_e32 v6, v[6:7]
	s_mov_b64 s[4:5], 0
	v_cvt_u32_f64_e32 v5, v[4:5]
	global_store_dwordx2 v[2:3], v[5:6], off
.LBB11_761:
	s_mov_b64 s[12:13], 0
.LBB11_762:
	s_and_b64 vcc, exec, s[12:13]
	s_cbranch_vccz .LBB11_778
; %bb.763:
	s_cmp_lt_i32 s17, 27
	s_mov_b64 s[10:11], -1
	s_cbranch_scc1 .LBB11_769
; %bb.764:
	s_cmp_gt_i32 s17, 27
	s_cbranch_scc0 .LBB11_766
; %bb.765:
	buffer_load_dword v4, off, s[0:3], 0 offset:48 ; 4-byte Folded Reload
	buffer_load_dword v5, off, s[0:3], 0 offset:52 ; 4-byte Folded Reload
	;; [unrolled: 1-line block ×4, first 2 shown]
	s_mov_b64 s[10:11], 0
	s_waitcnt vmcnt(2)
	v_cvt_u32_f64_e32 v4, v[4:5]
	global_store_dword v[2:3], v4, off
.LBB11_766:
	s_andn2_b64 vcc, exec, s[10:11]
	s_cbranch_vccnz .LBB11_768
; %bb.767:
	buffer_load_dword v4, off, s[0:3], 0 offset:48 ; 4-byte Folded Reload
	buffer_load_dword v5, off, s[0:3], 0 offset:52 ; 4-byte Folded Reload
	;; [unrolled: 1-line block ×4, first 2 shown]
	s_waitcnt vmcnt(2)
	v_cvt_u32_f64_e32 v4, v[4:5]
	global_store_short v[2:3], v4, off
.LBB11_768:
	s_mov_b64 s[10:11], 0
.LBB11_769:
	s_andn2_b64 vcc, exec, s[10:11]
	s_cbranch_vccnz .LBB11_777
; %bb.770:
	buffer_load_dword v4, off, s[0:3], 0 offset:48 ; 4-byte Folded Reload
	buffer_load_dword v5, off, s[0:3], 0 offset:52 ; 4-byte Folded Reload
	;; [unrolled: 1-line block ×4, first 2 shown]
	s_mov_b32 s10, 0x43800000
	s_waitcnt vmcnt(1)
	v_mov_b32_e32 v6, 0x80
	v_cvt_f32_f64_e32 v4, v[4:5]
	v_and_b32_e32 v5, 0x7fffffff, v4
	v_cmp_gt_u32_e32 vcc, s10, v5
	s_and_saveexec_b64 s[10:11], vcc
	s_cbranch_execz .LBB11_776
; %bb.771:
	s_mov_b32 s12, 0x3bffffff
	v_cmp_lt_u32_e32 vcc, s12, v5
	s_mov_b64 s[12:13], 0
                                        ; implicit-def: $vgpr5
	s_and_saveexec_b64 s[14:15], vcc
	s_xor_b64 s[14:15], exec, s[14:15]
	s_cbranch_execz .LBB11_1108
; %bb.772:
	v_bfe_u32 v5, v4, 20, 1
	s_mov_b32 s18, 0x487ffff
	v_add3_u32 v5, v4, v5, s18
	s_mov_b64 s[12:13], exec
	v_lshrrev_b32_e32 v5, 20, v5
	s_andn2_saveexec_b64 s[14:15], s[14:15]
	s_cbranch_execnz .LBB11_1109
.LBB11_773:
	s_or_b64 exec, exec, s[14:15]
	v_mov_b32_e32 v6, 0
	s_and_saveexec_b64 s[14:15], s[12:13]
.LBB11_774:
	v_lshrrev_b32_e32 v4, 24, v4
	s_movk_i32 s12, 0x80
	v_and_or_b32 v6, v4, s12, v5
.LBB11_775:
	s_or_b64 exec, exec, s[14:15]
.LBB11_776:
	s_or_b64 exec, exec, s[10:11]
	global_store_byte v[2:3], v6, off
.LBB11_777:
	s_mov_b64 s[10:11], -1
.LBB11_778:
	s_mov_b64 s[12:13], 0
.LBB11_779:
	s_and_b64 vcc, exec, s[12:13]
	s_cbranch_vccz .LBB11_819
; %bb.780:
	s_cmp_gt_i32 s17, 22
	s_mov_b64 s[8:9], -1
	s_cbranch_scc0 .LBB11_812
; %bb.781:
	s_cmp_lt_i32 s17, 24
	s_cbranch_scc1 .LBB11_801
; %bb.782:
	s_cmp_gt_i32 s17, 24
	s_cbranch_scc0 .LBB11_790
; %bb.783:
	buffer_load_dword v4, off, s[0:3], 0 offset:48 ; 4-byte Folded Reload
	buffer_load_dword v5, off, s[0:3], 0 offset:52 ; 4-byte Folded Reload
	;; [unrolled: 1-line block ×4, first 2 shown]
	s_mov_b32 s8, 0x47800000
	s_waitcnt vmcnt(1)
	v_mov_b32_e32 v6, 0x80
	v_cvt_f32_f64_e32 v4, v[4:5]
	v_and_b32_e32 v5, 0x7fffffff, v4
	v_cmp_gt_u32_e32 vcc, s8, v5
	s_and_saveexec_b64 s[8:9], vcc
	s_cbranch_execz .LBB11_789
; %bb.784:
	s_mov_b32 s10, 0x37ffffff
	v_cmp_lt_u32_e32 vcc, s10, v5
	s_mov_b64 s[10:11], 0
                                        ; implicit-def: $vgpr5
	s_and_saveexec_b64 s[12:13], vcc
	s_xor_b64 s[12:13], exec, s[12:13]
	s_cbranch_execz .LBB11_1111
; %bb.785:
	v_bfe_u32 v5, v4, 21, 1
	s_mov_b32 s14, 0x88fffff
	v_add3_u32 v5, v4, v5, s14
	s_mov_b64 s[10:11], exec
	v_lshrrev_b32_e32 v5, 21, v5
	s_andn2_saveexec_b64 s[12:13], s[12:13]
	s_cbranch_execnz .LBB11_1112
.LBB11_786:
	s_or_b64 exec, exec, s[12:13]
	v_mov_b32_e32 v6, 0
	s_and_saveexec_b64 s[12:13], s[10:11]
.LBB11_787:
	v_lshrrev_b32_e32 v4, 24, v4
	s_movk_i32 s10, 0x80
	v_and_or_b32 v6, v4, s10, v5
.LBB11_788:
	s_or_b64 exec, exec, s[12:13]
.LBB11_789:
	s_or_b64 exec, exec, s[8:9]
	s_mov_b64 s[8:9], 0
	global_store_byte v[2:3], v6, off
.LBB11_790:
	s_and_b64 vcc, exec, s[8:9]
	s_cbranch_vccz .LBB11_800
; %bb.791:
	buffer_load_dword v4, off, s[0:3], 0 offset:48 ; 4-byte Folded Reload
	buffer_load_dword v5, off, s[0:3], 0 offset:52 ; 4-byte Folded Reload
	;; [unrolled: 1-line block ×4, first 2 shown]
	s_mov_b32 s8, 0x43f00000
	s_waitcnt vmcnt(2)
	v_cvt_f32_f64_e32 v4, v[4:5]
                                        ; implicit-def: $vgpr5
	s_waitcnt vmcnt(1)
	v_and_b32_e32 v6, 0x7fffffff, v4
	v_cmp_gt_u32_e32 vcc, s8, v6
	s_and_saveexec_b64 s[8:9], vcc
	s_xor_b64 s[8:9], exec, s[8:9]
	s_cbranch_execz .LBB11_797
; %bb.792:
	s_mov_b32 s10, 0x3c7fffff
	v_cmp_lt_u32_e32 vcc, s10, v6
                                        ; implicit-def: $vgpr5
	s_and_saveexec_b64 s[10:11], vcc
	s_xor_b64 s[10:11], exec, s[10:11]
	s_cbranch_execz .LBB11_794
; %bb.793:
	v_bfe_u32 v5, v4, 20, 1
	s_mov_b32 s12, 0x407ffff
	v_add3_u32 v5, v4, v5, s12
	v_lshrrev_b32_e32 v6, 20, v5
	v_and_b32_e32 v5, 0xff00000, v5
	s_mov_b32 s12, 0x7f00000
	s_waitcnt vmcnt(0)
	v_mov_b32_e32 v7, 0x7e
	v_cmp_ne_u32_e32 vcc, s12, v5
	v_cndmask_b32_e32 v5, v7, v6, vcc
.LBB11_794:
	s_andn2_saveexec_b64 s[10:11], s[10:11]
; %bb.795:
	s_mov_b32 s12, 0x46800000
	v_add_f32_e64 v5, |v4|, s12
; %bb.796:
	s_or_b64 exec, exec, s[10:11]
                                        ; implicit-def: $vgpr6
.LBB11_797:
	s_andn2_saveexec_b64 s[8:9], s[8:9]
	s_cbranch_execz .LBB11_799
; %bb.798:
	s_mov_b32 s10, 0x7f800000
	v_mov_b32_e32 v5, 0x7e
	s_waitcnt vmcnt(0)
	v_mov_b32_e32 v7, 0x7f
	v_cmp_lt_u32_e32 vcc, s10, v6
	v_cndmask_b32_e32 v5, v5, v7, vcc
.LBB11_799:
	s_or_b64 exec, exec, s[8:9]
	v_lshrrev_b32_e32 v4, 24, v4
	s_movk_i32 s8, 0x80
	v_and_or_b32 v4, v4, s8, v5
	global_store_byte v[2:3], v4, off
.LBB11_800:
	s_mov_b64 s[8:9], 0
.LBB11_801:
	s_andn2_b64 vcc, exec, s[8:9]
	s_cbranch_vccnz .LBB11_811
; %bb.802:
	buffer_load_dword v4, off, s[0:3], 0 offset:48 ; 4-byte Folded Reload
	buffer_load_dword v5, off, s[0:3], 0 offset:52 ; 4-byte Folded Reload
	buffer_load_dword v6, off, s[0:3], 0 offset:56 ; 4-byte Folded Reload
	buffer_load_dword v7, off, s[0:3], 0 offset:60 ; 4-byte Folded Reload
	s_mov_b32 s8, 0x47800000
	s_waitcnt vmcnt(2)
	v_cvt_f32_f64_e32 v4, v[4:5]
                                        ; implicit-def: $vgpr5
	s_waitcnt vmcnt(1)
	v_and_b32_e32 v6, 0x7fffffff, v4
	v_cmp_gt_u32_e32 vcc, s8, v6
	s_and_saveexec_b64 s[8:9], vcc
	s_xor_b64 s[8:9], exec, s[8:9]
	s_cbranch_execz .LBB11_808
; %bb.803:
	s_mov_b32 s10, 0x387fffff
	v_cmp_lt_u32_e32 vcc, s10, v6
                                        ; implicit-def: $vgpr5
	s_and_saveexec_b64 s[10:11], vcc
	s_xor_b64 s[10:11], exec, s[10:11]
; %bb.804:
	v_bfe_u32 v5, v4, 21, 1
	s_mov_b32 s12, 0x80fffff
	v_add3_u32 v5, v4, v5, s12
	v_lshrrev_b32_e32 v5, 21, v5
; %bb.805:
	s_andn2_saveexec_b64 s[10:11], s[10:11]
; %bb.806:
	s_mov_b32 s12, 0x43000000
	v_add_f32_e64 v5, |v4|, s12
; %bb.807:
	s_or_b64 exec, exec, s[10:11]
                                        ; implicit-def: $vgpr6
.LBB11_808:
	s_andn2_saveexec_b64 s[8:9], s[8:9]
	s_cbranch_execz .LBB11_810
; %bb.809:
	s_mov_b32 s10, 0x7f800000
	v_mov_b32_e32 v5, 0x7c
	s_waitcnt vmcnt(0)
	v_mov_b32_e32 v7, 0x7f
	v_cmp_lt_u32_e32 vcc, s10, v6
	v_cndmask_b32_e32 v5, v5, v7, vcc
.LBB11_810:
	s_or_b64 exec, exec, s[8:9]
	v_lshrrev_b32_e32 v4, 24, v4
	s_movk_i32 s8, 0x80
	v_and_or_b32 v4, v4, s8, v5
	global_store_byte v[2:3], v4, off
.LBB11_811:
	s_mov_b64 s[8:9], 0
	s_mov_b64 s[10:11], -1
.LBB11_812:
	s_andn2_b64 vcc, exec, s[8:9]
	s_mov_b64 s[8:9], 0
	s_cbranch_vccnz .LBB11_819
; %bb.813:
	s_cmp_gt_i32 s17, 14
	s_mov_b64 s[12:13], -1
	s_cbranch_scc0 .LBB11_817
; %bb.814:
	s_cmp_eq_u32 s17, 15
	s_mov_b64 s[4:5], -1
	s_cbranch_scc0 .LBB11_816
; %bb.815:
	buffer_load_dword v4, off, s[0:3], 0 offset:48 ; 4-byte Folded Reload
	buffer_load_dword v5, off, s[0:3], 0 offset:52 ; 4-byte Folded Reload
	;; [unrolled: 1-line block ×4, first 2 shown]
	s_movk_i32 s4, 0x7fff
	s_mov_b64 s[10:11], -1
	s_waitcnt vmcnt(2)
	v_cvt_f32_f64_e32 v4, v[4:5]
	v_mov_b32_e32 v5, 0x7fc0
	s_waitcnt vmcnt(1)
	v_bfe_u32 v6, v4, 16, 1
	v_cmp_o_f32_e32 vcc, v4, v4
	v_add3_u32 v4, v4, v6, s4
	v_cndmask_b32_sdwa v4, v5, v4, vcc dst_sel:DWORD dst_unused:UNUSED_PAD src0_sel:DWORD src1_sel:WORD_1
	global_store_short v[2:3], v4, off
	s_mov_b64 s[4:5], 0
.LBB11_816:
	s_mov_b64 s[12:13], 0
.LBB11_817:
	s_and_b64 vcc, exec, s[12:13]
	s_cbranch_vccz .LBB11_819
; %bb.818:
	s_cmp_lg_u32 s17, 11
	s_mov_b64 s[8:9], -1
	s_cselect_b64 s[4:5], -1, 0
.LBB11_819:
	s_and_b64 vcc, exec, s[4:5]
	s_cbranch_vccnz .LBB11_1110
; %bb.820:
	s_andn2_b64 vcc, exec, s[8:9]
	s_cbranch_vccnz .LBB11_822
.LBB11_821:
	buffer_load_dword v4, off, s[0:3], 0 offset:48 ; 4-byte Folded Reload
	buffer_load_dword v5, off, s[0:3], 0 offset:52 ; 4-byte Folded Reload
	buffer_load_dword v6, off, s[0:3], 0 offset:56 ; 4-byte Folded Reload
	buffer_load_dword v7, off, s[0:3], 0 offset:60 ; 4-byte Folded Reload
	s_mov_b64 s[10:11], -1
	s_waitcnt vmcnt(2)
	v_cmp_neq_f64_e32 vcc, 0, v[4:5]
	v_cndmask_b32_e64 v4, 0, 1, vcc
	global_store_byte v[2:3], v4, off
.LBB11_822:
.LBB11_823:
	s_andn2_b64 vcc, exec, s[10:11]
	s_cbranch_vccz .LBB11_863
	s_branch .LBB11_1057
.LBB11_824:
	s_mov_b64 s[10:11], 0
	s_cbranch_execz .LBB11_823
; %bb.825:
	s_and_b32 s8, 0xffff, s16
	s_cmp_lt_i32 s8, 5
	s_mov_b64 s[4:5], -1
	s_cbranch_scc1 .LBB11_846
; %bb.826:
	s_cmp_lt_i32 s8, 8
	s_cbranch_scc1 .LBB11_836
; %bb.827:
	s_cmp_lt_i32 s8, 9
	s_cbranch_scc1 .LBB11_833
; %bb.828:
	s_cmp_gt_i32 s8, 9
	s_cbranch_scc0 .LBB11_830
; %bb.829:
	buffer_load_dword v4, off, s[0:3], 0 offset:48 ; 4-byte Folded Reload
	buffer_load_dword v5, off, s[0:3], 0 offset:52 ; 4-byte Folded Reload
	;; [unrolled: 1-line block ×4, first 2 shown]
	s_waitcnt vmcnt(7)
	v_mov_b32_e32 v13, 0
	s_waitcnt vmcnt(6)
	v_mov_b32_e32 v14, v13
	s_mov_b64 s[4:5], 0
	s_waitcnt vmcnt(2)
	v_mov_b32_e32 v12, v5
	v_mov_b32_e32 v11, v4
	buffer_store_dword v4, off, s[0:3], 0 offset:48 ; 4-byte Folded Spill
	s_nop 0
	buffer_store_dword v5, off, s[0:3], 0 offset:52 ; 4-byte Folded Spill
	s_waitcnt vmcnt(3)
	buffer_store_dword v6, off, s[0:3], 0 offset:56 ; 4-byte Folded Spill
	s_waitcnt vmcnt(3)
	buffer_store_dword v7, off, s[0:3], 0 offset:60 ; 4-byte Folded Spill
	global_store_dwordx4 v[2:3], v[11:14], off
.LBB11_830:
	s_andn2_b64 vcc, exec, s[4:5]
	s_cbranch_vccnz .LBB11_832
; %bb.831:
	buffer_load_dword v4, off, s[0:3], 0 offset:48 ; 4-byte Folded Reload
	buffer_load_dword v5, off, s[0:3], 0 offset:52 ; 4-byte Folded Reload
	;; [unrolled: 1-line block ×4, first 2 shown]
	s_waitcnt vmcnt(2)
	v_cvt_f32_f64_e32 v4, v[4:5]
	v_mov_b32_e32 v5, 0
	global_store_dwordx2 v[2:3], v[4:5], off
.LBB11_832:
	s_mov_b64 s[4:5], 0
.LBB11_833:
	s_andn2_b64 vcc, exec, s[4:5]
	s_cbranch_vccnz .LBB11_835
; %bb.834:
	buffer_load_dword v4, off, s[0:3], 0 offset:48 ; 4-byte Folded Reload
	buffer_load_dword v5, off, s[0:3], 0 offset:52 ; 4-byte Folded Reload
	;; [unrolled: 1-line block ×4, first 2 shown]
	s_movk_i32 s4, 0x1ff
	s_waitcnt vmcnt(2)
	v_mov_b32_e32 v12, v5
	v_mov_b32_e32 v11, v4
	v_and_or_b32 v4, v12, s4, v11
	v_cmp_ne_u32_e32 vcc, 0, v4
	v_cndmask_b32_e64 v4, 0, 1, vcc
	v_lshrrev_b32_e32 v5, 8, v12
	s_movk_i32 s4, 0xffe
	s_waitcnt vmcnt(1)
	v_bfe_u32 v6, v12, 20, 11
	v_and_or_b32 v4, v5, s4, v4
	s_waitcnt vmcnt(0)
	v_sub_u32_e32 v7, 0x3f1, v6
	v_or_b32_e32 v5, 0x1000, v4
	v_med3_i32 v7, v7, 0, 13
	v_lshrrev_b32_e32 v8, v7, v5
	v_lshlrev_b32_e32 v7, v7, v8
	v_cmp_ne_u32_e32 vcc, v7, v5
	v_cndmask_b32_e64 v5, 0, 1, vcc
	v_add_u32_e32 v6, 0xfffffc10, v6
	v_or_b32_e32 v5, v8, v5
	v_lshl_or_b32 v7, v6, 12, v4
	v_cmp_gt_i32_e32 vcc, 1, v6
	v_cndmask_b32_e32 v5, v7, v5, vcc
	v_and_b32_e32 v7, 7, v5
	v_cmp_lt_i32_e32 vcc, 5, v7
	v_cndmask_b32_e64 v8, 0, 1, vcc
	v_cmp_eq_u32_e32 vcc, 3, v7
	v_cndmask_b32_e64 v7, 0, 1, vcc
	v_or_b32_e32 v7, v7, v8
	v_lshrrev_b32_e32 v5, 2, v5
	v_add_u32_e32 v5, v5, v7
	v_mov_b32_e32 v7, 0x7c00
	v_cmp_gt_i32_e32 vcc, 31, v6
	v_cndmask_b32_e32 v5, v7, v5, vcc
	v_mov_b32_e32 v8, 0x7e00
	v_cmp_ne_u32_e32 vcc, 0, v4
	s_movk_i32 s4, 0x40f
	v_cndmask_b32_e32 v4, v7, v8, vcc
	v_cmp_eq_u32_e32 vcc, s4, v6
	v_cndmask_b32_e32 v4, v5, v4, vcc
	v_lshrrev_b32_e32 v5, 16, v12
	s_mov_b32 s4, 0x8000
	v_and_or_b32 v4, v5, s4, v4
	v_and_b32_e32 v4, 0xffff, v4
	global_store_dword v[2:3], v4, off
.LBB11_835:
	s_mov_b64 s[4:5], 0
.LBB11_836:
	s_andn2_b64 vcc, exec, s[4:5]
	s_cbranch_vccnz .LBB11_845
; %bb.837:
	s_cmp_lt_i32 s8, 6
	s_mov_b64 s[4:5], -1
	s_cbranch_scc1 .LBB11_843
; %bb.838:
	s_cmp_gt_i32 s8, 6
	s_cbranch_scc0 .LBB11_840
; %bb.839:
	buffer_load_dword v4, off, s[0:3], 0 offset:48 ; 4-byte Folded Reload
	buffer_load_dword v5, off, s[0:3], 0 offset:52 ; 4-byte Folded Reload
	;; [unrolled: 1-line block ×4, first 2 shown]
	s_mov_b64 s[4:5], 0
	s_waitcnt vmcnt(2)
	global_store_dwordx2 v[2:3], v[4:5], off
.LBB11_840:
	s_andn2_b64 vcc, exec, s[4:5]
	s_cbranch_vccnz .LBB11_842
; %bb.841:
	buffer_load_dword v4, off, s[0:3], 0 offset:48 ; 4-byte Folded Reload
	buffer_load_dword v5, off, s[0:3], 0 offset:52 ; 4-byte Folded Reload
	;; [unrolled: 1-line block ×4, first 2 shown]
	s_waitcnt vmcnt(2)
	v_cvt_f32_f64_e32 v4, v[4:5]
	global_store_dword v[2:3], v4, off
.LBB11_842:
	s_mov_b64 s[4:5], 0
.LBB11_843:
	s_andn2_b64 vcc, exec, s[4:5]
	s_cbranch_vccnz .LBB11_845
; %bb.844:
	buffer_load_dword v4, off, s[0:3], 0 offset:48 ; 4-byte Folded Reload
	buffer_load_dword v5, off, s[0:3], 0 offset:52 ; 4-byte Folded Reload
	;; [unrolled: 1-line block ×4, first 2 shown]
	s_movk_i32 s4, 0x1ff
	s_waitcnt vmcnt(2)
	v_mov_b32_e32 v12, v5
	v_mov_b32_e32 v11, v4
	v_and_or_b32 v4, v12, s4, v11
	v_cmp_ne_u32_e32 vcc, 0, v4
	v_cndmask_b32_e64 v4, 0, 1, vcc
	v_lshrrev_b32_e32 v5, 8, v12
	s_movk_i32 s4, 0xffe
	s_waitcnt vmcnt(1)
	v_bfe_u32 v6, v12, 20, 11
	v_and_or_b32 v4, v5, s4, v4
	s_waitcnt vmcnt(0)
	v_sub_u32_e32 v7, 0x3f1, v6
	v_or_b32_e32 v5, 0x1000, v4
	v_med3_i32 v7, v7, 0, 13
	v_lshrrev_b32_e32 v8, v7, v5
	v_lshlrev_b32_e32 v7, v7, v8
	v_cmp_ne_u32_e32 vcc, v7, v5
	v_cndmask_b32_e64 v5, 0, 1, vcc
	v_add_u32_e32 v6, 0xfffffc10, v6
	v_or_b32_e32 v5, v8, v5
	v_lshl_or_b32 v7, v6, 12, v4
	v_cmp_gt_i32_e32 vcc, 1, v6
	v_cndmask_b32_e32 v5, v7, v5, vcc
	v_and_b32_e32 v7, 7, v5
	v_cmp_lt_i32_e32 vcc, 5, v7
	v_cndmask_b32_e64 v8, 0, 1, vcc
	v_cmp_eq_u32_e32 vcc, 3, v7
	v_cndmask_b32_e64 v7, 0, 1, vcc
	v_or_b32_e32 v7, v7, v8
	v_lshrrev_b32_e32 v5, 2, v5
	v_add_u32_e32 v5, v5, v7
	v_mov_b32_e32 v7, 0x7c00
	v_cmp_gt_i32_e32 vcc, 31, v6
	v_cndmask_b32_e32 v5, v7, v5, vcc
	v_mov_b32_e32 v8, 0x7e00
	v_cmp_ne_u32_e32 vcc, 0, v4
	s_movk_i32 s4, 0x40f
	v_cndmask_b32_e32 v4, v7, v8, vcc
	v_cmp_eq_u32_e32 vcc, s4, v6
	v_cndmask_b32_e32 v4, v5, v4, vcc
	v_lshrrev_b32_e32 v5, 16, v12
	s_mov_b32 s4, 0x8000
	v_and_or_b32 v4, v5, s4, v4
	global_store_short v[2:3], v4, off
.LBB11_845:
	s_mov_b64 s[4:5], 0
.LBB11_846:
	s_andn2_b64 vcc, exec, s[4:5]
	s_cbranch_vccnz .LBB11_862
; %bb.847:
	s_cmp_lt_i32 s8, 2
	s_mov_b64 s[4:5], -1
	s_cbranch_scc1 .LBB11_857
; %bb.848:
	s_cmp_lt_i32 s8, 3
	s_cbranch_scc1 .LBB11_854
; %bb.849:
	s_cmp_gt_i32 s8, 3
	s_cbranch_scc0 .LBB11_851
; %bb.850:
	buffer_load_dword v4, off, s[0:3], 0 offset:48 ; 4-byte Folded Reload
	buffer_load_dword v5, off, s[0:3], 0 offset:52 ; 4-byte Folded Reload
	;; [unrolled: 1-line block ×4, first 2 shown]
	s_movk_i32 s4, 0xffe0
	s_waitcnt vmcnt(2)
	v_trunc_f64_e32 v[4:5], v[4:5]
	s_waitcnt vmcnt(0)
	v_ldexp_f64 v[6:7], v[4:5], s4
	s_mov_b32 s4, 0
	s_mov_b32 s5, 0xc1f00000
	v_floor_f64_e32 v[6:7], v[6:7]
	v_fma_f64 v[4:5], v[6:7], s[4:5], v[4:5]
	v_cvt_i32_f64_e32 v6, v[6:7]
	s_mov_b64 s[4:5], 0
	v_cvt_u32_f64_e32 v5, v[4:5]
	global_store_dwordx2 v[2:3], v[5:6], off
.LBB11_851:
	s_andn2_b64 vcc, exec, s[4:5]
	s_cbranch_vccnz .LBB11_853
; %bb.852:
	buffer_load_dword v4, off, s[0:3], 0 offset:48 ; 4-byte Folded Reload
	buffer_load_dword v5, off, s[0:3], 0 offset:52 ; 4-byte Folded Reload
	buffer_load_dword v6, off, s[0:3], 0 offset:56 ; 4-byte Folded Reload
	buffer_load_dword v7, off, s[0:3], 0 offset:60 ; 4-byte Folded Reload
	s_waitcnt vmcnt(2)
	v_cvt_i32_f64_e32 v4, v[4:5]
	global_store_dword v[2:3], v4, off
.LBB11_853:
	s_mov_b64 s[4:5], 0
.LBB11_854:
	s_andn2_b64 vcc, exec, s[4:5]
	s_cbranch_vccnz .LBB11_856
; %bb.855:
	buffer_load_dword v4, off, s[0:3], 0 offset:48 ; 4-byte Folded Reload
	buffer_load_dword v5, off, s[0:3], 0 offset:52 ; 4-byte Folded Reload
	;; [unrolled: 1-line block ×4, first 2 shown]
	s_waitcnt vmcnt(2)
	v_cvt_i32_f64_e32 v4, v[4:5]
	global_store_short v[2:3], v4, off
.LBB11_856:
	s_mov_b64 s[4:5], 0
.LBB11_857:
	s_andn2_b64 vcc, exec, s[4:5]
	s_cbranch_vccnz .LBB11_862
; %bb.858:
	s_cmp_gt_i32 s8, 0
	s_mov_b64 s[4:5], -1
	s_cbranch_scc0 .LBB11_860
; %bb.859:
	buffer_load_dword v4, off, s[0:3], 0 offset:48 ; 4-byte Folded Reload
	buffer_load_dword v5, off, s[0:3], 0 offset:52 ; 4-byte Folded Reload
	;; [unrolled: 1-line block ×4, first 2 shown]
	s_mov_b64 s[4:5], 0
	s_waitcnt vmcnt(2)
	v_cvt_i32_f64_e32 v4, v[4:5]
	global_store_byte v[2:3], v4, off
.LBB11_860:
	s_andn2_b64 vcc, exec, s[4:5]
	s_cbranch_vccnz .LBB11_862
; %bb.861:
	buffer_load_dword v4, off, s[0:3], 0 offset:48 ; 4-byte Folded Reload
	buffer_load_dword v5, off, s[0:3], 0 offset:52 ; 4-byte Folded Reload
	;; [unrolled: 1-line block ×4, first 2 shown]
	s_movk_i32 s4, 0xffe0
	s_waitcnt vmcnt(2)
	v_trunc_f64_e32 v[4:5], v[4:5]
	s_waitcnt vmcnt(0)
	v_ldexp_f64 v[6:7], v[4:5], s4
	s_mov_b32 s4, 0
	s_mov_b32 s5, 0xc1f00000
	v_floor_f64_e32 v[6:7], v[6:7]
	v_fma_f64 v[4:5], v[6:7], s[4:5], v[4:5]
	v_cvt_u32_f64_e32 v4, v[4:5]
	global_store_byte v[2:3], v4, off
.LBB11_862:
.LBB11_863:
	v_mov_b32_e32 v3, s37
	s_waitcnt vmcnt(5)
	v_add_co_u32_e32 v2, vcc, s36, v10
	s_cmp_lt_i32 s16, 11
	v_addc_co_u32_e32 v3, vcc, 0, v3, vcc
	s_cbranch_scc1 .LBB11_1018
; %bb.864:
	s_and_b32 s17, 0xffff, s16
	s_mov_b64 s[12:13], -1
	s_mov_b64 s[8:9], 0
	s_cmp_gt_i32 s17, 25
	s_mov_b64 s[10:11], 0
	s_mov_b64 s[4:5], 0
	s_cbranch_scc0 .LBB11_897
; %bb.865:
	s_cmp_gt_i32 s17, 28
	s_cbranch_scc0 .LBB11_880
; %bb.866:
	s_cmp_gt_i32 s17, 43
	s_cbranch_scc0 .LBB11_876
; %bb.867:
	s_cmp_gt_i32 s17, 45
	s_cbranch_scc0 .LBB11_870
; %bb.868:
	s_mov_b64 s[4:5], -1
	s_mov_b64 s[12:13], 0
	s_cmp_eq_u32 s17, 46
	s_cbranch_scc0 .LBB11_870
; %bb.869:
	buffer_load_dword v4, off, s[0:3], 0 offset:64 ; 4-byte Folded Reload
	buffer_load_dword v5, off, s[0:3], 0 offset:68 ; 4-byte Folded Reload
	;; [unrolled: 1-line block ×4, first 2 shown]
	s_movk_i32 s4, 0x7fff
	s_mov_b64 s[10:11], -1
	s_waitcnt vmcnt(2)
	v_cvt_f32_f64_e32 v4, v[4:5]
	v_mov_b32_e32 v5, 0x7fc0
	s_waitcnt vmcnt(1)
	v_bfe_u32 v6, v4, 16, 1
	v_cmp_o_f32_e32 vcc, v4, v4
	v_add3_u32 v4, v4, v6, s4
	v_cndmask_b32_sdwa v4, v5, v4, vcc dst_sel:DWORD dst_unused:UNUSED_PAD src0_sel:DWORD src1_sel:WORD_1
	global_store_dword v[2:3], v4, off
	s_mov_b64 s[4:5], 0
.LBB11_870:
	s_and_b64 vcc, exec, s[12:13]
	s_cbranch_vccz .LBB11_875
; %bb.871:
	s_cmp_eq_u32 s17, 44
	s_mov_b64 s[4:5], -1
	s_cbranch_scc0 .LBB11_875
; %bb.872:
	buffer_load_dword v4, off, s[0:3], 0 offset:64 ; 4-byte Folded Reload
	buffer_load_dword v5, off, s[0:3], 0 offset:68 ; 4-byte Folded Reload
	;; [unrolled: 1-line block ×4, first 2 shown]
	s_movk_i32 s4, 0xff
	s_waitcnt vmcnt(1)
	v_mov_b32_e32 v6, 0xff
	v_cvt_f32_f64_e32 v4, v[4:5]
	v_bfe_u32 v5, v4, 23, 8
	v_cmp_ne_u32_e32 vcc, s4, v5
	s_and_saveexec_b64 s[10:11], vcc
	s_cbranch_execz .LBB11_874
; %bb.873:
	s_mov_b32 s4, 0x3fffff
	v_lshrrev_b32_e32 v6, 23, v4
	s_waitcnt vmcnt(0)
	v_and_b32_e32 v7, 0x400000, v4
	v_and_or_b32 v4, v4, s4, v5
	v_cmp_ne_u32_e32 vcc, 0, v7
	v_cmp_ne_u32_e64 s[4:5], 0, v4
	s_and_b64 s[4:5], vcc, s[4:5]
	v_cndmask_b32_e64 v4, 0, 1, s[4:5]
	v_add_u32_e32 v6, v6, v4
.LBB11_874:
	s_or_b64 exec, exec, s[10:11]
	s_mov_b64 s[4:5], 0
	s_mov_b64 s[10:11], -1
	global_store_byte v[2:3], v6, off
.LBB11_875:
	s_mov_b64 s[12:13], 0
.LBB11_876:
	s_and_b64 vcc, exec, s[12:13]
	s_cbranch_vccz .LBB11_879
; %bb.877:
	s_cmp_eq_u32 s17, 29
	s_mov_b64 s[4:5], -1
	s_cbranch_scc0 .LBB11_879
; %bb.878:
	buffer_load_dword v4, off, s[0:3], 0 offset:64 ; 4-byte Folded Reload
	buffer_load_dword v5, off, s[0:3], 0 offset:68 ; 4-byte Folded Reload
	;; [unrolled: 1-line block ×4, first 2 shown]
	s_movk_i32 s4, 0xffe0
	s_mov_b64 s[10:11], -1
	s_waitcnt vmcnt(2)
	v_trunc_f64_e32 v[4:5], v[4:5]
	s_waitcnt vmcnt(0)
	v_ldexp_f64 v[6:7], v[4:5], s4
	s_mov_b32 s4, 0
	s_mov_b32 s5, 0xc1f00000
	v_floor_f64_e32 v[6:7], v[6:7]
	v_fma_f64 v[4:5], v[6:7], s[4:5], v[4:5]
	v_cvt_u32_f64_e32 v6, v[6:7]
	s_mov_b64 s[4:5], 0
	v_cvt_u32_f64_e32 v5, v[4:5]
	global_store_dwordx2 v[2:3], v[5:6], off
.LBB11_879:
	s_mov_b64 s[12:13], 0
.LBB11_880:
	s_and_b64 vcc, exec, s[12:13]
	s_cbranch_vccz .LBB11_896
; %bb.881:
	s_cmp_lt_i32 s17, 27
	s_mov_b64 s[10:11], -1
	s_cbranch_scc1 .LBB11_887
; %bb.882:
	buffer_load_dword v4, off, s[0:3], 0 offset:64 ; 4-byte Folded Reload
	buffer_load_dword v5, off, s[0:3], 0 offset:68 ; 4-byte Folded Reload
	;; [unrolled: 1-line block ×4, first 2 shown]
	s_cmp_gt_i32 s17, 27
	s_waitcnt vmcnt(2)
	v_cvt_u32_f64_e32 v4, v[4:5]
	s_cbranch_scc0 .LBB11_884
; %bb.883:
	s_mov_b64 s[10:11], 0
	global_store_dword v[2:3], v4, off
.LBB11_884:
	s_andn2_b64 vcc, exec, s[10:11]
	s_cbranch_vccnz .LBB11_886
; %bb.885:
	global_store_short v[2:3], v4, off
.LBB11_886:
	s_mov_b64 s[10:11], 0
.LBB11_887:
	s_andn2_b64 vcc, exec, s[10:11]
	s_cbranch_vccnz .LBB11_895
; %bb.888:
	buffer_load_dword v4, off, s[0:3], 0 offset:64 ; 4-byte Folded Reload
	buffer_load_dword v5, off, s[0:3], 0 offset:68 ; 4-byte Folded Reload
	;; [unrolled: 1-line block ×4, first 2 shown]
	s_mov_b32 s10, 0x43800000
	s_waitcnt vmcnt(1)
	v_mov_b32_e32 v6, 0x80
	v_cvt_f32_f64_e32 v4, v[4:5]
	v_and_b32_e32 v5, 0x7fffffff, v4
	v_cmp_gt_u32_e32 vcc, s10, v5
	s_and_saveexec_b64 s[10:11], vcc
	s_cbranch_execz .LBB11_894
; %bb.889:
	s_mov_b32 s12, 0x3bffffff
	v_cmp_lt_u32_e32 vcc, s12, v5
	s_mov_b64 s[12:13], 0
                                        ; implicit-def: $vgpr5
	s_and_saveexec_b64 s[14:15], vcc
	s_xor_b64 s[14:15], exec, s[14:15]
	s_cbranch_execz .LBB11_1113
; %bb.890:
	v_bfe_u32 v5, v4, 20, 1
	s_mov_b32 s18, 0x487ffff
	v_add3_u32 v5, v4, v5, s18
	s_mov_b64 s[12:13], exec
	v_lshrrev_b32_e32 v5, 20, v5
	s_andn2_saveexec_b64 s[14:15], s[14:15]
	s_cbranch_execnz .LBB11_1114
.LBB11_891:
	s_or_b64 exec, exec, s[14:15]
	v_mov_b32_e32 v6, 0
	s_and_saveexec_b64 s[14:15], s[12:13]
.LBB11_892:
	v_lshrrev_b32_e32 v4, 24, v4
	s_movk_i32 s12, 0x80
	v_and_or_b32 v6, v4, s12, v5
.LBB11_893:
	s_or_b64 exec, exec, s[14:15]
.LBB11_894:
	s_or_b64 exec, exec, s[10:11]
	global_store_byte v[2:3], v6, off
.LBB11_895:
	s_mov_b64 s[10:11], -1
.LBB11_896:
	s_mov_b64 s[12:13], 0
.LBB11_897:
	s_and_b64 vcc, exec, s[12:13]
	s_cbranch_vccz .LBB11_937
; %bb.898:
	s_cmp_gt_i32 s17, 22
	s_mov_b64 s[8:9], -1
	s_cbranch_scc0 .LBB11_930
; %bb.899:
	s_cmp_lt_i32 s17, 24
	s_cbranch_scc1 .LBB11_919
; %bb.900:
	s_cmp_gt_i32 s17, 24
	s_cbranch_scc0 .LBB11_908
; %bb.901:
	buffer_load_dword v4, off, s[0:3], 0 offset:64 ; 4-byte Folded Reload
	buffer_load_dword v5, off, s[0:3], 0 offset:68 ; 4-byte Folded Reload
	;; [unrolled: 1-line block ×4, first 2 shown]
	s_mov_b32 s8, 0x47800000
	s_waitcnt vmcnt(1)
	v_mov_b32_e32 v6, 0x80
	v_cvt_f32_f64_e32 v4, v[4:5]
	v_and_b32_e32 v5, 0x7fffffff, v4
	v_cmp_gt_u32_e32 vcc, s8, v5
	s_and_saveexec_b64 s[8:9], vcc
	s_cbranch_execz .LBB11_907
; %bb.902:
	s_mov_b32 s10, 0x37ffffff
	v_cmp_lt_u32_e32 vcc, s10, v5
	s_mov_b64 s[10:11], 0
                                        ; implicit-def: $vgpr5
	s_and_saveexec_b64 s[12:13], vcc
	s_xor_b64 s[12:13], exec, s[12:13]
	s_cbranch_execz .LBB11_1116
; %bb.903:
	v_bfe_u32 v5, v4, 21, 1
	s_mov_b32 s14, 0x88fffff
	v_add3_u32 v5, v4, v5, s14
	s_mov_b64 s[10:11], exec
	v_lshrrev_b32_e32 v5, 21, v5
	s_andn2_saveexec_b64 s[12:13], s[12:13]
	s_cbranch_execnz .LBB11_1117
.LBB11_904:
	s_or_b64 exec, exec, s[12:13]
	v_mov_b32_e32 v6, 0
	s_and_saveexec_b64 s[12:13], s[10:11]
.LBB11_905:
	v_lshrrev_b32_e32 v4, 24, v4
	s_movk_i32 s10, 0x80
	v_and_or_b32 v6, v4, s10, v5
.LBB11_906:
	s_or_b64 exec, exec, s[12:13]
.LBB11_907:
	s_or_b64 exec, exec, s[8:9]
	s_mov_b64 s[8:9], 0
	global_store_byte v[2:3], v6, off
.LBB11_908:
	s_and_b64 vcc, exec, s[8:9]
	s_cbranch_vccz .LBB11_918
; %bb.909:
	buffer_load_dword v4, off, s[0:3], 0 offset:64 ; 4-byte Folded Reload
	buffer_load_dword v5, off, s[0:3], 0 offset:68 ; 4-byte Folded Reload
	;; [unrolled: 1-line block ×4, first 2 shown]
	s_mov_b32 s8, 0x43f00000
	s_waitcnt vmcnt(2)
	v_cvt_f32_f64_e32 v4, v[4:5]
                                        ; implicit-def: $vgpr5
	s_waitcnt vmcnt(1)
	v_and_b32_e32 v6, 0x7fffffff, v4
	v_cmp_gt_u32_e32 vcc, s8, v6
	s_and_saveexec_b64 s[8:9], vcc
	s_xor_b64 s[8:9], exec, s[8:9]
	s_cbranch_execz .LBB11_915
; %bb.910:
	s_mov_b32 s10, 0x3c7fffff
	v_cmp_lt_u32_e32 vcc, s10, v6
                                        ; implicit-def: $vgpr5
	s_and_saveexec_b64 s[10:11], vcc
	s_xor_b64 s[10:11], exec, s[10:11]
	s_cbranch_execz .LBB11_912
; %bb.911:
	v_bfe_u32 v5, v4, 20, 1
	s_mov_b32 s12, 0x407ffff
	v_add3_u32 v5, v4, v5, s12
	v_lshrrev_b32_e32 v6, 20, v5
	v_and_b32_e32 v5, 0xff00000, v5
	s_mov_b32 s12, 0x7f00000
	s_waitcnt vmcnt(0)
	v_mov_b32_e32 v7, 0x7e
	v_cmp_ne_u32_e32 vcc, s12, v5
	v_cndmask_b32_e32 v5, v7, v6, vcc
.LBB11_912:
	s_andn2_saveexec_b64 s[10:11], s[10:11]
; %bb.913:
	s_mov_b32 s12, 0x46800000
	v_add_f32_e64 v5, |v4|, s12
; %bb.914:
	s_or_b64 exec, exec, s[10:11]
                                        ; implicit-def: $vgpr6
.LBB11_915:
	s_andn2_saveexec_b64 s[8:9], s[8:9]
	s_cbranch_execz .LBB11_917
; %bb.916:
	s_mov_b32 s10, 0x7f800000
	v_mov_b32_e32 v5, 0x7e
	s_waitcnt vmcnt(0)
	v_mov_b32_e32 v7, 0x7f
	v_cmp_lt_u32_e32 vcc, s10, v6
	v_cndmask_b32_e32 v5, v5, v7, vcc
.LBB11_917:
	s_or_b64 exec, exec, s[8:9]
	v_lshrrev_b32_e32 v4, 24, v4
	s_movk_i32 s8, 0x80
	v_and_or_b32 v4, v4, s8, v5
	global_store_byte v[2:3], v4, off
.LBB11_918:
	s_mov_b64 s[8:9], 0
.LBB11_919:
	s_andn2_b64 vcc, exec, s[8:9]
	s_cbranch_vccnz .LBB11_929
; %bb.920:
	buffer_load_dword v4, off, s[0:3], 0 offset:64 ; 4-byte Folded Reload
	buffer_load_dword v5, off, s[0:3], 0 offset:68 ; 4-byte Folded Reload
	;; [unrolled: 1-line block ×4, first 2 shown]
	s_mov_b32 s8, 0x47800000
	s_waitcnt vmcnt(2)
	v_cvt_f32_f64_e32 v4, v[4:5]
                                        ; implicit-def: $vgpr5
	s_waitcnt vmcnt(1)
	v_and_b32_e32 v6, 0x7fffffff, v4
	v_cmp_gt_u32_e32 vcc, s8, v6
	s_and_saveexec_b64 s[8:9], vcc
	s_xor_b64 s[8:9], exec, s[8:9]
	s_cbranch_execz .LBB11_926
; %bb.921:
	s_mov_b32 s10, 0x387fffff
	v_cmp_lt_u32_e32 vcc, s10, v6
                                        ; implicit-def: $vgpr5
	s_and_saveexec_b64 s[10:11], vcc
	s_xor_b64 s[10:11], exec, s[10:11]
; %bb.922:
	v_bfe_u32 v5, v4, 21, 1
	s_mov_b32 s12, 0x80fffff
	v_add3_u32 v5, v4, v5, s12
	v_lshrrev_b32_e32 v5, 21, v5
; %bb.923:
	s_andn2_saveexec_b64 s[10:11], s[10:11]
; %bb.924:
	s_mov_b32 s12, 0x43000000
	v_add_f32_e64 v5, |v4|, s12
; %bb.925:
	s_or_b64 exec, exec, s[10:11]
                                        ; implicit-def: $vgpr6
.LBB11_926:
	s_andn2_saveexec_b64 s[8:9], s[8:9]
	s_cbranch_execz .LBB11_928
; %bb.927:
	s_mov_b32 s10, 0x7f800000
	v_mov_b32_e32 v5, 0x7c
	s_waitcnt vmcnt(0)
	v_mov_b32_e32 v7, 0x7f
	v_cmp_lt_u32_e32 vcc, s10, v6
	v_cndmask_b32_e32 v5, v5, v7, vcc
.LBB11_928:
	s_or_b64 exec, exec, s[8:9]
	v_lshrrev_b32_e32 v4, 24, v4
	s_movk_i32 s8, 0x80
	v_and_or_b32 v4, v4, s8, v5
	global_store_byte v[2:3], v4, off
.LBB11_929:
	s_mov_b64 s[8:9], 0
	s_mov_b64 s[10:11], -1
.LBB11_930:
	s_andn2_b64 vcc, exec, s[8:9]
	s_mov_b64 s[8:9], 0
	s_cbranch_vccnz .LBB11_937
; %bb.931:
	s_cmp_gt_i32 s17, 14
	s_mov_b64 s[12:13], -1
	s_cbranch_scc0 .LBB11_935
; %bb.932:
	s_cmp_eq_u32 s17, 15
	s_mov_b64 s[4:5], -1
	s_cbranch_scc0 .LBB11_934
; %bb.933:
	buffer_load_dword v4, off, s[0:3], 0 offset:64 ; 4-byte Folded Reload
	buffer_load_dword v5, off, s[0:3], 0 offset:68 ; 4-byte Folded Reload
	;; [unrolled: 1-line block ×4, first 2 shown]
	s_movk_i32 s4, 0x7fff
	s_mov_b64 s[10:11], -1
	s_waitcnt vmcnt(2)
	v_cvt_f32_f64_e32 v4, v[4:5]
	v_mov_b32_e32 v5, 0x7fc0
	s_waitcnt vmcnt(1)
	v_bfe_u32 v6, v4, 16, 1
	v_cmp_o_f32_e32 vcc, v4, v4
	v_add3_u32 v4, v4, v6, s4
	v_cndmask_b32_sdwa v4, v5, v4, vcc dst_sel:DWORD dst_unused:UNUSED_PAD src0_sel:DWORD src1_sel:WORD_1
	global_store_short v[2:3], v4, off
	s_mov_b64 s[4:5], 0
.LBB11_934:
	s_mov_b64 s[12:13], 0
.LBB11_935:
	s_and_b64 vcc, exec, s[12:13]
	s_cbranch_vccz .LBB11_937
; %bb.936:
	s_cmp_lg_u32 s17, 11
	s_mov_b64 s[8:9], -1
	s_cselect_b64 s[4:5], -1, 0
.LBB11_937:
	s_and_b64 vcc, exec, s[4:5]
	s_cbranch_vccnz .LBB11_1115
; %bb.938:
	s_andn2_b64 vcc, exec, s[8:9]
	s_cbranch_vccnz .LBB11_940
.LBB11_939:
	buffer_load_dword v4, off, s[0:3], 0 offset:64 ; 4-byte Folded Reload
	buffer_load_dword v5, off, s[0:3], 0 offset:68 ; 4-byte Folded Reload
	;; [unrolled: 1-line block ×4, first 2 shown]
	s_mov_b64 s[10:11], -1
	s_waitcnt vmcnt(2)
	v_cmp_neq_f64_e32 vcc, 0, v[4:5]
	v_cndmask_b32_e64 v4, 0, 1, vcc
	global_store_byte v[2:3], v4, off
.LBB11_940:
.LBB11_941:
	s_andn2_b64 vcc, exec, s[10:11]
	s_cbranch_vccnz .LBB11_1057
.LBB11_942:
	v_mov_b32_e32 v2, s37
	v_add_co_u32_e32 v4, vcc, s36, v9
	s_cmp_lt_i32 s16, 11
	v_addc_co_u32_e32 v5, vcc, 0, v2, vcc
	s_cbranch_scc1 .LBB11_1102
; %bb.943:
	s_and_b32 s17, 0xffff, s16
	s_mov_b64 s[10:11], -1
	s_mov_b64 s[8:9], 0
	s_cmp_gt_i32 s17, 25
	s_mov_b64 s[4:5], 0
	s_cbranch_scc0 .LBB11_976
; %bb.944:
	s_cmp_gt_i32 s17, 28
	s_cbranch_scc0 .LBB11_960
; %bb.945:
	s_cmp_gt_i32 s17, 43
	;; [unrolled: 3-line block ×3, first 2 shown]
	s_cbranch_scc0 .LBB11_950
; %bb.947:
	s_cmp_eq_u32 s17, 46
	s_mov_b64 s[4:5], -1
	s_cbranch_scc0 .LBB11_949
; %bb.948:
	v_cvt_f32_f64_e32 v2, v[0:1]
	s_movk_i32 s4, 0x7fff
	v_mov_b32_e32 v3, 0x7fc0
	s_waitcnt vmcnt(1)
	v_bfe_u32 v6, v2, 16, 1
	v_cmp_o_f32_e32 vcc, v2, v2
	v_add3_u32 v2, v2, v6, s4
	v_cndmask_b32_sdwa v2, v3, v2, vcc dst_sel:DWORD dst_unused:UNUSED_PAD src0_sel:DWORD src1_sel:WORD_1
	global_store_dword v[4:5], v2, off
	s_mov_b64 s[4:5], 0
.LBB11_949:
	s_mov_b64 s[10:11], 0
.LBB11_950:
	s_and_b64 vcc, exec, s[10:11]
	s_cbranch_vccz .LBB11_955
; %bb.951:
	s_cmp_eq_u32 s17, 44
	s_mov_b64 s[4:5], -1
	s_cbranch_scc0 .LBB11_955
; %bb.952:
	v_cvt_f32_f64_e32 v2, v[0:1]
	s_movk_i32 s4, 0xff
	s_waitcnt vmcnt(1)
	v_mov_b32_e32 v6, 0xff
	v_bfe_u32 v3, v2, 23, 8
	v_cmp_ne_u32_e32 vcc, s4, v3
	s_and_saveexec_b64 s[10:11], vcc
	s_cbranch_execz .LBB11_954
; %bb.953:
	s_mov_b32 s4, 0x3fffff
	v_lshrrev_b32_e32 v6, 23, v2
	s_waitcnt vmcnt(0)
	v_and_b32_e32 v7, 0x400000, v2
	v_and_or_b32 v2, v2, s4, v3
	v_cmp_ne_u32_e32 vcc, 0, v7
	v_cmp_ne_u32_e64 s[4:5], 0, v2
	s_and_b64 s[4:5], vcc, s[4:5]
	v_cndmask_b32_e64 v2, 0, 1, s[4:5]
	v_add_u32_e32 v6, v6, v2
.LBB11_954:
	s_or_b64 exec, exec, s[10:11]
	s_mov_b64 s[4:5], 0
	global_store_byte v[4:5], v6, off
.LBB11_955:
	s_mov_b64 s[10:11], 0
.LBB11_956:
	s_and_b64 vcc, exec, s[10:11]
	s_cbranch_vccz .LBB11_959
; %bb.957:
	s_cmp_eq_u32 s17, 29
	s_mov_b64 s[4:5], -1
	s_cbranch_scc0 .LBB11_959
; %bb.958:
	v_trunc_f64_e32 v[2:3], v[0:1]
	s_movk_i32 s4, 0xffe0
	s_waitcnt vmcnt(0)
	v_ldexp_f64 v[6:7], v[2:3], s4
	s_mov_b32 s4, 0
	s_mov_b32 s5, 0xc1f00000
	v_floor_f64_e32 v[6:7], v[6:7]
	v_fma_f64 v[2:3], v[6:7], s[4:5], v[2:3]
	v_cvt_u32_f64_e32 v7, v[6:7]
	s_mov_b64 s[4:5], 0
	v_cvt_u32_f64_e32 v6, v[2:3]
	global_store_dwordx2 v[4:5], v[6:7], off
.LBB11_959:
	s_mov_b64 s[10:11], 0
.LBB11_960:
	s_and_b64 vcc, exec, s[10:11]
	s_cbranch_vccz .LBB11_975
; %bb.961:
	s_cmp_lt_i32 s17, 27
	s_mov_b64 s[10:11], -1
	s_cbranch_scc1 .LBB11_967
; %bb.962:
	v_cvt_u32_f64_e32 v2, v[0:1]
	s_cmp_gt_i32 s17, 27
	s_cbranch_scc0 .LBB11_964
; %bb.963:
	global_store_dword v[4:5], v2, off
	s_mov_b64 s[10:11], 0
.LBB11_964:
	s_andn2_b64 vcc, exec, s[10:11]
	s_cbranch_vccnz .LBB11_966
; %bb.965:
	global_store_short v[4:5], v2, off
.LBB11_966:
	s_mov_b64 s[10:11], 0
.LBB11_967:
	s_andn2_b64 vcc, exec, s[10:11]
	s_cbranch_vccnz .LBB11_975
; %bb.968:
	v_cvt_f32_f64_e32 v2, v[0:1]
	s_mov_b32 s10, 0x43800000
	s_waitcnt vmcnt(1)
	v_mov_b32_e32 v6, 0x80
	v_and_b32_e32 v3, 0x7fffffff, v2
	v_cmp_gt_u32_e32 vcc, s10, v3
	s_and_saveexec_b64 s[10:11], vcc
	s_cbranch_execz .LBB11_974
; %bb.969:
	s_mov_b32 s12, 0x3bffffff
	v_cmp_lt_u32_e32 vcc, s12, v3
	s_mov_b64 s[12:13], 0
                                        ; implicit-def: $vgpr3
	s_and_saveexec_b64 s[14:15], vcc
	s_xor_b64 s[14:15], exec, s[14:15]
	s_cbranch_execz .LBB11_1118
; %bb.970:
	v_bfe_u32 v3, v2, 20, 1
	s_mov_b32 s18, 0x487ffff
	v_add3_u32 v3, v2, v3, s18
	s_mov_b64 s[12:13], exec
	v_lshrrev_b32_e32 v3, 20, v3
	s_andn2_saveexec_b64 s[14:15], s[14:15]
	s_cbranch_execnz .LBB11_1119
.LBB11_971:
	s_or_b64 exec, exec, s[14:15]
	v_mov_b32_e32 v6, 0
	s_and_saveexec_b64 s[14:15], s[12:13]
.LBB11_972:
	v_lshrrev_b32_e32 v2, 24, v2
	s_movk_i32 s12, 0x80
	v_and_or_b32 v6, v2, s12, v3
.LBB11_973:
	s_or_b64 exec, exec, s[14:15]
.LBB11_974:
	s_or_b64 exec, exec, s[10:11]
	global_store_byte v[4:5], v6, off
.LBB11_975:
	s_mov_b64 s[10:11], 0
.LBB11_976:
	s_and_b64 vcc, exec, s[10:11]
	s_cbranch_vccz .LBB11_1016
; %bb.977:
	s_cmp_gt_i32 s17, 22
	s_mov_b64 s[8:9], -1
	s_cbranch_scc0 .LBB11_1009
; %bb.978:
	s_cmp_lt_i32 s17, 24
	s_cbranch_scc1 .LBB11_998
; %bb.979:
	s_cmp_gt_i32 s17, 24
	s_cbranch_scc0 .LBB11_987
; %bb.980:
	v_cvt_f32_f64_e32 v2, v[0:1]
	s_mov_b32 s8, 0x47800000
	s_waitcnt vmcnt(1)
	v_mov_b32_e32 v6, 0x80
	v_and_b32_e32 v3, 0x7fffffff, v2
	v_cmp_gt_u32_e32 vcc, s8, v3
	s_and_saveexec_b64 s[8:9], vcc
	s_cbranch_execz .LBB11_986
; %bb.981:
	s_mov_b32 s10, 0x37ffffff
	v_cmp_lt_u32_e32 vcc, s10, v3
	s_mov_b64 s[10:11], 0
                                        ; implicit-def: $vgpr3
	s_and_saveexec_b64 s[12:13], vcc
	s_xor_b64 s[12:13], exec, s[12:13]
	s_cbranch_execz .LBB11_1123
; %bb.982:
	v_bfe_u32 v3, v2, 21, 1
	s_mov_b32 s14, 0x88fffff
	v_add3_u32 v3, v2, v3, s14
	s_mov_b64 s[10:11], exec
	v_lshrrev_b32_e32 v3, 21, v3
	s_andn2_saveexec_b64 s[12:13], s[12:13]
	s_cbranch_execnz .LBB11_1124
.LBB11_983:
	s_or_b64 exec, exec, s[12:13]
	v_mov_b32_e32 v6, 0
	s_and_saveexec_b64 s[12:13], s[10:11]
.LBB11_984:
	v_lshrrev_b32_e32 v2, 24, v2
	s_movk_i32 s10, 0x80
	v_and_or_b32 v6, v2, s10, v3
.LBB11_985:
	s_or_b64 exec, exec, s[12:13]
.LBB11_986:
	s_or_b64 exec, exec, s[8:9]
	s_mov_b64 s[8:9], 0
	global_store_byte v[4:5], v6, off
.LBB11_987:
	s_and_b64 vcc, exec, s[8:9]
	s_cbranch_vccz .LBB11_997
; %bb.988:
	v_cvt_f32_f64_e32 v2, v[0:1]
	s_mov_b32 s8, 0x43f00000
                                        ; implicit-def: $vgpr3
	s_waitcnt vmcnt(1)
	v_and_b32_e32 v6, 0x7fffffff, v2
	v_cmp_gt_u32_e32 vcc, s8, v6
	s_and_saveexec_b64 s[8:9], vcc
	s_xor_b64 s[8:9], exec, s[8:9]
	s_cbranch_execz .LBB11_994
; %bb.989:
	s_mov_b32 s10, 0x3c7fffff
	v_cmp_lt_u32_e32 vcc, s10, v6
                                        ; implicit-def: $vgpr3
	s_and_saveexec_b64 s[10:11], vcc
	s_xor_b64 s[10:11], exec, s[10:11]
	s_cbranch_execz .LBB11_991
; %bb.990:
	v_bfe_u32 v3, v2, 20, 1
	s_mov_b32 s12, 0x407ffff
	v_add3_u32 v3, v2, v3, s12
	v_lshrrev_b32_e32 v6, 20, v3
	v_and_b32_e32 v3, 0xff00000, v3
	s_mov_b32 s12, 0x7f00000
	s_waitcnt vmcnt(0)
	v_mov_b32_e32 v7, 0x7e
	v_cmp_ne_u32_e32 vcc, s12, v3
	v_cndmask_b32_e32 v3, v7, v6, vcc
.LBB11_991:
	s_andn2_saveexec_b64 s[10:11], s[10:11]
; %bb.992:
	s_mov_b32 s12, 0x46800000
	v_add_f32_e64 v3, |v2|, s12
; %bb.993:
	s_or_b64 exec, exec, s[10:11]
                                        ; implicit-def: $vgpr6
.LBB11_994:
	s_andn2_saveexec_b64 s[8:9], s[8:9]
	s_cbranch_execz .LBB11_996
; %bb.995:
	s_mov_b32 s10, 0x7f800000
	v_mov_b32_e32 v3, 0x7e
	s_waitcnt vmcnt(0)
	v_mov_b32_e32 v7, 0x7f
	v_cmp_lt_u32_e32 vcc, s10, v6
	v_cndmask_b32_e32 v3, v3, v7, vcc
.LBB11_996:
	s_or_b64 exec, exec, s[8:9]
	v_lshrrev_b32_e32 v2, 24, v2
	s_movk_i32 s8, 0x80
	v_and_or_b32 v2, v2, s8, v3
	global_store_byte v[4:5], v2, off
.LBB11_997:
	s_mov_b64 s[8:9], 0
.LBB11_998:
	s_andn2_b64 vcc, exec, s[8:9]
	s_cbranch_vccnz .LBB11_1008
; %bb.999:
	v_cvt_f32_f64_e32 v2, v[0:1]
	s_mov_b32 s8, 0x47800000
                                        ; implicit-def: $vgpr3
	s_waitcnt vmcnt(1)
	v_and_b32_e32 v6, 0x7fffffff, v2
	v_cmp_gt_u32_e32 vcc, s8, v6
	s_and_saveexec_b64 s[8:9], vcc
	s_xor_b64 s[8:9], exec, s[8:9]
	s_cbranch_execz .LBB11_1005
; %bb.1000:
	s_mov_b32 s10, 0x387fffff
	v_cmp_lt_u32_e32 vcc, s10, v6
                                        ; implicit-def: $vgpr3
	s_and_saveexec_b64 s[10:11], vcc
	s_xor_b64 s[10:11], exec, s[10:11]
; %bb.1001:
	v_bfe_u32 v3, v2, 21, 1
	s_mov_b32 s12, 0x80fffff
	v_add3_u32 v3, v2, v3, s12
	v_lshrrev_b32_e32 v3, 21, v3
; %bb.1002:
	s_andn2_saveexec_b64 s[10:11], s[10:11]
; %bb.1003:
	s_mov_b32 s12, 0x43000000
	v_add_f32_e64 v3, |v2|, s12
; %bb.1004:
	s_or_b64 exec, exec, s[10:11]
                                        ; implicit-def: $vgpr6
.LBB11_1005:
	s_andn2_saveexec_b64 s[8:9], s[8:9]
	s_cbranch_execz .LBB11_1007
; %bb.1006:
	s_mov_b32 s10, 0x7f800000
	v_mov_b32_e32 v3, 0x7c
	s_waitcnt vmcnt(0)
	v_mov_b32_e32 v7, 0x7f
	v_cmp_lt_u32_e32 vcc, s10, v6
	v_cndmask_b32_e32 v3, v3, v7, vcc
.LBB11_1007:
	s_or_b64 exec, exec, s[8:9]
	v_lshrrev_b32_e32 v2, 24, v2
	s_movk_i32 s8, 0x80
	v_and_or_b32 v2, v2, s8, v3
	global_store_byte v[4:5], v2, off
.LBB11_1008:
	s_mov_b64 s[8:9], 0
.LBB11_1009:
	s_andn2_b64 vcc, exec, s[8:9]
	s_mov_b64 s[8:9], 0
	s_cbranch_vccnz .LBB11_1016
; %bb.1010:
	s_cmp_gt_i32 s17, 14
	s_mov_b64 s[10:11], -1
	s_cbranch_scc0 .LBB11_1014
; %bb.1011:
	s_cmp_eq_u32 s17, 15
	s_mov_b64 s[4:5], -1
	s_cbranch_scc0 .LBB11_1013
; %bb.1012:
	v_cvt_f32_f64_e32 v2, v[0:1]
	s_movk_i32 s4, 0x7fff
	v_mov_b32_e32 v3, 0x7fc0
	s_waitcnt vmcnt(1)
	v_bfe_u32 v6, v2, 16, 1
	v_cmp_o_f32_e32 vcc, v2, v2
	v_add3_u32 v2, v2, v6, s4
	v_cndmask_b32_sdwa v2, v3, v2, vcc dst_sel:DWORD dst_unused:UNUSED_PAD src0_sel:DWORD src1_sel:WORD_1
	global_store_short v[4:5], v2, off
	s_mov_b64 s[4:5], 0
.LBB11_1013:
	s_mov_b64 s[10:11], 0
.LBB11_1014:
	s_and_b64 vcc, exec, s[10:11]
	s_cbranch_vccz .LBB11_1016
; %bb.1015:
	s_cmp_lg_u32 s17, 11
	s_mov_b64 s[8:9], -1
	s_cselect_b64 s[4:5], -1, 0
.LBB11_1016:
	s_and_b64 vcc, exec, s[4:5]
	s_cbranch_vccnz .LBB11_1120
.LBB11_1017:
	s_mov_b64 s[4:5], 0
	s_branch .LBB11_1058
.LBB11_1018:
	s_mov_b64 s[10:11], 0
	s_cbranch_execz .LBB11_941
; %bb.1019:
	s_and_b32 s8, 0xffff, s16
	s_cmp_lt_i32 s8, 5
	s_mov_b64 s[4:5], -1
	s_cbranch_scc1 .LBB11_1040
; %bb.1020:
	s_cmp_lt_i32 s8, 8
	s_cbranch_scc1 .LBB11_1030
; %bb.1021:
	s_cmp_lt_i32 s8, 9
	s_cbranch_scc1 .LBB11_1027
; %bb.1022:
	s_cmp_gt_i32 s8, 9
	s_cbranch_scc0 .LBB11_1024
; %bb.1023:
	buffer_load_dword v4, off, s[0:3], 0 offset:64 ; 4-byte Folded Reload
	buffer_load_dword v5, off, s[0:3], 0 offset:68 ; 4-byte Folded Reload
	;; [unrolled: 1-line block ×4, first 2 shown]
	v_mov_b32_e32 v12, 0
	s_waitcnt vmcnt(7)
	v_mov_b32_e32 v13, v12
	s_mov_b64 s[4:5], 0
	s_waitcnt vmcnt(2)
	v_mov_b32_e32 v11, v5
	v_mov_b32_e32 v10, v4
	buffer_store_dword v4, off, s[0:3], 0 offset:64 ; 4-byte Folded Spill
	s_nop 0
	buffer_store_dword v5, off, s[0:3], 0 offset:68 ; 4-byte Folded Spill
	s_waitcnt vmcnt(3)
	buffer_store_dword v6, off, s[0:3], 0 offset:72 ; 4-byte Folded Spill
	s_waitcnt vmcnt(3)
	buffer_store_dword v7, off, s[0:3], 0 offset:76 ; 4-byte Folded Spill
	global_store_dwordx4 v[2:3], v[10:13], off
.LBB11_1024:
	s_andn2_b64 vcc, exec, s[4:5]
	s_cbranch_vccnz .LBB11_1026
; %bb.1025:
	buffer_load_dword v4, off, s[0:3], 0 offset:64 ; 4-byte Folded Reload
	buffer_load_dword v5, off, s[0:3], 0 offset:68 ; 4-byte Folded Reload
	;; [unrolled: 1-line block ×4, first 2 shown]
	s_waitcnt vmcnt(2)
	v_cvt_f32_f64_e32 v4, v[4:5]
	v_mov_b32_e32 v5, 0
	global_store_dwordx2 v[2:3], v[4:5], off
.LBB11_1026:
	s_mov_b64 s[4:5], 0
.LBB11_1027:
	s_andn2_b64 vcc, exec, s[4:5]
	s_cbranch_vccnz .LBB11_1029
; %bb.1028:
	buffer_load_dword v4, off, s[0:3], 0 offset:64 ; 4-byte Folded Reload
	buffer_load_dword v5, off, s[0:3], 0 offset:68 ; 4-byte Folded Reload
	;; [unrolled: 1-line block ×4, first 2 shown]
	s_movk_i32 s4, 0x1ff
	s_waitcnt vmcnt(2)
	v_mov_b32_e32 v11, v5
	v_mov_b32_e32 v10, v4
	v_and_or_b32 v4, v11, s4, v10
	v_cmp_ne_u32_e32 vcc, 0, v4
	v_cndmask_b32_e64 v4, 0, 1, vcc
	v_lshrrev_b32_e32 v5, 8, v11
	s_movk_i32 s4, 0xffe
	s_waitcnt vmcnt(1)
	v_bfe_u32 v6, v11, 20, 11
	v_and_or_b32 v4, v5, s4, v4
	s_waitcnt vmcnt(0)
	v_sub_u32_e32 v7, 0x3f1, v6
	v_or_b32_e32 v5, 0x1000, v4
	v_med3_i32 v7, v7, 0, 13
	v_lshrrev_b32_e32 v8, v7, v5
	v_lshlrev_b32_e32 v7, v7, v8
	v_cmp_ne_u32_e32 vcc, v7, v5
	v_cndmask_b32_e64 v5, 0, 1, vcc
	v_add_u32_e32 v6, 0xfffffc10, v6
	v_or_b32_e32 v5, v8, v5
	v_lshl_or_b32 v7, v6, 12, v4
	v_cmp_gt_i32_e32 vcc, 1, v6
	v_cndmask_b32_e32 v5, v7, v5, vcc
	v_and_b32_e32 v7, 7, v5
	v_cmp_lt_i32_e32 vcc, 5, v7
	v_cndmask_b32_e64 v8, 0, 1, vcc
	v_cmp_eq_u32_e32 vcc, 3, v7
	v_cndmask_b32_e64 v7, 0, 1, vcc
	v_or_b32_e32 v7, v7, v8
	v_lshrrev_b32_e32 v5, 2, v5
	v_add_u32_e32 v5, v5, v7
	v_mov_b32_e32 v7, 0x7c00
	v_cmp_gt_i32_e32 vcc, 31, v6
	v_cndmask_b32_e32 v5, v7, v5, vcc
	v_mov_b32_e32 v8, 0x7e00
	v_cmp_ne_u32_e32 vcc, 0, v4
	s_movk_i32 s4, 0x40f
	v_cndmask_b32_e32 v4, v7, v8, vcc
	v_cmp_eq_u32_e32 vcc, s4, v6
	v_cndmask_b32_e32 v4, v5, v4, vcc
	v_lshrrev_b32_e32 v5, 16, v11
	s_mov_b32 s4, 0x8000
	v_and_or_b32 v4, v5, s4, v4
	v_and_b32_e32 v4, 0xffff, v4
	global_store_dword v[2:3], v4, off
.LBB11_1029:
	s_mov_b64 s[4:5], 0
.LBB11_1030:
	s_andn2_b64 vcc, exec, s[4:5]
	s_cbranch_vccnz .LBB11_1039
; %bb.1031:
	s_cmp_lt_i32 s8, 6
	s_mov_b64 s[4:5], -1
	s_cbranch_scc1 .LBB11_1037
; %bb.1032:
	s_cmp_gt_i32 s8, 6
	s_cbranch_scc0 .LBB11_1034
; %bb.1033:
	buffer_load_dword v4, off, s[0:3], 0 offset:64 ; 4-byte Folded Reload
	buffer_load_dword v5, off, s[0:3], 0 offset:68 ; 4-byte Folded Reload
	;; [unrolled: 1-line block ×4, first 2 shown]
	s_mov_b64 s[4:5], 0
	s_waitcnt vmcnt(2)
	global_store_dwordx2 v[2:3], v[4:5], off
.LBB11_1034:
	s_andn2_b64 vcc, exec, s[4:5]
	s_cbranch_vccnz .LBB11_1036
; %bb.1035:
	buffer_load_dword v4, off, s[0:3], 0 offset:64 ; 4-byte Folded Reload
	buffer_load_dword v5, off, s[0:3], 0 offset:68 ; 4-byte Folded Reload
	;; [unrolled: 1-line block ×4, first 2 shown]
	s_waitcnt vmcnt(2)
	v_cvt_f32_f64_e32 v4, v[4:5]
	global_store_dword v[2:3], v4, off
.LBB11_1036:
	s_mov_b64 s[4:5], 0
.LBB11_1037:
	s_andn2_b64 vcc, exec, s[4:5]
	s_cbranch_vccnz .LBB11_1039
; %bb.1038:
	buffer_load_dword v4, off, s[0:3], 0 offset:64 ; 4-byte Folded Reload
	buffer_load_dword v5, off, s[0:3], 0 offset:68 ; 4-byte Folded Reload
	;; [unrolled: 1-line block ×4, first 2 shown]
	s_movk_i32 s4, 0x1ff
	s_waitcnt vmcnt(2)
	v_mov_b32_e32 v11, v5
	v_mov_b32_e32 v10, v4
	v_and_or_b32 v4, v11, s4, v10
	v_cmp_ne_u32_e32 vcc, 0, v4
	v_cndmask_b32_e64 v4, 0, 1, vcc
	v_lshrrev_b32_e32 v5, 8, v11
	s_movk_i32 s4, 0xffe
	s_waitcnt vmcnt(1)
	v_bfe_u32 v6, v11, 20, 11
	v_and_or_b32 v4, v5, s4, v4
	s_waitcnt vmcnt(0)
	v_sub_u32_e32 v7, 0x3f1, v6
	v_or_b32_e32 v5, 0x1000, v4
	v_med3_i32 v7, v7, 0, 13
	v_lshrrev_b32_e32 v8, v7, v5
	v_lshlrev_b32_e32 v7, v7, v8
	v_cmp_ne_u32_e32 vcc, v7, v5
	v_cndmask_b32_e64 v5, 0, 1, vcc
	v_add_u32_e32 v6, 0xfffffc10, v6
	v_or_b32_e32 v5, v8, v5
	v_lshl_or_b32 v7, v6, 12, v4
	v_cmp_gt_i32_e32 vcc, 1, v6
	v_cndmask_b32_e32 v5, v7, v5, vcc
	v_and_b32_e32 v7, 7, v5
	v_cmp_lt_i32_e32 vcc, 5, v7
	v_cndmask_b32_e64 v8, 0, 1, vcc
	v_cmp_eq_u32_e32 vcc, 3, v7
	v_cndmask_b32_e64 v7, 0, 1, vcc
	v_or_b32_e32 v7, v7, v8
	v_lshrrev_b32_e32 v5, 2, v5
	v_add_u32_e32 v5, v5, v7
	v_mov_b32_e32 v7, 0x7c00
	v_cmp_gt_i32_e32 vcc, 31, v6
	v_cndmask_b32_e32 v5, v7, v5, vcc
	v_mov_b32_e32 v8, 0x7e00
	v_cmp_ne_u32_e32 vcc, 0, v4
	s_movk_i32 s4, 0x40f
	v_cndmask_b32_e32 v4, v7, v8, vcc
	v_cmp_eq_u32_e32 vcc, s4, v6
	v_cndmask_b32_e32 v4, v5, v4, vcc
	v_lshrrev_b32_e32 v5, 16, v11
	s_mov_b32 s4, 0x8000
	v_and_or_b32 v4, v5, s4, v4
	global_store_short v[2:3], v4, off
.LBB11_1039:
	s_mov_b64 s[4:5], 0
.LBB11_1040:
	s_andn2_b64 vcc, exec, s[4:5]
	s_cbranch_vccnz .LBB11_1056
; %bb.1041:
	s_cmp_lt_i32 s8, 2
	s_mov_b64 s[4:5], -1
	s_cbranch_scc1 .LBB11_1051
; %bb.1042:
	s_cmp_lt_i32 s8, 3
	s_cbranch_scc1 .LBB11_1048
; %bb.1043:
	s_cmp_gt_i32 s8, 3
	s_cbranch_scc0 .LBB11_1045
; %bb.1044:
	buffer_load_dword v4, off, s[0:3], 0 offset:64 ; 4-byte Folded Reload
	buffer_load_dword v5, off, s[0:3], 0 offset:68 ; 4-byte Folded Reload
	;; [unrolled: 1-line block ×4, first 2 shown]
	s_movk_i32 s4, 0xffe0
	s_waitcnt vmcnt(2)
	v_trunc_f64_e32 v[4:5], v[4:5]
	s_waitcnt vmcnt(0)
	v_ldexp_f64 v[6:7], v[4:5], s4
	s_mov_b32 s4, 0
	s_mov_b32 s5, 0xc1f00000
	v_floor_f64_e32 v[6:7], v[6:7]
	v_fma_f64 v[4:5], v[6:7], s[4:5], v[4:5]
	v_cvt_i32_f64_e32 v6, v[6:7]
	s_mov_b64 s[4:5], 0
	v_cvt_u32_f64_e32 v5, v[4:5]
	global_store_dwordx2 v[2:3], v[5:6], off
.LBB11_1045:
	s_andn2_b64 vcc, exec, s[4:5]
	s_cbranch_vccnz .LBB11_1047
; %bb.1046:
	buffer_load_dword v4, off, s[0:3], 0 offset:64 ; 4-byte Folded Reload
	buffer_load_dword v5, off, s[0:3], 0 offset:68 ; 4-byte Folded Reload
	;; [unrolled: 1-line block ×4, first 2 shown]
	s_waitcnt vmcnt(2)
	v_cvt_i32_f64_e32 v4, v[4:5]
	global_store_dword v[2:3], v4, off
.LBB11_1047:
	s_mov_b64 s[4:5], 0
.LBB11_1048:
	s_andn2_b64 vcc, exec, s[4:5]
	s_cbranch_vccnz .LBB11_1050
; %bb.1049:
	buffer_load_dword v4, off, s[0:3], 0 offset:64 ; 4-byte Folded Reload
	buffer_load_dword v5, off, s[0:3], 0 offset:68 ; 4-byte Folded Reload
	;; [unrolled: 1-line block ×4, first 2 shown]
	s_waitcnt vmcnt(2)
	v_cvt_i32_f64_e32 v4, v[4:5]
	global_store_short v[2:3], v4, off
.LBB11_1050:
	s_mov_b64 s[4:5], 0
.LBB11_1051:
	s_andn2_b64 vcc, exec, s[4:5]
	s_cbranch_vccnz .LBB11_1056
; %bb.1052:
	s_cmp_gt_i32 s8, 0
	s_mov_b64 s[4:5], -1
	s_cbranch_scc0 .LBB11_1054
; %bb.1053:
	buffer_load_dword v4, off, s[0:3], 0 offset:64 ; 4-byte Folded Reload
	buffer_load_dword v5, off, s[0:3], 0 offset:68 ; 4-byte Folded Reload
	;; [unrolled: 1-line block ×4, first 2 shown]
	s_mov_b64 s[4:5], 0
	s_waitcnt vmcnt(2)
	v_cvt_i32_f64_e32 v4, v[4:5]
	global_store_byte v[2:3], v4, off
.LBB11_1054:
	s_andn2_b64 vcc, exec, s[4:5]
	s_cbranch_vccnz .LBB11_1056
; %bb.1055:
	buffer_load_dword v4, off, s[0:3], 0 offset:64 ; 4-byte Folded Reload
	buffer_load_dword v5, off, s[0:3], 0 offset:68 ; 4-byte Folded Reload
	;; [unrolled: 1-line block ×4, first 2 shown]
	s_movk_i32 s4, 0xffe0
	s_waitcnt vmcnt(2)
	v_trunc_f64_e32 v[4:5], v[4:5]
	s_waitcnt vmcnt(0)
	v_ldexp_f64 v[6:7], v[4:5], s4
	s_mov_b32 s4, 0
	s_mov_b32 s5, 0xc1f00000
	v_floor_f64_e32 v[6:7], v[6:7]
	v_fma_f64 v[4:5], v[6:7], s[4:5], v[4:5]
	v_cvt_u32_f64_e32 v4, v[4:5]
	global_store_byte v[2:3], v4, off
.LBB11_1056:
	s_branch .LBB11_942
.LBB11_1057:
	s_mov_b64 s[4:5], 0
	s_mov_b64 s[8:9], 0
                                        ; implicit-def: $sgpr16
                                        ; implicit-def: $vgpr4_vgpr5
.LBB11_1058:
	s_and_b64 s[56:57], s[8:9], exec
	s_andn2_b64 s[8:9], s[48:49], exec
	s_and_b64 s[6:7], s[6:7], exec
	s_and_b64 s[4:5], s[4:5], exec
	s_or_b64 s[48:49], s[8:9], s[6:7]
.LBB11_1059:
	s_or_b64 exec, exec, s[50:51]
	s_and_saveexec_b64 s[6:7], s[48:49]
	s_cbranch_execz .LBB11_1062
; %bb.1060:
	; divergent unreachable
	s_or_b64 exec, exec, s[6:7]
	s_and_saveexec_b64 s[6:7], s[56:57]
	s_xor_b64 s[6:7], exec, s[6:7]
	s_cbranch_execnz .LBB11_1063
.LBB11_1061:
	s_or_b64 exec, exec, s[6:7]
	s_and_saveexec_b64 s[6:7], s[4:5]
	s_cbranch_execnz .LBB11_1064
	s_branch .LBB11_1101
.LBB11_1062:
	s_or_b64 exec, exec, s[6:7]
	s_and_saveexec_b64 s[6:7], s[56:57]
	s_xor_b64 s[6:7], exec, s[6:7]
	s_cbranch_execz .LBB11_1061
.LBB11_1063:
	v_cmp_neq_f64_e32 vcc, 0, v[0:1]
	v_cndmask_b32_e64 v2, 0, 1, vcc
	s_waitcnt vmcnt(10)
	global_store_byte v[4:5], v2, off
	s_or_b64 exec, exec, s[6:7]
	s_and_saveexec_b64 s[6:7], s[4:5]
	s_cbranch_execz .LBB11_1101
.LBB11_1064:
	s_sext_i32_i16 s6, s16
	s_cmp_lt_i32 s6, 5
	s_mov_b64 s[4:5], -1
	s_cbranch_scc1 .LBB11_1085
; %bb.1065:
	s_cmp_lt_i32 s6, 8
	s_cbranch_scc1 .LBB11_1075
; %bb.1066:
	s_cmp_lt_i32 s6, 9
	s_cbranch_scc1 .LBB11_1072
; %bb.1067:
	s_cmp_gt_i32 s6, 9
	s_cbranch_scc0 .LBB11_1069
; %bb.1068:
	v_mov_b32_e32 v2, 0
	v_mov_b32_e32 v3, v2
	s_waitcnt vmcnt(10)
	global_store_dwordx4 v[4:5], v[0:3], off
	s_mov_b64 s[4:5], 0
.LBB11_1069:
	s_andn2_b64 vcc, exec, s[4:5]
	s_cbranch_vccnz .LBB11_1071
; %bb.1070:
	v_cvt_f32_f64_e32 v2, v[0:1]
	v_mov_b32_e32 v3, 0
	s_waitcnt vmcnt(10)
	global_store_dwordx2 v[4:5], v[2:3], off
.LBB11_1071:
	s_mov_b64 s[4:5], 0
.LBB11_1072:
	s_andn2_b64 vcc, exec, s[4:5]
	s_cbranch_vccnz .LBB11_1074
; %bb.1073:
	s_movk_i32 s4, 0x1ff
	v_and_or_b32 v2, v1, s4, v0
	v_cmp_ne_u32_e32 vcc, 0, v2
	v_cndmask_b32_e64 v2, 0, 1, vcc
	v_lshrrev_b32_e32 v3, 8, v1
	s_movk_i32 s4, 0xffe
	s_waitcnt vmcnt(1)
	v_bfe_u32 v6, v1, 20, 11
	v_and_or_b32 v2, v3, s4, v2
	s_waitcnt vmcnt(0)
	v_sub_u32_e32 v7, 0x3f1, v6
	v_or_b32_e32 v3, 0x1000, v2
	v_med3_i32 v7, v7, 0, 13
	v_lshrrev_b32_e32 v8, v7, v3
	v_lshlrev_b32_e32 v7, v7, v8
	v_cmp_ne_u32_e32 vcc, v7, v3
	v_cndmask_b32_e64 v3, 0, 1, vcc
	v_add_u32_e32 v6, 0xfffffc10, v6
	v_or_b32_e32 v3, v8, v3
	v_lshl_or_b32 v7, v6, 12, v2
	v_cmp_gt_i32_e32 vcc, 1, v6
	v_cndmask_b32_e32 v3, v7, v3, vcc
	v_and_b32_e32 v7, 7, v3
	v_cmp_lt_i32_e32 vcc, 5, v7
	v_cndmask_b32_e64 v8, 0, 1, vcc
	v_cmp_eq_u32_e32 vcc, 3, v7
	v_cndmask_b32_e64 v7, 0, 1, vcc
	v_or_b32_e32 v7, v7, v8
	v_lshrrev_b32_e32 v3, 2, v3
	v_add_u32_e32 v3, v3, v7
	v_mov_b32_e32 v7, 0x7c00
	v_cmp_gt_i32_e32 vcc, 31, v6
	v_cndmask_b32_e32 v3, v7, v3, vcc
	v_mov_b32_e32 v8, 0x7e00
	v_cmp_ne_u32_e32 vcc, 0, v2
	s_movk_i32 s4, 0x40f
	v_cndmask_b32_e32 v2, v7, v8, vcc
	v_cmp_eq_u32_e32 vcc, s4, v6
	v_cndmask_b32_e32 v2, v3, v2, vcc
	v_lshrrev_b32_e32 v3, 16, v1
	s_mov_b32 s4, 0x8000
	v_and_or_b32 v2, v3, s4, v2
	v_and_b32_e32 v2, 0xffff, v2
	global_store_dword v[4:5], v2, off
.LBB11_1074:
	s_mov_b64 s[4:5], 0
.LBB11_1075:
	s_andn2_b64 vcc, exec, s[4:5]
	s_cbranch_vccnz .LBB11_1084
; %bb.1076:
	s_sext_i32_i16 s6, s16
	s_cmp_lt_i32 s6, 6
	s_mov_b64 s[4:5], -1
	s_cbranch_scc1 .LBB11_1082
; %bb.1077:
	s_cmp_gt_i32 s6, 6
	s_cbranch_scc0 .LBB11_1079
; %bb.1078:
	s_waitcnt vmcnt(10)
	global_store_dwordx2 v[4:5], v[0:1], off
	s_mov_b64 s[4:5], 0
.LBB11_1079:
	s_andn2_b64 vcc, exec, s[4:5]
	s_cbranch_vccnz .LBB11_1081
; %bb.1080:
	v_cvt_f32_f64_e32 v2, v[0:1]
	s_waitcnt vmcnt(10)
	global_store_dword v[4:5], v2, off
.LBB11_1081:
	s_mov_b64 s[4:5], 0
.LBB11_1082:
	s_andn2_b64 vcc, exec, s[4:5]
	s_cbranch_vccnz .LBB11_1084
; %bb.1083:
	s_movk_i32 s4, 0x1ff
	v_and_or_b32 v2, v1, s4, v0
	v_cmp_ne_u32_e32 vcc, 0, v2
	v_cndmask_b32_e64 v2, 0, 1, vcc
	v_lshrrev_b32_e32 v3, 8, v1
	s_movk_i32 s4, 0xffe
	s_waitcnt vmcnt(1)
	v_bfe_u32 v6, v1, 20, 11
	v_and_or_b32 v2, v3, s4, v2
	s_waitcnt vmcnt(0)
	v_sub_u32_e32 v7, 0x3f1, v6
	v_or_b32_e32 v3, 0x1000, v2
	v_med3_i32 v7, v7, 0, 13
	v_lshrrev_b32_e32 v8, v7, v3
	v_lshlrev_b32_e32 v7, v7, v8
	v_cmp_ne_u32_e32 vcc, v7, v3
	v_cndmask_b32_e64 v3, 0, 1, vcc
	v_add_u32_e32 v6, 0xfffffc10, v6
	v_or_b32_e32 v3, v8, v3
	v_lshl_or_b32 v7, v6, 12, v2
	v_cmp_gt_i32_e32 vcc, 1, v6
	v_cndmask_b32_e32 v3, v7, v3, vcc
	v_and_b32_e32 v7, 7, v3
	v_cmp_lt_i32_e32 vcc, 5, v7
	v_cndmask_b32_e64 v8, 0, 1, vcc
	v_cmp_eq_u32_e32 vcc, 3, v7
	v_cndmask_b32_e64 v7, 0, 1, vcc
	v_or_b32_e32 v7, v7, v8
	v_lshrrev_b32_e32 v3, 2, v3
	v_add_u32_e32 v3, v3, v7
	v_mov_b32_e32 v7, 0x7c00
	v_cmp_gt_i32_e32 vcc, 31, v6
	v_cndmask_b32_e32 v3, v7, v3, vcc
	v_mov_b32_e32 v8, 0x7e00
	v_cmp_ne_u32_e32 vcc, 0, v2
	s_movk_i32 s4, 0x40f
	v_cndmask_b32_e32 v2, v7, v8, vcc
	v_cmp_eq_u32_e32 vcc, s4, v6
	v_cndmask_b32_e32 v2, v3, v2, vcc
	v_lshrrev_b32_e32 v3, 16, v1
	s_mov_b32 s4, 0x8000
	v_and_or_b32 v2, v3, s4, v2
	global_store_short v[4:5], v2, off
.LBB11_1084:
	s_mov_b64 s[4:5], 0
.LBB11_1085:
	s_andn2_b64 vcc, exec, s[4:5]
	s_cbranch_vccnz .LBB11_1101
; %bb.1086:
	s_sext_i32_i16 s6, s16
	s_cmp_lt_i32 s6, 2
	s_mov_b64 s[4:5], -1
	s_cbranch_scc1 .LBB11_1096
; %bb.1087:
	s_cmp_lt_i32 s6, 3
	s_cbranch_scc1 .LBB11_1093
; %bb.1088:
	s_cmp_gt_i32 s6, 3
	s_cbranch_scc0 .LBB11_1090
; %bb.1089:
	v_trunc_f64_e32 v[2:3], v[0:1]
	s_movk_i32 s4, 0xffe0
	s_waitcnt vmcnt(0)
	v_ldexp_f64 v[6:7], v[2:3], s4
	s_mov_b32 s4, 0
	s_mov_b32 s5, 0xc1f00000
	v_floor_f64_e32 v[6:7], v[6:7]
	v_fma_f64 v[2:3], v[6:7], s[4:5], v[2:3]
	v_cvt_i32_f64_e32 v7, v[6:7]
	s_mov_b64 s[4:5], 0
	v_cvt_u32_f64_e32 v6, v[2:3]
	global_store_dwordx2 v[4:5], v[6:7], off
.LBB11_1090:
	s_andn2_b64 vcc, exec, s[4:5]
	s_cbranch_vccnz .LBB11_1092
; %bb.1091:
	v_cvt_i32_f64_e32 v2, v[0:1]
	s_waitcnt vmcnt(10)
	global_store_dword v[4:5], v2, off
.LBB11_1092:
	s_mov_b64 s[4:5], 0
.LBB11_1093:
	s_andn2_b64 vcc, exec, s[4:5]
	s_cbranch_vccnz .LBB11_1095
; %bb.1094:
	v_cvt_i32_f64_e32 v2, v[0:1]
	s_waitcnt vmcnt(10)
	global_store_short v[4:5], v2, off
.LBB11_1095:
	s_mov_b64 s[4:5], 0
.LBB11_1096:
	s_andn2_b64 vcc, exec, s[4:5]
	s_cbranch_vccnz .LBB11_1101
; %bb.1097:
	s_sext_i32_i16 s4, s16
	s_cmp_gt_i32 s4, 0
	s_mov_b64 s[4:5], -1
	s_cbranch_scc0 .LBB11_1099
; %bb.1098:
	v_cvt_i32_f64_e32 v2, v[0:1]
	s_mov_b64 s[4:5], 0
	s_waitcnt vmcnt(10)
	global_store_byte v[4:5], v2, off
.LBB11_1099:
	s_andn2_b64 vcc, exec, s[4:5]
	s_cbranch_vccnz .LBB11_1101
; %bb.1100:
	v_trunc_f64_e32 v[0:1], v[0:1]
	s_movk_i32 s4, 0xffe0
	v_ldexp_f64 v[2:3], v[0:1], s4
	s_mov_b32 s4, 0
	s_mov_b32 s5, 0xc1f00000
	v_floor_f64_e32 v[2:3], v[2:3]
	v_fma_f64 v[0:1], v[2:3], s[4:5], v[0:1]
	v_cvt_u32_f64_e32 v0, v[0:1]
	s_waitcnt vmcnt(10)
	global_store_byte v[4:5], v0, off
	s_endpgm
.LBB11_1101:
	s_endpgm
.LBB11_1102:
	s_mov_b64 s[8:9], 0
	s_mov_b64 s[4:5], -1
	s_branch .LBB11_1058
.LBB11_1103:
	s_andn2_saveexec_b64 s[12:13], s[12:13]
	s_cbranch_execz .LBB11_655
.LBB11_1104:
	s_mov_b32 s16, 0x46000000
	v_add_f32_e64 v5, |v4|, s16
	v_and_b32_e32 v5, 0xff, v5
	v_cmp_ne_u32_e32 vcc, 0, v5
	s_andn2_b64 s[10:11], s[10:11], exec
	s_and_b64 s[16:17], vcc, exec
	s_or_b64 s[10:11], s[10:11], s[16:17]
	s_or_b64 exec, exec, s[12:13]
	v_mov_b32_e32 v6, 0
	s_and_saveexec_b64 s[12:13], s[10:11]
	s_cbranch_execnz .LBB11_656
	s_branch .LBB11_657
.LBB11_1105:
	s_or_b64 s[6:7], s[48:49], exec
	s_trap 2
	s_cbranch_execz .LBB11_703
	s_branch .LBB11_704
.LBB11_1106:
	s_andn2_saveexec_b64 s[10:11], s[10:11]
	s_cbranch_execz .LBB11_668
.LBB11_1107:
	s_mov_b32 s12, 0x42800000
	v_add_f32_e64 v5, |v4|, s12
	v_and_b32_e32 v5, 0xff, v5
	v_cmp_ne_u32_e32 vcc, 0, v5
	s_andn2_b64 s[8:9], s[8:9], exec
	s_and_b64 s[12:13], vcc, exec
	s_or_b64 s[8:9], s[8:9], s[12:13]
	s_or_b64 exec, exec, s[10:11]
	v_mov_b32_e32 v6, 0
	s_and_saveexec_b64 s[10:11], s[8:9]
	s_cbranch_execnz .LBB11_669
	s_branch .LBB11_670
.LBB11_1108:
	s_andn2_saveexec_b64 s[14:15], s[14:15]
	s_cbranch_execz .LBB11_773
.LBB11_1109:
	s_mov_b32 s18, 0x46000000
	v_add_f32_e64 v5, |v4|, s18
	v_and_b32_e32 v5, 0xff, v5
	v_cmp_ne_u32_e32 vcc, 0, v5
	s_andn2_b64 s[12:13], s[12:13], exec
	s_and_b64 s[18:19], vcc, exec
	s_or_b64 s[12:13], s[12:13], s[18:19]
	s_or_b64 exec, exec, s[14:15]
	v_mov_b32_e32 v6, 0
	s_and_saveexec_b64 s[14:15], s[12:13]
	s_cbranch_execnz .LBB11_774
	s_branch .LBB11_775
.LBB11_1110:
	s_trap 2
	s_or_b64 s[6:7], s[6:7], exec
	s_cbranch_execz .LBB11_821
	s_branch .LBB11_822
.LBB11_1111:
	s_andn2_saveexec_b64 s[12:13], s[12:13]
	s_cbranch_execz .LBB11_786
.LBB11_1112:
	s_mov_b32 s14, 0x42800000
	v_add_f32_e64 v5, |v4|, s14
	v_and_b32_e32 v5, 0xff, v5
	v_cmp_ne_u32_e32 vcc, 0, v5
	s_andn2_b64 s[10:11], s[10:11], exec
	s_and_b64 s[14:15], vcc, exec
	s_or_b64 s[10:11], s[10:11], s[14:15]
	s_or_b64 exec, exec, s[12:13]
	v_mov_b32_e32 v6, 0
	s_and_saveexec_b64 s[12:13], s[10:11]
	s_cbranch_execnz .LBB11_787
	s_branch .LBB11_788
.LBB11_1113:
	s_andn2_saveexec_b64 s[14:15], s[14:15]
	s_cbranch_execz .LBB11_891
.LBB11_1114:
	s_mov_b32 s18, 0x46000000
	v_add_f32_e64 v5, |v4|, s18
	v_and_b32_e32 v5, 0xff, v5
	v_cmp_ne_u32_e32 vcc, 0, v5
	s_andn2_b64 s[12:13], s[12:13], exec
	s_and_b64 s[18:19], vcc, exec
	s_or_b64 s[12:13], s[12:13], s[18:19]
	s_or_b64 exec, exec, s[14:15]
	v_mov_b32_e32 v6, 0
	s_and_saveexec_b64 s[14:15], s[12:13]
	s_cbranch_execnz .LBB11_892
	s_branch .LBB11_893
.LBB11_1115:
	s_trap 2
	s_or_b64 s[6:7], s[6:7], exec
	s_cbranch_execz .LBB11_939
	s_branch .LBB11_940
.LBB11_1116:
	s_andn2_saveexec_b64 s[12:13], s[12:13]
	s_cbranch_execz .LBB11_904
.LBB11_1117:
	s_mov_b32 s14, 0x42800000
	v_add_f32_e64 v5, |v4|, s14
	v_and_b32_e32 v5, 0xff, v5
	v_cmp_ne_u32_e32 vcc, 0, v5
	s_andn2_b64 s[10:11], s[10:11], exec
	s_and_b64 s[14:15], vcc, exec
	s_or_b64 s[10:11], s[10:11], s[14:15]
	s_or_b64 exec, exec, s[12:13]
	v_mov_b32_e32 v6, 0
	s_and_saveexec_b64 s[12:13], s[10:11]
	s_cbranch_execnz .LBB11_905
	s_branch .LBB11_906
.LBB11_1118:
	s_andn2_saveexec_b64 s[14:15], s[14:15]
	s_cbranch_execz .LBB11_971
.LBB11_1119:
	s_mov_b32 s18, 0x46000000
	v_add_f32_e64 v3, |v2|, s18
	v_and_b32_e32 v3, 0xff, v3
	v_cmp_ne_u32_e32 vcc, 0, v3
	s_andn2_b64 s[12:13], s[12:13], exec
	s_and_b64 s[18:19], vcc, exec
	s_or_b64 s[12:13], s[12:13], s[18:19]
	s_or_b64 exec, exec, s[14:15]
	v_mov_b32_e32 v6, 0
	s_and_saveexec_b64 s[14:15], s[12:13]
	s_cbranch_execnz .LBB11_972
	s_branch .LBB11_973
.LBB11_1120:
	s_mov_b64 s[8:9], 0
	s_or_b64 s[6:7], s[6:7], exec
	s_trap 2
	s_branch .LBB11_1017
.LBB11_1121:
	s_andn2_saveexec_b64 s[10:11], s[10:11]
	s_cbranch_execz .LBB11_480
.LBB11_1122:
	s_mov_b32 s12, 0x46000000
	v_add_f32_e64 v3, |v2|, s12
	v_and_b32_e32 v3, 0xff, v3
	v_cmp_ne_u32_e32 vcc, 0, v3
	s_andn2_b64 s[8:9], s[8:9], exec
	s_and_b64 s[12:13], vcc, exec
	s_or_b64 s[8:9], s[8:9], s[12:13]
	s_or_b64 exec, exec, s[10:11]
	v_mov_b32_e32 v6, 0
	s_and_saveexec_b64 s[10:11], s[8:9]
	s_cbranch_execnz .LBB11_481
	s_branch .LBB11_482
.LBB11_1123:
	s_andn2_saveexec_b64 s[12:13], s[12:13]
	s_cbranch_execz .LBB11_983
.LBB11_1124:
	s_mov_b32 s14, 0x42800000
	v_add_f32_e64 v3, |v2|, s14
	v_and_b32_e32 v3, 0xff, v3
	v_cmp_ne_u32_e32 vcc, 0, v3
	s_andn2_b64 s[10:11], s[10:11], exec
	s_and_b64 s[14:15], vcc, exec
	s_or_b64 s[10:11], s[10:11], s[14:15]
	s_or_b64 exec, exec, s[12:13]
	v_mov_b32_e32 v6, 0
	s_and_saveexec_b64 s[12:13], s[10:11]
	s_cbranch_execnz .LBB11_984
	s_branch .LBB11_985
.LBB11_1125:
	s_andn2_saveexec_b64 s[12:13], s[12:13]
	s_cbranch_execz .LBB11_492
.LBB11_1126:
	s_mov_b32 s16, 0x42800000
	v_add_f32_e64 v3, |v2|, s16
	v_and_b32_e32 v3, 0xff, v3
	v_cmp_ne_u32_e32 vcc, 0, v3
	s_andn2_b64 s[10:11], s[10:11], exec
	s_and_b64 s[16:17], vcc, exec
	s_or_b64 s[10:11], s[10:11], s[16:17]
	s_or_b64 exec, exec, s[12:13]
	v_mov_b32_e32 v6, 0
	s_and_saveexec_b64 s[12:13], s[10:11]
	s_cbranch_execnz .LBB11_493
	s_branch .LBB11_494
	.section	.rodata,"a",@progbits
	.p2align	6, 0x0
	.amdhsa_kernel _ZN2at6native32elementwise_kernel_manual_unrollILi128ELi4EZNS0_15gpu_kernel_implIZZZNS0_12_GLOBAL__N_121bessel_j0_kernel_cudaERNS_18TensorIteratorBaseEENKUlvE_clEvENKUlvE_clEvEUldE_EEvS5_RKT_EUlibE0_EEviT1_
		.amdhsa_group_segment_fixed_size 0
		.amdhsa_private_segment_fixed_size 156
		.amdhsa_kernarg_size 360
		.amdhsa_user_sgpr_count 6
		.amdhsa_user_sgpr_private_segment_buffer 1
		.amdhsa_user_sgpr_dispatch_ptr 0
		.amdhsa_user_sgpr_queue_ptr 0
		.amdhsa_user_sgpr_kernarg_segment_ptr 1
		.amdhsa_user_sgpr_dispatch_id 0
		.amdhsa_user_sgpr_flat_scratch_init 0
		.amdhsa_user_sgpr_private_segment_size 0
		.amdhsa_uses_dynamic_stack 0
		.amdhsa_system_sgpr_private_segment_wavefront_offset 1
		.amdhsa_system_sgpr_workgroup_id_x 1
		.amdhsa_system_sgpr_workgroup_id_y 0
		.amdhsa_system_sgpr_workgroup_id_z 0
		.amdhsa_system_sgpr_workgroup_info 0
		.amdhsa_system_vgpr_workitem_id 0
		.amdhsa_next_free_vgpr 64
		.amdhsa_next_free_sgpr 87
		.amdhsa_reserve_vcc 1
		.amdhsa_reserve_flat_scratch 0
		.amdhsa_float_round_mode_32 0
		.amdhsa_float_round_mode_16_64 0
		.amdhsa_float_denorm_mode_32 3
		.amdhsa_float_denorm_mode_16_64 3
		.amdhsa_dx10_clamp 1
		.amdhsa_ieee_mode 1
		.amdhsa_fp16_overflow 0
		.amdhsa_exception_fp_ieee_invalid_op 0
		.amdhsa_exception_fp_denorm_src 0
		.amdhsa_exception_fp_ieee_div_zero 0
		.amdhsa_exception_fp_ieee_overflow 0
		.amdhsa_exception_fp_ieee_underflow 0
		.amdhsa_exception_fp_ieee_inexact 0
		.amdhsa_exception_int_div_zero 0
	.end_amdhsa_kernel
	.section	.text._ZN2at6native32elementwise_kernel_manual_unrollILi128ELi4EZNS0_15gpu_kernel_implIZZZNS0_12_GLOBAL__N_121bessel_j0_kernel_cudaERNS_18TensorIteratorBaseEENKUlvE_clEvENKUlvE_clEvEUldE_EEvS5_RKT_EUlibE0_EEviT1_,"axG",@progbits,_ZN2at6native32elementwise_kernel_manual_unrollILi128ELi4EZNS0_15gpu_kernel_implIZZZNS0_12_GLOBAL__N_121bessel_j0_kernel_cudaERNS_18TensorIteratorBaseEENKUlvE_clEvENKUlvE_clEvEUldE_EEvS5_RKT_EUlibE0_EEviT1_,comdat
.Lfunc_end11:
	.size	_ZN2at6native32elementwise_kernel_manual_unrollILi128ELi4EZNS0_15gpu_kernel_implIZZZNS0_12_GLOBAL__N_121bessel_j0_kernel_cudaERNS_18TensorIteratorBaseEENKUlvE_clEvENKUlvE_clEvEUldE_EEvS5_RKT_EUlibE0_EEviT1_, .Lfunc_end11-_ZN2at6native32elementwise_kernel_manual_unrollILi128ELi4EZNS0_15gpu_kernel_implIZZZNS0_12_GLOBAL__N_121bessel_j0_kernel_cudaERNS_18TensorIteratorBaseEENKUlvE_clEvENKUlvE_clEvEUldE_EEvS5_RKT_EUlibE0_EEviT1_
                                        ; -- End function
	.set _ZN2at6native32elementwise_kernel_manual_unrollILi128ELi4EZNS0_15gpu_kernel_implIZZZNS0_12_GLOBAL__N_121bessel_j0_kernel_cudaERNS_18TensorIteratorBaseEENKUlvE_clEvENKUlvE_clEvEUldE_EEvS5_RKT_EUlibE0_EEviT1_.num_vgpr, max(64, .L_ZN2at6native6invokeIZZZNS0_12_GLOBAL__N_121bessel_j0_kernel_cudaERNS_18TensorIteratorBaseEENKUlvE_clEvENKUlvE_clEvEUldE_j15function_traitsIS7_EEENT1_11result_typeERKT_PrKPcPKT0_PKN3c1010ScalarTypeEi.num_vgpr)
	.set _ZN2at6native32elementwise_kernel_manual_unrollILi128ELi4EZNS0_15gpu_kernel_implIZZZNS0_12_GLOBAL__N_121bessel_j0_kernel_cudaERNS_18TensorIteratorBaseEENKUlvE_clEvENKUlvE_clEvEUldE_EEvS5_RKT_EUlibE0_EEviT1_.num_agpr, max(0, .L_ZN2at6native6invokeIZZZNS0_12_GLOBAL__N_121bessel_j0_kernel_cudaERNS_18TensorIteratorBaseEENKUlvE_clEvENKUlvE_clEvEUldE_j15function_traitsIS7_EEENT1_11result_typeERKT_PrKPcPKT0_PKN3c1010ScalarTypeEi.num_agpr)
	.set _ZN2at6native32elementwise_kernel_manual_unrollILi128ELi4EZNS0_15gpu_kernel_implIZZZNS0_12_GLOBAL__N_121bessel_j0_kernel_cudaERNS_18TensorIteratorBaseEENKUlvE_clEvENKUlvE_clEvEUldE_EEvS5_RKT_EUlibE0_EEviT1_.numbered_sgpr, max(87, .L_ZN2at6native6invokeIZZZNS0_12_GLOBAL__N_121bessel_j0_kernel_cudaERNS_18TensorIteratorBaseEENKUlvE_clEvENKUlvE_clEvEUldE_j15function_traitsIS7_EEENT1_11result_typeERKT_PrKPcPKT0_PKN3c1010ScalarTypeEi.numbered_sgpr)
	.set _ZN2at6native32elementwise_kernel_manual_unrollILi128ELi4EZNS0_15gpu_kernel_implIZZZNS0_12_GLOBAL__N_121bessel_j0_kernel_cudaERNS_18TensorIteratorBaseEENKUlvE_clEvENKUlvE_clEvEUldE_EEvS5_RKT_EUlibE0_EEviT1_.num_named_barrier, max(0, .L_ZN2at6native6invokeIZZZNS0_12_GLOBAL__N_121bessel_j0_kernel_cudaERNS_18TensorIteratorBaseEENKUlvE_clEvENKUlvE_clEvEUldE_j15function_traitsIS7_EEENT1_11result_typeERKT_PrKPcPKT0_PKN3c1010ScalarTypeEi.num_named_barrier)
	.set _ZN2at6native32elementwise_kernel_manual_unrollILi128ELi4EZNS0_15gpu_kernel_implIZZZNS0_12_GLOBAL__N_121bessel_j0_kernel_cudaERNS_18TensorIteratorBaseEENKUlvE_clEvENKUlvE_clEvEUldE_EEvS5_RKT_EUlibE0_EEviT1_.private_seg_size, 96+max(.L_ZN2at6native6invokeIZZZNS0_12_GLOBAL__N_121bessel_j0_kernel_cudaERNS_18TensorIteratorBaseEENKUlvE_clEvENKUlvE_clEvEUldE_j15function_traitsIS7_EEENT1_11result_typeERKT_PrKPcPKT0_PKN3c1010ScalarTypeEi.private_seg_size)
	.set _ZN2at6native32elementwise_kernel_manual_unrollILi128ELi4EZNS0_15gpu_kernel_implIZZZNS0_12_GLOBAL__N_121bessel_j0_kernel_cudaERNS_18TensorIteratorBaseEENKUlvE_clEvENKUlvE_clEvEUldE_EEvS5_RKT_EUlibE0_EEviT1_.uses_vcc, or(1, .L_ZN2at6native6invokeIZZZNS0_12_GLOBAL__N_121bessel_j0_kernel_cudaERNS_18TensorIteratorBaseEENKUlvE_clEvENKUlvE_clEvEUldE_j15function_traitsIS7_EEENT1_11result_typeERKT_PrKPcPKT0_PKN3c1010ScalarTypeEi.uses_vcc)
	.set _ZN2at6native32elementwise_kernel_manual_unrollILi128ELi4EZNS0_15gpu_kernel_implIZZZNS0_12_GLOBAL__N_121bessel_j0_kernel_cudaERNS_18TensorIteratorBaseEENKUlvE_clEvENKUlvE_clEvEUldE_EEvS5_RKT_EUlibE0_EEviT1_.uses_flat_scratch, or(0, .L_ZN2at6native6invokeIZZZNS0_12_GLOBAL__N_121bessel_j0_kernel_cudaERNS_18TensorIteratorBaseEENKUlvE_clEvENKUlvE_clEvEUldE_j15function_traitsIS7_EEENT1_11result_typeERKT_PrKPcPKT0_PKN3c1010ScalarTypeEi.uses_flat_scratch)
	.set _ZN2at6native32elementwise_kernel_manual_unrollILi128ELi4EZNS0_15gpu_kernel_implIZZZNS0_12_GLOBAL__N_121bessel_j0_kernel_cudaERNS_18TensorIteratorBaseEENKUlvE_clEvENKUlvE_clEvEUldE_EEvS5_RKT_EUlibE0_EEviT1_.has_dyn_sized_stack, or(0, .L_ZN2at6native6invokeIZZZNS0_12_GLOBAL__N_121bessel_j0_kernel_cudaERNS_18TensorIteratorBaseEENKUlvE_clEvENKUlvE_clEvEUldE_j15function_traitsIS7_EEENT1_11result_typeERKT_PrKPcPKT0_PKN3c1010ScalarTypeEi.has_dyn_sized_stack)
	.set _ZN2at6native32elementwise_kernel_manual_unrollILi128ELi4EZNS0_15gpu_kernel_implIZZZNS0_12_GLOBAL__N_121bessel_j0_kernel_cudaERNS_18TensorIteratorBaseEENKUlvE_clEvENKUlvE_clEvEUldE_EEvS5_RKT_EUlibE0_EEviT1_.has_recursion, or(0, .L_ZN2at6native6invokeIZZZNS0_12_GLOBAL__N_121bessel_j0_kernel_cudaERNS_18TensorIteratorBaseEENKUlvE_clEvENKUlvE_clEvEUldE_j15function_traitsIS7_EEENT1_11result_typeERKT_PrKPcPKT0_PKN3c1010ScalarTypeEi.has_recursion)
	.set _ZN2at6native32elementwise_kernel_manual_unrollILi128ELi4EZNS0_15gpu_kernel_implIZZZNS0_12_GLOBAL__N_121bessel_j0_kernel_cudaERNS_18TensorIteratorBaseEENKUlvE_clEvENKUlvE_clEvEUldE_EEvS5_RKT_EUlibE0_EEviT1_.has_indirect_call, or(0, .L_ZN2at6native6invokeIZZZNS0_12_GLOBAL__N_121bessel_j0_kernel_cudaERNS_18TensorIteratorBaseEENKUlvE_clEvENKUlvE_clEvEUldE_j15function_traitsIS7_EEENT1_11result_typeERKT_PrKPcPKT0_PKN3c1010ScalarTypeEi.has_indirect_call)
	.section	.AMDGPU.csdata,"",@progbits
; Kernel info:
; codeLenInByte = 28296
; TotalNumSgprs: 91
; NumVgprs: 64
; ScratchSize: 156
; MemoryBound: 0
; FloatMode: 240
; IeeeMode: 1
; LDSByteSize: 0 bytes/workgroup (compile time only)
; SGPRBlocks: 11
; VGPRBlocks: 15
; NumSGPRsForWavesPerEU: 91
; NumVGPRsForWavesPerEU: 64
; Occupancy: 4
; WaveLimiterHint : 1
; COMPUTE_PGM_RSRC2:SCRATCH_EN: 1
; COMPUTE_PGM_RSRC2:USER_SGPR: 6
; COMPUTE_PGM_RSRC2:TRAP_HANDLER: 0
; COMPUTE_PGM_RSRC2:TGID_X_EN: 1
; COMPUTE_PGM_RSRC2:TGID_Y_EN: 0
; COMPUTE_PGM_RSRC2:TGID_Z_EN: 0
; COMPUTE_PGM_RSRC2:TIDIG_COMP_CNT: 0
	.text
	.p2align	2                               ; -- Begin function _ZN2at6native25elementwise_kernel_helperILb0EZZZNS0_12_GLOBAL__N_121bessel_j0_kernel_cudaERNS_18TensorIteratorBaseEENKUlvE_clEvENKUlvE0_clEvEUlfE_NS0_6memory8policies11unroll_baseILi256ESt5arrayIPcLm2EE23TrivialOffsetCalculatorILi1EjESF_NS8_15LoadWithoutCastENS8_16StoreWithoutCastELi4ELi1EEEEEvT0_T1_
	.type	_ZN2at6native25elementwise_kernel_helperILb0EZZZNS0_12_GLOBAL__N_121bessel_j0_kernel_cudaERNS_18TensorIteratorBaseEENKUlvE_clEvENKUlvE0_clEvEUlfE_NS0_6memory8policies11unroll_baseILi256ESt5arrayIPcLm2EE23TrivialOffsetCalculatorILi1EjESF_NS8_15LoadWithoutCastENS8_16StoreWithoutCastELi4ELi1EEEEEvT0_T1_,@function
_ZN2at6native25elementwise_kernel_helperILb0EZZZNS0_12_GLOBAL__N_121bessel_j0_kernel_cudaERNS_18TensorIteratorBaseEENKUlvE_clEvENKUlvE0_clEvEUlfE_NS0_6memory8policies11unroll_baseILi256ESt5arrayIPcLm2EE23TrivialOffsetCalculatorILi1EjESF_NS8_15LoadWithoutCastENS8_16StoreWithoutCastELi4ELi1EEEEEvT0_T1_: ; @_ZN2at6native25elementwise_kernel_helperILb0EZZZNS0_12_GLOBAL__N_121bessel_j0_kernel_cudaERNS_18TensorIteratorBaseEENKUlvE_clEvENKUlvE0_clEvEUlfE_NS0_6memory8policies11unroll_baseILi256ESt5arrayIPcLm2EE23TrivialOffsetCalculatorILi1EjESF_NS8_15LoadWithoutCastENS8_16StoreWithoutCastELi4ELi1EEEEEvT0_T1_
; %bb.0:
	s_waitcnt vmcnt(0) expcnt(0) lgkmcnt(0)
	v_and_b32_e32 v7, 0x3ff, v31
	s_lshl_b32 s20, s12, 10
	v_cmp_lt_i32_e64 s[4:5], v7, v4
	v_mov_b32_e32 v12, 0
	v_or_b32_e32 v5, s20, v7
	v_mov_b32_e32 v13, 0
	v_mov_b32_e32 v8, v7
	s_and_saveexec_b64 s[6:7], s[4:5]
	s_cbranch_execz .LBB12_2
; %bb.1:
	v_mov_b32_e32 v6, 0
	v_lshlrev_b64 v[8:9], 2, v[5:6]
	v_add_co_u32_e32 v8, vcc, v2, v8
	v_addc_co_u32_e32 v9, vcc, v3, v9, vcc
	flat_load_dword v13, v[8:9]
	v_add_u32_e32 v8, 0x100, v7
.LBB12_2:
	s_or_b64 exec, exec, s[6:7]
	v_cmp_lt_i32_e32 vcc, v8, v4
	s_and_saveexec_b64 s[6:7], vcc
	s_cbranch_execz .LBB12_4
; %bb.3:
	v_add_u32_e32 v9, s20, v8
	v_mov_b32_e32 v10, 0
	v_lshlrev_b64 v[9:10], 2, v[9:10]
	v_add_u32_e32 v8, 0x100, v8
	v_add_co_u32_e32 v9, vcc, v2, v9
	v_addc_co_u32_e32 v10, vcc, v3, v10, vcc
	flat_load_dword v12, v[9:10]
.LBB12_4:
	s_or_b64 exec, exec, s[6:7]
	v_cmp_lt_i32_e32 vcc, v8, v4
	v_mov_b32_e32 v6, 0
	v_mov_b32_e32 v11, 0
	s_and_saveexec_b64 s[6:7], vcc
	s_cbranch_execz .LBB12_6
; %bb.5:
	v_add_u32_e32 v9, s20, v8
	v_mov_b32_e32 v10, 0
	v_lshlrev_b64 v[9:10], 2, v[9:10]
	v_add_u32_e32 v8, 0x100, v8
	v_add_co_u32_e32 v9, vcc, v2, v9
	v_addc_co_u32_e32 v10, vcc, v3, v10, vcc
	flat_load_dword v11, v[9:10]
.LBB12_6:
	s_or_b64 exec, exec, s[6:7]
	v_cmp_lt_i32_e32 vcc, v8, v4
	s_and_saveexec_b64 s[6:7], vcc
	s_cbranch_execz .LBB12_8
; %bb.7:
	v_add_u32_e32 v8, s20, v8
	v_mov_b32_e32 v9, 0
	v_lshlrev_b64 v[8:9], 2, v[8:9]
	v_add_co_u32_e32 v2, vcc, v2, v8
	v_addc_co_u32_e32 v3, vcc, v3, v9, vcc
	flat_load_dword v6, v[2:3]
.LBB12_8:
	s_or_b64 exec, exec, s[6:7]
	v_mov_b32_e32 v2, 0
	v_mov_b32_e32 v10, v2
	;; [unrolled: 1-line block ×4, first 2 shown]
	s_and_saveexec_b64 s[12:13], s[4:5]
	s_cbranch_execz .LBB12_26
; %bb.9:
	s_waitcnt vmcnt(0) lgkmcnt(0)
	v_cmp_gt_f32_e32 vcc, 0, v13
	v_cndmask_b32_e64 v3, v13, -v13, vcc
	s_mov_b32 s6, 0x40a00000
	v_cmp_ge_f32_e32 vcc, s6, v3
	v_mul_f32_e32 v15, v3, v3
                                        ; implicit-def: $vgpr2
	s_and_saveexec_b64 s[6:7], vcc
	s_xor_b64 s[6:7], exec, s[6:7]
	s_cbranch_execz .LBB12_15
; %bb.10:
	s_mov_b32 s8, 0x3727c5ac
	v_cmp_ngt_f32_e32 vcc, s8, v3
                                        ; implicit-def: $vgpr2
	s_and_saveexec_b64 s[8:9], vcc
	s_xor_b64 s[8:9], exec, s[8:9]
	s_cbranch_execz .LBB12_12
; %bb.11:
	v_mov_b32_e32 v2, 0xcf8ee29d
	v_fmac_f32_e32 v2, 0, v15
	v_mov_b32_e32 v3, 0x53e3ba8e
	v_fmac_f32_e32 v3, v15, v2
	;; [unrolled: 2-line block ×12, first 2 shown]
	v_add_f32_e32 v2, 0xc0b90fdc, v15
	v_add_f32_e32 v9, 0xc1f3c525, v15
	v_mul_f32_e32 v2, v2, v9
	v_mul_f32_e32 v2, v2, v3
	v_div_scale_f32 v3, s[10:11], v8, v8, v2
	v_div_scale_f32 v9, vcc, v2, v8, v2
                                        ; implicit-def: $vgpr15
	v_rcp_f32_e32 v10, v3
	v_fma_f32 v13, -v3, v10, 1.0
	v_fmac_f32_e32 v10, v13, v10
	v_mul_f32_e32 v13, v9, v10
	v_fma_f32 v14, -v3, v13, v9
	v_fmac_f32_e32 v13, v14, v10
	v_fma_f32 v3, -v3, v13, v9
	v_div_fmas_f32 v3, v3, v10, v13
	v_div_fixup_f32 v2, v3, v8, v2
.LBB12_12:
	s_andn2_saveexec_b64 s[8:9], s[8:9]
; %bb.13:
	s_mov_b32 s10, 0xbe800000
	v_fma_f32 v2, v15, s10, 1.0
; %bb.14:
	s_or_b64 exec, exec, s[8:9]
                                        ; implicit-def: $vgpr15
                                        ; implicit-def: $vgpr3
.LBB12_15:
	s_andn2_saveexec_b64 s[14:15], s[6:7]
	s_cbranch_execz .LBB12_25
; %bb.16:
	v_add_f32_e32 v2, 0xbf490fdb, v3
	v_and_b32_e32 v8, 0x7fffffff, v2
	s_brev_b32 s6, 18
	v_cmp_nlt_f32_e64 s[16:17], |v2|, s6
	v_lshrrev_b32_e32 v16, 23, v8
                                        ; implicit-def: $vgpr9
                                        ; implicit-def: $vgpr10
	s_and_saveexec_b64 s[6:7], s[16:17]
	s_xor_b64 s[18:19], exec, s[6:7]
	s_cbranch_execz .LBB12_18
; %bb.17:
	v_and_b32_e32 v9, 0x7fffff, v8
	v_or_b32_e32 v23, 0x800000, v9
	s_mov_b32 s6, 0xfe5163ab
	v_mad_u64_u32 v[9:10], s[6:7], v23, s6, 0
	v_mov_b32_e32 v14, 0
	s_mov_b32 s6, 0x3c439041
	v_mov_b32_e32 v13, v10
	v_mad_u64_u32 v[17:18], s[6:7], v23, s6, v[13:14]
	s_mov_b32 s6, 0xdb629599
	v_add_u32_e32 v10, 0xffffff88, v16
	v_mov_b32_e32 v13, v18
	v_mad_u64_u32 v[18:19], s[6:7], v23, s6, v[13:14]
	s_mov_b32 s6, 0xf534ddc0
	v_not_b32_e32 v22, 63
	v_mov_b32_e32 v13, v19
	v_mad_u64_u32 v[19:20], s[6:7], v23, s6, v[13:14]
	s_mov_b32 s6, 0xfc2757d1
	v_cmp_lt_u32_e32 vcc, 63, v10
	v_mov_b32_e32 v13, v20
	v_mad_u64_u32 v[20:21], s[6:7], v23, s6, v[13:14]
	v_cndmask_b32_e32 v13, 0, v22, vcc
	v_add_u32_e32 v10, v13, v10
	v_mov_b32_e32 v13, v21
	s_mov_b32 s6, 0x4e441529
	v_mad_u64_u32 v[21:22], s[6:7], v23, s6, v[13:14]
	v_not_b32_e32 v24, 31
	v_cmp_lt_u32_e64 s[6:7], 31, v10
	v_cndmask_b32_e64 v13, 0, v24, s[6:7]
	v_add_u32_e32 v10, v13, v10
	v_mov_b32_e32 v13, v22
	s_mov_b32 s8, 0xa2f9836e
	v_mad_u64_u32 v[13:14], s[8:9], v23, s8, v[13:14]
	v_cmp_lt_u32_e64 s[8:9], 31, v10
	v_cndmask_b32_e64 v22, 0, v24, s[8:9]
	v_add_u32_e32 v10, v22, v10
	v_cndmask_b32_e32 v22, v21, v19, vcc
	v_cndmask_b32_e32 v13, v13, v20, vcc
	v_cndmask_b32_e32 v14, v14, v21, vcc
	v_cndmask_b32_e64 v23, v13, v22, s[6:7]
	v_cndmask_b32_e64 v13, v14, v13, s[6:7]
	v_cndmask_b32_e32 v14, v20, v18, vcc
	v_cndmask_b32_e64 v20, v22, v14, s[6:7]
	v_sub_u32_e32 v22, 32, v10
	v_cmp_eq_u32_e64 s[10:11], 0, v10
	v_cndmask_b32_e32 v10, v19, v17, vcc
	v_cndmask_b32_e64 v13, v13, v23, s[8:9]
	v_cndmask_b32_e64 v21, v23, v20, s[8:9]
	;; [unrolled: 1-line block ×3, first 2 shown]
	v_alignbit_b32 v23, v13, v21, v22
	v_cndmask_b32_e64 v17, v20, v14, s[8:9]
	v_cndmask_b32_e64 v13, v23, v13, s[10:11]
	v_alignbit_b32 v19, v21, v17, v22
	v_cndmask_b32_e32 v9, v18, v9, vcc
	v_cndmask_b32_e64 v19, v19, v21, s[10:11]
	v_bfe_u32 v23, v13, 29, 1
	v_cndmask_b32_e64 v9, v10, v9, s[6:7]
	v_alignbit_b32 v20, v13, v19, 30
	v_sub_u32_e32 v24, 0, v23
	v_cndmask_b32_e64 v9, v14, v9, s[8:9]
	v_xor_b32_e32 v20, v20, v24
	v_alignbit_b32 v10, v17, v9, v22
	v_cndmask_b32_e64 v10, v10, v17, s[10:11]
	v_ffbh_u32_e32 v17, v20
	v_alignbit_b32 v14, v19, v10, 30
	v_min_u32_e32 v17, 32, v17
	v_alignbit_b32 v9, v10, v9, 30
	v_xor_b32_e32 v14, v14, v24
	v_sub_u32_e32 v18, 31, v17
	v_xor_b32_e32 v9, v9, v24
	v_alignbit_b32 v19, v20, v14, v18
	v_alignbit_b32 v9, v14, v9, v18
	;; [unrolled: 1-line block ×3, first 2 shown]
	v_ffbh_u32_e32 v14, v10
	v_min_u32_e32 v14, 32, v14
	v_lshrrev_b32_e32 v21, 29, v13
	v_not_b32_e32 v18, v14
	v_alignbit_b32 v9, v10, v9, v18
	v_lshlrev_b32_e32 v10, 31, v21
	v_or_b32_e32 v18, 0x33000000, v10
	v_add_lshl_u32 v14, v14, v17, 23
	v_lshrrev_b32_e32 v9, 9, v9
	v_sub_u32_e32 v14, v18, v14
	v_or_b32_e32 v10, 0.5, v10
	v_lshlrev_b32_e32 v17, 23, v17
	v_or_b32_e32 v9, v14, v9
	v_lshrrev_b32_e32 v14, 9, v19
	v_sub_u32_e32 v10, v10, v17
	v_or_b32_e32 v10, v14, v10
	s_mov_b32 s6, 0x3fc90fda
	v_mul_f32_e32 v14, 0x3fc90fda, v10
	v_fma_f32 v17, v10, s6, -v14
	v_fmac_f32_e32 v17, 0x33a22168, v10
	v_fmac_f32_e32 v17, 0x3fc90fda, v9
	v_lshrrev_b32_e32 v9, 30, v13
	v_add_f32_e32 v10, v14, v17
	v_add_u32_e32 v9, v23, v9
	s_andn2_saveexec_b64 s[6:7], s[18:19]
	s_cbranch_execz .LBB12_20
	s_branch .LBB12_19
.LBB12_18:
	s_andn2_saveexec_b64 s[6:7], s[18:19]
	s_cbranch_execz .LBB12_20
.LBB12_19:
	s_mov_b32 s8, 0x3f22f983
	v_mul_f32_e64 v9, |v2|, s8
	v_rndne_f32_e32 v13, v9
	s_mov_b32 s8, 0xbfc90fda
	v_cvt_i32_f32_e32 v9, v13
	v_fma_f32 v10, v13, s8, |v2|
	v_fmac_f32_e32 v10, 0xb3a22168, v13
	v_fmac_f32_e32 v10, 0xa7c234c4, v13
.LBB12_20:
	s_or_b64 exec, exec, s[6:7]
                                        ; implicit-def: $vgpr13
                                        ; implicit-def: $vgpr14
	s_and_saveexec_b64 s[6:7], s[16:17]
	s_xor_b64 s[16:17], exec, s[6:7]
	s_cbranch_execz .LBB12_22
; %bb.21:
	v_and_b32_e32 v13, 0x7fffff, v8
	v_or_b32_e32 v24, 0x800000, v13
	s_mov_b32 s6, 0xfe5163ab
	v_mad_u64_u32 v[13:14], s[6:7], v24, s6, 0
	v_mov_b32_e32 v18, 0
	s_mov_b32 s6, 0x3c439041
	v_mov_b32_e32 v17, v14
	v_mad_u64_u32 v[19:20], s[6:7], v24, s6, v[17:18]
	s_mov_b32 s6, 0xdb629599
	v_add_u32_e32 v14, 0xffffff88, v16
	v_mov_b32_e32 v17, v20
	v_mad_u64_u32 v[20:21], s[6:7], v24, s6, v[17:18]
	s_mov_b32 s6, 0xf534ddc0
	v_not_b32_e32 v23, 63
	v_mov_b32_e32 v17, v21
	v_mad_u64_u32 v[21:22], s[6:7], v24, s6, v[17:18]
	s_mov_b32 s6, 0xfc2757d1
	v_cmp_lt_u32_e32 vcc, 63, v14
	v_mov_b32_e32 v17, v22
	v_mad_u64_u32 v[16:17], s[6:7], v24, s6, v[17:18]
	v_cndmask_b32_e32 v22, 0, v23, vcc
	s_mov_b32 s6, 0x4e441529
	v_add_u32_e32 v14, v22, v14
	v_mad_u64_u32 v[22:23], s[6:7], v24, s6, v[17:18]
	v_not_b32_e32 v25, 31
	v_cmp_lt_u32_e64 s[6:7], 31, v14
	v_cndmask_b32_e64 v17, 0, v25, s[6:7]
	v_add_u32_e32 v14, v17, v14
	v_mov_b32_e32 v17, v23
	s_mov_b32 s8, 0xa2f9836e
	v_mad_u64_u32 v[17:18], s[8:9], v24, s8, v[17:18]
	v_cmp_lt_u32_e64 s[8:9], 31, v14
	v_cndmask_b32_e64 v23, 0, v25, s[8:9]
	v_add_u32_e32 v14, v23, v14
	v_cndmask_b32_e32 v23, v22, v21, vcc
	v_cndmask_b32_e32 v17, v17, v16, vcc
	v_cndmask_b32_e32 v18, v18, v22, vcc
	v_cndmask_b32_e32 v16, v16, v20, vcc
	v_cndmask_b32_e64 v24, v17, v23, s[6:7]
	v_cndmask_b32_e64 v17, v18, v17, s[6:7]
	;; [unrolled: 1-line block ×3, first 2 shown]
	v_sub_u32_e32 v23, 32, v14
	v_cmp_eq_u32_e64 s[10:11], 0, v14
	v_cndmask_b32_e32 v14, v21, v19, vcc
	v_cndmask_b32_e64 v17, v17, v24, s[8:9]
	v_cndmask_b32_e64 v22, v24, v18, s[8:9]
	;; [unrolled: 1-line block ×3, first 2 shown]
	v_alignbit_b32 v24, v17, v22, v23
	v_cndmask_b32_e64 v18, v18, v16, s[8:9]
	v_cndmask_b32_e64 v17, v24, v17, s[10:11]
	v_alignbit_b32 v19, v22, v18, v23
	v_cndmask_b32_e32 v13, v20, v13, vcc
	v_cndmask_b32_e64 v19, v19, v22, s[10:11]
	v_bfe_u32 v24, v17, 29, 1
	v_cndmask_b32_e64 v13, v14, v13, s[6:7]
	v_alignbit_b32 v21, v17, v19, 30
	v_sub_u32_e32 v25, 0, v24
	v_cndmask_b32_e64 v13, v16, v13, s[8:9]
	v_xor_b32_e32 v21, v21, v25
	v_alignbit_b32 v14, v18, v13, v23
	v_cndmask_b32_e64 v14, v14, v18, s[10:11]
	v_ffbh_u32_e32 v18, v21
	v_alignbit_b32 v16, v19, v14, 30
	v_min_u32_e32 v18, 32, v18
	v_alignbit_b32 v13, v14, v13, 30
	v_xor_b32_e32 v16, v16, v25
	v_sub_u32_e32 v19, 31, v18
	v_xor_b32_e32 v13, v13, v25
	v_alignbit_b32 v20, v21, v16, v19
	v_alignbit_b32 v13, v16, v13, v19
	;; [unrolled: 1-line block ×3, first 2 shown]
	v_ffbh_u32_e32 v16, v14
	v_min_u32_e32 v16, 32, v16
	v_lshrrev_b32_e32 v22, 29, v17
	v_not_b32_e32 v19, v16
	v_alignbit_b32 v13, v14, v13, v19
	v_lshlrev_b32_e32 v14, 31, v22
	v_or_b32_e32 v19, 0x33000000, v14
	v_add_lshl_u32 v16, v16, v18, 23
	v_lshrrev_b32_e32 v13, 9, v13
	v_sub_u32_e32 v16, v19, v16
	v_or_b32_e32 v14, 0.5, v14
	v_lshlrev_b32_e32 v18, 23, v18
	v_or_b32_e32 v13, v16, v13
	v_lshrrev_b32_e32 v16, 9, v20
	v_sub_u32_e32 v14, v14, v18
	v_or_b32_e32 v14, v16, v14
	s_mov_b32 s6, 0x3fc90fda
	v_mul_f32_e32 v16, 0x3fc90fda, v14
	v_fma_f32 v18, v14, s6, -v16
	v_fmac_f32_e32 v18, 0x33a22168, v14
	v_fmac_f32_e32 v18, 0x3fc90fda, v13
	v_lshrrev_b32_e32 v13, 30, v17
	v_add_f32_e32 v14, v16, v18
	v_add_u32_e32 v13, v24, v13
	s_andn2_saveexec_b64 s[6:7], s[16:17]
	s_cbranch_execnz .LBB12_23
	s_branch .LBB12_24
.LBB12_22:
	s_andn2_saveexec_b64 s[6:7], s[16:17]
	s_cbranch_execz .LBB12_24
.LBB12_23:
	s_mov_b32 s8, 0x3f22f983
	v_mul_f32_e64 v13, |v2|, s8
	v_rndne_f32_e32 v16, v13
	s_mov_b32 s8, 0xbfc90fda
	v_cvt_i32_f32_e32 v13, v16
	v_fma_f32 v14, v16, s8, |v2|
	v_fmac_f32_e32 v14, 0xb3a22168, v16
	v_fmac_f32_e32 v14, 0xa7c234c4, v16
.LBB12_24:
	s_or_b64 exec, exec, s[6:7]
	s_mov_b32 s8, 0x41c80000
	v_div_scale_f32 v16, s[6:7], v15, v15, s8
	v_div_scale_f32 v17, vcc, s8, v15, s8
	v_mov_b32_e32 v23, 0x3a725406
	v_mov_b32_e32 v24, 0x3daf5e2d
	v_mov_b32_e32 v21, 0x410bf463
	v_mov_b32_e32 v22, 0x40a9b425
	v_rcp_f32_e32 v18, v16
	v_fma_f32 v19, -v16, v18, 1.0
	v_fmac_f32_e32 v18, v19, v18
	v_mul_f32_e32 v19, v17, v18
	v_fma_f32 v20, -v16, v19, v17
	v_fmac_f32_e32 v19, v20, v18
	v_fma_f32 v16, -v16, v19, v17
	v_div_fmas_f32 v16, v16, v18, v19
	v_mov_b32_e32 v17, 0x3a50e985
	v_mov_b32_e32 v18, 0x3da9a586
	;; [unrolled: 1-line block ×4, first 2 shown]
	v_div_fixup_f32 v15, v16, v15, s8
	v_fmac_f32_e32 v17, 0, v15
	v_fmac_f32_e32 v23, 0, v15
	v_mov_b32_e32 v16, 0x3fa07396
	v_fmac_f32_e32 v18, v15, v17
	v_fmac_f32_e32 v24, v15, v23
	v_mov_b32_e32 v17, 0x40af123f
	;; [unrolled: 3-line block ×4, first 2 shown]
	v_fmac_f32_e32 v21, v15, v20
	v_fmac_f32_e32 v23, v15, v17
	;; [unrolled: 1-line block ×4, first 2 shown]
	v_fma_f32 v16, v15, v18, 1.0
	v_fma_f32 v17, v15, v22, 1.0
	v_div_scale_f32 v18, s[6:7], v16, v16, v17
	v_div_scale_f32 v19, vcc, v17, v16, v17
	v_mov_b32_e32 v21, 0xbc3a3a12
	v_mov_b32_e32 v22, 0xbfa429da
	v_fmac_f32_e32 v21, 0, v15
	v_fmac_f32_e32 v22, v15, v21
	v_mov_b32_e32 v21, 0x44561b86
	s_mov_b32 s8, 0xc0a00000
	v_rcp_f32_e32 v20, v18
	v_fma_f32 v23, -v18, v20, 1.0
	v_fmac_f32_e32 v20, v23, v20
	v_mul_f32_e32 v23, v19, v20
	v_fma_f32 v24, -v18, v23, v19
	v_fmac_f32_e32 v23, v24, v20
	v_fma_f32 v18, -v18, v23, v19
	v_div_fmas_f32 v18, v18, v20, v23
	v_mov_b32_e32 v23, 0x4280a2ba
	v_mov_b32_e32 v24, 0xc19c6e80
	v_fmac_f32_e32 v23, 0, v15
	v_fmac_f32_e32 v21, v15, v23
	;; [unrolled: 1-line block ×3, first 2 shown]
	v_mov_b32_e32 v22, 0x4572a66e
	v_fmac_f32_e32 v22, v15, v21
	v_div_scale_f32 v21, s[6:7], v3, v3, s8
	v_mov_b32_e32 v19, 0xc2ba697b
	v_mov_b32_e32 v20, 0xc331ae61
	v_fmac_f32_e32 v19, v15, v24
	v_mov_b32_e32 v24, 0x45e243be
	v_mov_b32_e32 v23, 0xc31313d7
	v_fmac_f32_e32 v24, v15, v22
	v_mov_b32_e32 v22, 0x45b955d1
	v_fmac_f32_e32 v20, v15, v19
	v_div_scale_f32 v19, vcc, s8, v3, s8
	v_fmac_f32_e32 v22, v15, v24
	v_mov_b32_e32 v24, 0xc24da463
	v_fmac_f32_e32 v23, v15, v20
	v_mov_b32_e32 v20, 0x4500e17e
	;; [unrolled: 2-line block ×4, first 2 shown]
	v_fmac_f32_e32 v23, v15, v20
	v_fmac_f32_e32 v22, v15, v24
	v_div_scale_f32 v15, s[6:7], v23, v23, v22
	v_rcp_f32_e32 v20, v21
	v_div_fixup_f32 v16, v18, v16, v17
	v_div_scale_f32 v18, s[6:7], v22, v23, v22
	v_fma_f32 v24, -v21, v20, 1.0
	v_fmac_f32_e32 v20, v24, v20
	v_mul_f32_e32 v17, v19, v20
	v_fma_f32 v24, -v21, v17, v19
	v_fmac_f32_e32 v17, v24, v20
	v_fma_f32 v19, -v21, v17, v19
	v_mul_f32_e32 v24, v10, v10
	v_mov_b32_e32 v21, 0x3c0881c4
	v_div_fmas_f32 v17, v19, v20, v17
	v_fmac_f32_e32 v21, 0xb94c1982, v24
	v_rcp_f32_e32 v20, v15
	v_mov_b32_e32 v19, 0xbe2aaa9d
	v_fma_f32 v21, v24, v21, v19
	v_mul_f32_e32 v21, v24, v21
	v_fmac_f32_e32 v10, v10, v21
	v_fma_f32 v21, -v15, v20, 1.0
	v_fmac_f32_e32 v20, v21, v20
	v_mul_f32_e32 v21, v18, v20
	v_fma_f32 v25, -v15, v21, v18
	v_fmac_f32_e32 v21, v25, v20
	v_fma_f32 v15, -v15, v21, v18
	s_mov_b64 vcc, s[6:7]
	v_div_fmas_f32 v15, v15, v20, v21
	v_mov_b32_e32 v18, 0xbab64f3b
	v_fmac_f32_e32 v18, 0x37d75334, v24
	v_mov_b32_e32 v20, 0x3d2aabf7
	v_fma_f32 v18, v24, v18, v20
	v_mov_b32_e32 v21, 0xbf000004
	v_fma_f32 v18, v24, v18, v21
	v_fma_f32 v18, v24, v18, 1.0
	v_and_b32_e32 v24, 1, v9
	v_cmp_eq_u32_e32 vcc, 0, v24
	v_div_fixup_f32 v17, v17, v3, s8
	v_mov_b32_e32 v24, 0x3c0881c4
	v_cndmask_b32_e64 v10, -v10, v18, vcc
	v_mov_b32_e32 v18, 0xbab64f3b
	s_movk_i32 s6, 0x1f8
	v_lshlrev_b32_e32 v9, 30, v9
	v_div_fixup_f32 v15, v15, v23, v22
	v_mul_f32_e32 v15, v17, v15
	v_mul_f32_e32 v17, v14, v14
	v_fmac_f32_e32 v24, 0xb94c1982, v17
	v_fmac_f32_e32 v18, 0x37d75334, v17
	;; [unrolled: 1-line block ×4, first 2 shown]
	v_mul_f32_e32 v19, v17, v19
	v_fmac_f32_e32 v21, v17, v20
	v_and_b32_e32 v18, 1, v13
	v_lshlrev_b32_e32 v13, 30, v13
	v_cmp_class_f32_e64 vcc, v2, s6
	v_fmac_f32_e32 v14, v14, v19
	v_fma_f32 v17, v17, v21, 1.0
	v_cmp_eq_u32_e64 s[6:7], 0, v18
	v_and_b32_e32 v13, 0x80000000, v13
	v_xor_b32_e32 v2, v8, v2
	v_and_b32_e32 v9, 0x80000000, v9
	v_cndmask_b32_e64 v14, v17, v14, s[6:7]
	v_xor_b32_e32 v2, v2, v13
	v_xor_b32_e32 v9, v9, v10
	v_mov_b32_e32 v10, 0x7fc00000
	v_xor_b32_e32 v2, v2, v14
	s_mov_b32 s6, 0xf800000
	v_cndmask_b32_e32 v9, v10, v9, vcc
	v_cndmask_b32_e32 v2, v10, v2, vcc
	v_cmp_gt_f32_e32 vcc, s6, v3
	v_mul_f32_e32 v8, 0x4f800000, v3
	v_cndmask_b32_e32 v3, v3, v8, vcc
	v_sqrt_f32_e32 v8, v3
	v_mul_f32_e32 v2, v15, v2
	v_fmac_f32_e32 v2, v16, v9
	v_mul_f32_e32 v2, 0x3f4c422a, v2
	v_add_u32_e32 v9, -1, v8
	v_fma_f32 v10, -v9, v8, v3
	v_cmp_ge_f32_e64 s[6:7], 0, v10
	v_add_u32_e32 v10, 1, v8
	v_cndmask_b32_e64 v9, v8, v9, s[6:7]
	v_fma_f32 v8, -v10, v8, v3
	v_cmp_lt_f32_e64 s[6:7], 0, v8
	v_cndmask_b32_e64 v8, v9, v10, s[6:7]
	v_mul_f32_e32 v9, 0x37800000, v8
	v_cndmask_b32_e32 v8, v8, v9, vcc
	v_mov_b32_e32 v9, 0x260
	v_cmp_class_f32_e32 vcc, v3, v9
	v_cndmask_b32_e32 v3, v8, v3, vcc
	v_div_scale_f32 v8, s[6:7], v3, v3, v2
	v_div_scale_f32 v9, vcc, v2, v3, v2
	v_rcp_f32_e32 v10, v8
	v_fma_f32 v13, -v8, v10, 1.0
	v_fmac_f32_e32 v10, v13, v10
	v_mul_f32_e32 v13, v9, v10
	v_fma_f32 v14, -v8, v13, v9
	v_fmac_f32_e32 v13, v14, v10
	v_fma_f32 v8, -v8, v13, v9
	v_div_fmas_f32 v8, v8, v10, v13
	v_div_fixup_f32 v2, v8, v3, v2
.LBB12_25:
	s_or_b64 exec, exec, s[14:15]
	v_mov_b32_e32 v10, 0
	v_mov_b32_e32 v9, v10
	;; [unrolled: 1-line block ×3, first 2 shown]
.LBB12_26:
	s_or_b64 exec, exec, s[12:13]
	v_add_u32_e32 v3, 0x100, v7
	v_cmp_lt_i32_e32 vcc, v3, v4
	s_and_saveexec_b64 s[12:13], vcc
	s_cbranch_execz .LBB12_44
; %bb.27:
	s_waitcnt vmcnt(0) lgkmcnt(0)
	v_cmp_gt_f32_e32 vcc, 0, v12
	v_cndmask_b32_e64 v12, v12, -v12, vcc
	s_mov_b32 s6, 0x40a00000
	v_cmp_ge_f32_e32 vcc, s6, v12
	v_mul_f32_e32 v18, v12, v12
	s_and_saveexec_b64 s[6:7], vcc
	s_xor_b64 s[6:7], exec, s[6:7]
                                        ; implicit-def: $vgpr10
	s_cbranch_execz .LBB12_33
; %bb.28:
	s_mov_b32 s8, 0x3727c5ac
	v_cmp_ngt_f32_e32 vcc, s8, v12
	s_and_saveexec_b64 s[8:9], vcc
	s_xor_b64 s[8:9], exec, s[8:9]
                                        ; implicit-def: $vgpr10
	s_cbranch_execz .LBB12_30
; %bb.29:
	v_mov_b32_e32 v10, 0xcf8ee29d
	v_fmac_f32_e32 v10, 0, v18
	v_mov_b32_e32 v12, 0x53e3ba8e
	v_fmac_f32_e32 v12, v18, v10
	;; [unrolled: 2-line block ×12, first 2 shown]
	v_add_f32_e32 v10, 0xc0b90fdc, v18
	v_add_f32_e32 v14, 0xc1f3c525, v18
	v_mul_f32_e32 v10, v10, v14
	v_mul_f32_e32 v10, v10, v12
	v_div_scale_f32 v12, s[10:11], v13, v13, v10
	v_div_scale_f32 v14, vcc, v10, v13, v10
                                        ; implicit-def: $vgpr18
	v_rcp_f32_e32 v15, v12
	v_fma_f32 v16, -v12, v15, 1.0
	v_fmac_f32_e32 v15, v16, v15
	v_mul_f32_e32 v16, v14, v15
	v_fma_f32 v17, -v12, v16, v14
	v_fmac_f32_e32 v16, v17, v15
	v_fma_f32 v12, -v12, v16, v14
	v_div_fmas_f32 v12, v12, v15, v16
	v_div_fixup_f32 v10, v12, v13, v10
.LBB12_30:
	s_andn2_saveexec_b64 s[8:9], s[8:9]
; %bb.31:
	s_mov_b32 s10, 0xbe800000
	v_fma_f32 v10, v18, s10, 1.0
; %bb.32:
	s_or_b64 exec, exec, s[8:9]
                                        ; implicit-def: $vgpr18
                                        ; implicit-def: $vgpr12
.LBB12_33:
	s_andn2_saveexec_b64 s[14:15], s[6:7]
	s_cbranch_execz .LBB12_43
; %bb.34:
	v_add_f32_e32 v10, 0xbf490fdb, v12
	v_and_b32_e32 v13, 0x7fffffff, v10
	s_brev_b32 s6, 18
	v_cmp_nlt_f32_e64 s[16:17], |v10|, s6
	v_lshrrev_b32_e32 v19, 23, v13
                                        ; implicit-def: $vgpr16
                                        ; implicit-def: $vgpr17
	s_and_saveexec_b64 s[6:7], s[16:17]
	s_xor_b64 s[18:19], exec, s[6:7]
	s_cbranch_execz .LBB12_36
; %bb.35:
	v_and_b32_e32 v14, 0x7fffff, v13
	v_or_b32_e32 v17, 0x800000, v14
	s_mov_b32 s6, 0xfe5163ab
	v_mad_u64_u32 v[14:15], s[6:7], v17, s6, 0
	v_mov_b32_e32 v16, 0
	s_mov_b32 s6, 0x3c439041
	v_mad_u64_u32 v[20:21], s[6:7], v17, s6, v[15:16]
	s_mov_b32 s6, 0xdb629599
	v_add_u32_e32 v25, 0xffffff88, v19
	v_mov_b32_e32 v15, v21
	v_mad_u64_u32 v[21:22], s[6:7], v17, s6, v[15:16]
	s_mov_b32 s6, 0xf534ddc0
	v_not_b32_e32 v26, 63
	v_mov_b32_e32 v15, v22
	v_mad_u64_u32 v[22:23], s[6:7], v17, s6, v[15:16]
	s_mov_b32 s6, 0xfc2757d1
	v_cmp_lt_u32_e32 vcc, 63, v25
	v_mov_b32_e32 v15, v23
	v_mad_u64_u32 v[23:24], s[6:7], v17, s6, v[15:16]
	v_cndmask_b32_e32 v15, 0, v26, vcc
	v_add_u32_e32 v26, v15, v25
	v_mov_b32_e32 v15, v24
	s_mov_b32 s6, 0x4e441529
	v_mad_u64_u32 v[24:25], s[6:7], v17, s6, v[15:16]
	v_not_b32_e32 v27, 31
	v_cmp_lt_u32_e64 s[6:7], 31, v26
	v_cndmask_b32_e64 v15, 0, v27, s[6:7]
	v_add_u32_e32 v26, v15, v26
	v_mov_b32_e32 v15, v25
	s_mov_b32 s8, 0xa2f9836e
	v_mad_u64_u32 v[15:16], s[8:9], v17, s8, v[15:16]
	v_cmp_lt_u32_e64 s[8:9], 31, v26
	v_cndmask_b32_e64 v17, 0, v27, s[8:9]
	v_cndmask_b32_e32 v25, v24, v22, vcc
	v_cndmask_b32_e32 v16, v16, v24, vcc
	;; [unrolled: 1-line block ×3, first 2 shown]
	v_add_u32_e32 v17, v17, v26
	v_cndmask_b32_e64 v24, v15, v25, s[6:7]
	v_cndmask_b32_e64 v15, v16, v15, s[6:7]
	v_cndmask_b32_e32 v16, v23, v21, vcc
	v_cndmask_b32_e64 v23, v25, v16, s[6:7]
	v_sub_u32_e32 v25, 32, v17
	v_cmp_eq_u32_e64 s[10:11], 0, v17
	v_cndmask_b32_e32 v17, v22, v20, vcc
	v_cndmask_b32_e64 v15, v15, v24, s[8:9]
	v_cndmask_b32_e64 v24, v24, v23, s[8:9]
	;; [unrolled: 1-line block ×3, first 2 shown]
	v_alignbit_b32 v26, v15, v24, v25
	v_cndmask_b32_e64 v20, v23, v16, s[8:9]
	v_cndmask_b32_e64 v15, v26, v15, s[10:11]
	v_alignbit_b32 v22, v24, v20, v25
	v_cndmask_b32_e32 v14, v21, v14, vcc
	v_cndmask_b32_e64 v22, v22, v24, s[10:11]
	v_bfe_u32 v26, v15, 29, 1
	v_cndmask_b32_e64 v14, v17, v14, s[6:7]
	v_alignbit_b32 v23, v15, v22, 30
	v_sub_u32_e32 v27, 0, v26
	v_cndmask_b32_e64 v14, v16, v14, s[8:9]
	v_xor_b32_e32 v23, v23, v27
	v_alignbit_b32 v16, v20, v14, v25
	v_cndmask_b32_e64 v16, v16, v20, s[10:11]
	v_ffbh_u32_e32 v20, v23
	v_alignbit_b32 v17, v22, v16, 30
	v_min_u32_e32 v20, 32, v20
	v_alignbit_b32 v14, v16, v14, 30
	v_xor_b32_e32 v17, v17, v27
	v_sub_u32_e32 v21, 31, v20
	v_xor_b32_e32 v14, v14, v27
	v_alignbit_b32 v22, v23, v17, v21
	v_alignbit_b32 v14, v17, v14, v21
	;; [unrolled: 1-line block ×3, first 2 shown]
	v_ffbh_u32_e32 v17, v16
	v_min_u32_e32 v17, 32, v17
	v_lshrrev_b32_e32 v24, 29, v15
	v_not_b32_e32 v21, v17
	v_alignbit_b32 v14, v16, v14, v21
	v_lshlrev_b32_e32 v16, 31, v24
	v_or_b32_e32 v21, 0x33000000, v16
	v_add_lshl_u32 v17, v17, v20, 23
	v_lshrrev_b32_e32 v14, 9, v14
	v_sub_u32_e32 v17, v21, v17
	v_or_b32_e32 v16, 0.5, v16
	v_lshlrev_b32_e32 v20, 23, v20
	v_or_b32_e32 v14, v17, v14
	v_lshrrev_b32_e32 v17, 9, v22
	v_sub_u32_e32 v16, v16, v20
	v_or_b32_e32 v16, v17, v16
	s_mov_b32 s6, 0x3fc90fda
	v_mul_f32_e32 v17, 0x3fc90fda, v16
	v_fma_f32 v20, v16, s6, -v17
	v_fmac_f32_e32 v20, 0x33a22168, v16
	v_fmac_f32_e32 v20, 0x3fc90fda, v14
	v_lshrrev_b32_e32 v14, 30, v15
	v_add_f32_e32 v17, v17, v20
	v_add_u32_e32 v16, v26, v14
	s_andn2_saveexec_b64 s[6:7], s[18:19]
	s_cbranch_execz .LBB12_38
	s_branch .LBB12_37
.LBB12_36:
	s_andn2_saveexec_b64 s[6:7], s[18:19]
	s_cbranch_execz .LBB12_38
.LBB12_37:
	s_mov_b32 s8, 0x3f22f983
	v_mul_f32_e64 v14, |v10|, s8
	v_rndne_f32_e32 v14, v14
	s_mov_b32 s8, 0xbfc90fda
	v_cvt_i32_f32_e32 v16, v14
	v_fma_f32 v17, v14, s8, |v10|
	v_fmac_f32_e32 v17, 0xb3a22168, v14
	v_fmac_f32_e32 v17, 0xa7c234c4, v14
.LBB12_38:
	s_or_b64 exec, exec, s[6:7]
                                        ; implicit-def: $vgpr14
                                        ; implicit-def: $vgpr15
	s_and_saveexec_b64 s[6:7], s[16:17]
	s_xor_b64 s[16:17], exec, s[6:7]
	s_cbranch_execz .LBB12_40
; %bb.39:
	v_and_b32_e32 v14, 0x7fffff, v13
	v_or_b32_e32 v27, 0x800000, v14
	s_mov_b32 s6, 0xfe5163ab
	v_mad_u64_u32 v[14:15], s[6:7], v27, s6, 0
	v_mov_b32_e32 v21, 0
	s_mov_b32 s6, 0x3c439041
	v_mov_b32_e32 v20, v15
	v_mad_u64_u32 v[22:23], s[6:7], v27, s6, v[20:21]
	s_mov_b32 s6, 0xdb629599
	v_add_u32_e32 v15, 0xffffff88, v19
	v_mov_b32_e32 v20, v23
	v_mad_u64_u32 v[23:24], s[6:7], v27, s6, v[20:21]
	s_mov_b32 s6, 0xf534ddc0
	v_not_b32_e32 v26, 63
	v_mov_b32_e32 v20, v24
	v_mad_u64_u32 v[24:25], s[6:7], v27, s6, v[20:21]
	s_mov_b32 s6, 0xfc2757d1
	v_cmp_lt_u32_e32 vcc, 63, v15
	v_mov_b32_e32 v20, v25
	v_mad_u64_u32 v[19:20], s[6:7], v27, s6, v[20:21]
	v_cndmask_b32_e32 v25, 0, v26, vcc
	s_mov_b32 s6, 0x4e441529
	v_add_u32_e32 v15, v25, v15
	v_mad_u64_u32 v[25:26], s[6:7], v27, s6, v[20:21]
	v_not_b32_e32 v28, 31
	v_cmp_lt_u32_e64 s[6:7], 31, v15
	v_cndmask_b32_e64 v20, 0, v28, s[6:7]
	v_add_u32_e32 v15, v20, v15
	v_mov_b32_e32 v20, v26
	s_mov_b32 s8, 0xa2f9836e
	v_mad_u64_u32 v[20:21], s[8:9], v27, s8, v[20:21]
	v_cmp_lt_u32_e64 s[8:9], 31, v15
	v_cndmask_b32_e64 v26, 0, v28, s[8:9]
	v_add_u32_e32 v15, v26, v15
	v_cndmask_b32_e32 v26, v25, v24, vcc
	v_cndmask_b32_e32 v20, v20, v19, vcc
	;; [unrolled: 1-line block ×4, first 2 shown]
	v_cndmask_b32_e64 v27, v20, v26, s[6:7]
	v_cndmask_b32_e64 v20, v21, v20, s[6:7]
	;; [unrolled: 1-line block ×3, first 2 shown]
	v_sub_u32_e32 v26, 32, v15
	v_cmp_eq_u32_e64 s[10:11], 0, v15
	v_cndmask_b32_e32 v15, v24, v22, vcc
	v_cndmask_b32_e64 v20, v20, v27, s[8:9]
	v_cndmask_b32_e64 v25, v27, v21, s[8:9]
	;; [unrolled: 1-line block ×3, first 2 shown]
	v_alignbit_b32 v27, v20, v25, v26
	v_cndmask_b32_e64 v21, v21, v19, s[8:9]
	v_cndmask_b32_e64 v20, v27, v20, s[10:11]
	v_alignbit_b32 v22, v25, v21, v26
	v_cndmask_b32_e32 v14, v23, v14, vcc
	v_cndmask_b32_e64 v22, v22, v25, s[10:11]
	v_bfe_u32 v27, v20, 29, 1
	v_cndmask_b32_e64 v14, v15, v14, s[6:7]
	v_alignbit_b32 v24, v20, v22, 30
	v_sub_u32_e32 v28, 0, v27
	v_cndmask_b32_e64 v14, v19, v14, s[8:9]
	v_xor_b32_e32 v24, v24, v28
	v_alignbit_b32 v15, v21, v14, v26
	v_cndmask_b32_e64 v15, v15, v21, s[10:11]
	v_ffbh_u32_e32 v21, v24
	v_alignbit_b32 v19, v22, v15, 30
	v_min_u32_e32 v21, 32, v21
	v_alignbit_b32 v14, v15, v14, 30
	v_xor_b32_e32 v19, v19, v28
	v_sub_u32_e32 v22, 31, v21
	v_xor_b32_e32 v14, v14, v28
	v_alignbit_b32 v23, v24, v19, v22
	v_alignbit_b32 v14, v19, v14, v22
	;; [unrolled: 1-line block ×3, first 2 shown]
	v_ffbh_u32_e32 v19, v15
	v_min_u32_e32 v19, 32, v19
	v_lshrrev_b32_e32 v25, 29, v20
	v_not_b32_e32 v22, v19
	v_alignbit_b32 v14, v15, v14, v22
	v_lshlrev_b32_e32 v15, 31, v25
	v_or_b32_e32 v22, 0x33000000, v15
	v_add_lshl_u32 v19, v19, v21, 23
	v_lshrrev_b32_e32 v14, 9, v14
	v_sub_u32_e32 v19, v22, v19
	v_or_b32_e32 v15, 0.5, v15
	v_lshlrev_b32_e32 v21, 23, v21
	v_or_b32_e32 v14, v19, v14
	v_lshrrev_b32_e32 v19, 9, v23
	v_sub_u32_e32 v15, v15, v21
	v_or_b32_e32 v15, v19, v15
	s_mov_b32 s6, 0x3fc90fda
	v_mul_f32_e32 v19, 0x3fc90fda, v15
	v_fma_f32 v21, v15, s6, -v19
	v_fmac_f32_e32 v21, 0x33a22168, v15
	v_fmac_f32_e32 v21, 0x3fc90fda, v14
	v_lshrrev_b32_e32 v14, 30, v20
	v_add_f32_e32 v15, v19, v21
	v_add_u32_e32 v14, v27, v14
	s_andn2_saveexec_b64 s[6:7], s[16:17]
	s_cbranch_execnz .LBB12_41
	s_branch .LBB12_42
.LBB12_40:
	s_andn2_saveexec_b64 s[6:7], s[16:17]
	s_cbranch_execz .LBB12_42
.LBB12_41:
	s_mov_b32 s8, 0x3f22f983
	v_mul_f32_e64 v14, |v10|, s8
	v_rndne_f32_e32 v19, v14
	s_mov_b32 s8, 0xbfc90fda
	v_cvt_i32_f32_e32 v14, v19
	v_fma_f32 v15, v19, s8, |v10|
	v_fmac_f32_e32 v15, 0xb3a22168, v19
	v_fmac_f32_e32 v15, 0xa7c234c4, v19
.LBB12_42:
	s_or_b64 exec, exec, s[6:7]
	s_mov_b32 s8, 0x41c80000
	v_div_scale_f32 v19, s[6:7], v18, v18, s8
	v_mov_b32_e32 v27, 0xbf000004
	s_mov_b32 s10, 0xc0a00000
	v_rcp_f32_e32 v20, v19
	v_fma_f32 v21, -v19, v20, 1.0
	v_fmac_f32_e32 v20, v21, v20
	v_div_scale_f32 v21, vcc, s8, v18, s8
	v_mul_f32_e32 v22, v21, v20
	v_fma_f32 v23, -v19, v22, v21
	v_fmac_f32_e32 v22, v23, v20
	v_fma_f32 v19, -v19, v22, v21
	v_div_fmas_f32 v19, v19, v20, v22
	v_mov_b32_e32 v20, 0x3da9a586
	v_mov_b32_e32 v21, 0x3daf5e2d
	;; [unrolled: 1-line block ×4, first 2 shown]
	v_div_fixup_f32 v18, v19, v18, s8
	v_mov_b32_e32 v19, 0x3a50e985
	v_fmac_f32_e32 v19, 0, v18
	v_fmac_f32_e32 v20, v18, v19
	v_mov_b32_e32 v19, 0x3f9ea90a
	v_fmac_f32_e32 v19, v18, v20
	v_mov_b32_e32 v20, 0x40ae4fdf
	;; [unrolled: 2-line block ×5, first 2 shown]
	v_fmac_f32_e32 v19, 0, v18
	v_fmac_f32_e32 v21, v18, v19
	v_mov_b32_e32 v19, 0x3fa07396
	v_fmac_f32_e32 v19, v18, v21
	v_mov_b32_e32 v21, 0x40af123f
	;; [unrolled: 2-line block ×4, first 2 shown]
	v_fmac_f32_e32 v21, v18, v19
	v_fma_f32 v19, v18, v21, 1.0
	v_mov_b32_e32 v21, 0xbc3a3a12
	v_fmac_f32_e32 v21, 0, v18
	v_fmac_f32_e32 v22, v18, v21
	v_mov_b32_e32 v21, 0xc19c6e80
	v_fmac_f32_e32 v21, v18, v22
	v_mov_b32_e32 v22, 0xc2ba697b
	;; [unrolled: 2-line block ×7, first 2 shown]
	v_fmac_f32_e32 v21, 0, v18
	v_fmac_f32_e32 v23, v18, v21
	v_mov_b32_e32 v21, 0x4572a66e
	v_fmac_f32_e32 v21, v18, v23
	v_mov_b32_e32 v23, 0x45e243be
	v_fmac_f32_e32 v23, v18, v21
	v_mov_b32_e32 v21, 0x45b955d1
	v_fmac_f32_e32 v21, v18, v23
	v_mov_b32_e32 v23, 0x4500e17e
	v_fmac_f32_e32 v23, v18, v21
	v_mov_b32_e32 v21, 0x43720178
	v_fmac_f32_e32 v21, v18, v23
	v_fma_f32 v18, v18, v20, 1.0
	v_div_scale_f32 v20, s[6:7], v19, v19, v18
	s_movk_i32 s6, 0x1f8
	v_cmp_class_f32_e64 s[6:7], v10, s6
	v_xor_b32_e32 v10, v13, v10
	v_mul_f32_e32 v13, 0x4f800000, v12
	v_rcp_f32_e32 v23, v20
	v_fma_f32 v24, -v20, v23, 1.0
	v_fmac_f32_e32 v23, v24, v23
	v_div_scale_f32 v24, vcc, v18, v19, v18
	v_mul_f32_e32 v25, v24, v23
	v_fma_f32 v26, -v20, v25, v24
	v_fmac_f32_e32 v25, v26, v23
	v_fma_f32 v20, -v20, v25, v24
	v_div_fmas_f32 v20, v20, v23, v25
	v_mov_b32_e32 v25, 0xbab64f3b
	v_mov_b32_e32 v23, 0x3c0881c4
	;; [unrolled: 1-line block ×4, first 2 shown]
	v_div_fixup_f32 v18, v20, v19, v18
	v_mul_f32_e32 v19, v17, v17
	v_fmac_f32_e32 v25, 0x37d75334, v19
	v_fmac_f32_e32 v23, 0xb94c1982, v19
	v_fma_f32 v25, v19, v25, v26
	v_fma_f32 v23, v19, v23, v24
	;; [unrolled: 1-line block ×3, first 2 shown]
	v_mul_f32_e32 v23, v19, v23
	v_fma_f32 v19, v19, v25, 1.0
	v_and_b32_e32 v25, 1, v16
	v_fmac_f32_e32 v17, v17, v23
	v_cmp_eq_u32_e32 vcc, 0, v25
	v_cndmask_b32_e64 v17, -v17, v19, vcc
	v_div_scale_f32 v19, s[8:9], v12, v12, s10
	v_mov_b32_e32 v20, 0x3c0881c4
	v_mov_b32_e32 v23, 0xbab64f3b
	v_lshlrev_b32_e32 v16, 30, v16
	v_and_b32_e32 v16, 0x80000000, v16
	v_xor_b32_e32 v16, v16, v17
	v_mov_b32_e32 v17, 0x7fc00000
	v_cndmask_b32_e64 v16, v17, v16, s[6:7]
	v_rcp_f32_e32 v25, v19
	v_fma_f32 v28, -v19, v25, 1.0
	v_fmac_f32_e32 v25, v28, v25
	v_div_scale_f32 v28, vcc, s10, v12, s10
	v_mul_f32_e32 v29, v28, v25
	v_fma_f32 v30, -v19, v29, v28
	v_fmac_f32_e32 v29, v30, v25
	v_fma_f32 v19, -v19, v29, v28
	v_div_fmas_f32 v19, v19, v25, v29
	v_div_scale_f32 v25, s[8:9], v21, v21, v22
	v_div_fixup_f32 v19, v19, v12, s10
	v_rcp_f32_e32 v28, v25
	v_fma_f32 v29, -v25, v28, 1.0
	v_fmac_f32_e32 v28, v29, v28
	v_div_scale_f32 v29, vcc, v22, v21, v22
	v_mul_f32_e32 v30, v29, v28
	v_fma_f32 v31, -v25, v30, v29
	v_fmac_f32_e32 v30, v31, v28
	v_fma_f32 v25, -v25, v30, v29
	v_div_fmas_f32 v25, v25, v28, v30
	v_div_fixup_f32 v21, v25, v21, v22
	v_mul_f32_e32 v19, v19, v21
	v_mul_f32_e32 v21, v15, v15
	v_fmac_f32_e32 v20, 0xb94c1982, v21
	v_fmac_f32_e32 v23, 0x37d75334, v21
	;; [unrolled: 1-line block ×4, first 2 shown]
	v_mul_f32_e32 v20, v21, v24
	v_fmac_f32_e32 v27, v21, v26
	v_fmac_f32_e32 v15, v15, v20
	v_fma_f32 v20, v21, v27, 1.0
	v_and_b32_e32 v21, 1, v14
	v_lshlrev_b32_e32 v14, 30, v14
	v_cmp_eq_u32_e32 vcc, 0, v21
	v_and_b32_e32 v14, 0x80000000, v14
	v_cndmask_b32_e32 v15, v20, v15, vcc
	v_xor_b32_e32 v10, v10, v14
	v_xor_b32_e32 v10, v10, v15
	v_cndmask_b32_e64 v10, v17, v10, s[6:7]
	s_mov_b32 s6, 0xf800000
	v_cmp_gt_f32_e32 vcc, s6, v12
	v_cndmask_b32_e32 v12, v12, v13, vcc
	v_sqrt_f32_e32 v13, v12
	v_mul_f32_e32 v10, v19, v10
	v_fmac_f32_e32 v10, v18, v16
	v_mul_f32_e32 v10, 0x3f4c422a, v10
	v_add_u32_e32 v14, -1, v13
	v_fma_f32 v15, -v14, v13, v12
	v_cmp_ge_f32_e64 s[6:7], 0, v15
	v_add_u32_e32 v15, 1, v13
	v_cndmask_b32_e64 v14, v13, v14, s[6:7]
	v_fma_f32 v13, -v15, v13, v12
	v_cmp_lt_f32_e64 s[6:7], 0, v13
	v_cndmask_b32_e64 v13, v14, v15, s[6:7]
	v_mul_f32_e32 v14, 0x37800000, v13
	v_cndmask_b32_e32 v13, v13, v14, vcc
	v_mov_b32_e32 v14, 0x260
	v_cmp_class_f32_e32 vcc, v12, v14
	v_cndmask_b32_e32 v12, v13, v12, vcc
	v_div_scale_f32 v13, s[6:7], v12, v12, v10
	v_rcp_f32_e32 v14, v13
	v_fma_f32 v15, -v13, v14, 1.0
	v_fmac_f32_e32 v14, v15, v14
	v_div_scale_f32 v15, vcc, v10, v12, v10
	v_mul_f32_e32 v16, v15, v14
	v_fma_f32 v17, -v13, v16, v15
	v_fmac_f32_e32 v16, v17, v14
	v_fma_f32 v13, -v13, v16, v15
	v_div_fmas_f32 v13, v13, v14, v16
	v_div_fixup_f32 v10, v13, v12, v10
.LBB12_43:
	s_or_b64 exec, exec, s[14:15]
.LBB12_44:
	s_or_b64 exec, exec, s[12:13]
	s_waitcnt vmcnt(0) lgkmcnt(0)
	v_add_u32_e32 v12, 0x200, v7
	v_cmp_lt_i32_e32 vcc, v12, v4
	s_and_saveexec_b64 s[12:13], vcc
	s_cbranch_execz .LBB12_62
; %bb.45:
	v_cmp_gt_f32_e32 vcc, 0, v11
	v_cndmask_b32_e64 v11, v11, -v11, vcc
	s_mov_b32 s6, 0x40a00000
	v_cmp_ge_f32_e32 vcc, s6, v11
	v_mul_f32_e32 v17, v11, v11
	s_and_saveexec_b64 s[6:7], vcc
	s_xor_b64 s[6:7], exec, s[6:7]
                                        ; implicit-def: $vgpr9
	s_cbranch_execz .LBB12_51
; %bb.46:
	s_mov_b32 s8, 0x3727c5ac
	v_cmp_ngt_f32_e32 vcc, s8, v11
	s_and_saveexec_b64 s[8:9], vcc
	s_xor_b64 s[8:9], exec, s[8:9]
                                        ; implicit-def: $vgpr9
	s_cbranch_execz .LBB12_48
; %bb.47:
	v_mov_b32_e32 v9, 0xcf8ee29d
	v_fmac_f32_e32 v9, 0, v17
	v_mov_b32_e32 v11, 0x53e3ba8e
	v_fmac_f32_e32 v11, v17, v9
	;; [unrolled: 2-line block ×12, first 2 shown]
	v_add_f32_e32 v9, 0xc0b90fdc, v17
	v_add_f32_e32 v13, 0xc1f3c525, v17
	v_mul_f32_e32 v9, v9, v13
	v_mul_f32_e32 v9, v9, v11
	v_div_scale_f32 v11, s[10:11], v12, v12, v9
	v_div_scale_f32 v13, vcc, v9, v12, v9
                                        ; implicit-def: $vgpr17
	v_rcp_f32_e32 v14, v11
	v_fma_f32 v15, -v11, v14, 1.0
	v_fmac_f32_e32 v14, v15, v14
	v_mul_f32_e32 v15, v13, v14
	v_fma_f32 v16, -v11, v15, v13
	v_fmac_f32_e32 v15, v16, v14
	v_fma_f32 v11, -v11, v15, v13
	v_div_fmas_f32 v11, v11, v14, v15
	v_div_fixup_f32 v9, v11, v12, v9
.LBB12_48:
	s_andn2_saveexec_b64 s[8:9], s[8:9]
; %bb.49:
	s_mov_b32 s10, 0xbe800000
	v_fma_f32 v9, v17, s10, 1.0
; %bb.50:
	s_or_b64 exec, exec, s[8:9]
                                        ; implicit-def: $vgpr17
                                        ; implicit-def: $vgpr11
.LBB12_51:
	s_andn2_saveexec_b64 s[14:15], s[6:7]
	s_cbranch_execz .LBB12_61
; %bb.52:
	v_add_f32_e32 v9, 0xbf490fdb, v11
	v_and_b32_e32 v12, 0x7fffffff, v9
	s_brev_b32 s6, 18
	v_cmp_nlt_f32_e64 s[16:17], |v9|, s6
	v_lshrrev_b32_e32 v18, 23, v12
                                        ; implicit-def: $vgpr15
                                        ; implicit-def: $vgpr16
	s_and_saveexec_b64 s[6:7], s[16:17]
	s_xor_b64 s[18:19], exec, s[6:7]
	s_cbranch_execz .LBB12_54
; %bb.53:
	v_and_b32_e32 v13, 0x7fffff, v12
	v_or_b32_e32 v16, 0x800000, v13
	s_mov_b32 s6, 0xfe5163ab
	v_mad_u64_u32 v[13:14], s[6:7], v16, s6, 0
	v_mov_b32_e32 v15, 0
	s_mov_b32 s6, 0x3c439041
	v_mad_u64_u32 v[19:20], s[6:7], v16, s6, v[14:15]
	s_mov_b32 s6, 0xdb629599
	v_add_u32_e32 v24, 0xffffff88, v18
	v_mov_b32_e32 v14, v20
	v_mad_u64_u32 v[20:21], s[6:7], v16, s6, v[14:15]
	s_mov_b32 s6, 0xf534ddc0
	v_not_b32_e32 v25, 63
	v_mov_b32_e32 v14, v21
	v_mad_u64_u32 v[21:22], s[6:7], v16, s6, v[14:15]
	s_mov_b32 s6, 0xfc2757d1
	v_cmp_lt_u32_e32 vcc, 63, v24
	v_mov_b32_e32 v14, v22
	v_mad_u64_u32 v[22:23], s[6:7], v16, s6, v[14:15]
	v_cndmask_b32_e32 v14, 0, v25, vcc
	v_add_u32_e32 v25, v14, v24
	v_mov_b32_e32 v14, v23
	s_mov_b32 s6, 0x4e441529
	v_mad_u64_u32 v[23:24], s[6:7], v16, s6, v[14:15]
	v_not_b32_e32 v26, 31
	v_cmp_lt_u32_e64 s[6:7], 31, v25
	v_cndmask_b32_e64 v14, 0, v26, s[6:7]
	v_add_u32_e32 v25, v14, v25
	v_mov_b32_e32 v14, v24
	s_mov_b32 s8, 0xa2f9836e
	v_mad_u64_u32 v[14:15], s[8:9], v16, s8, v[14:15]
	v_cmp_lt_u32_e64 s[8:9], 31, v25
	v_cndmask_b32_e64 v16, 0, v26, s[8:9]
	v_cndmask_b32_e32 v24, v23, v21, vcc
	v_cndmask_b32_e32 v14, v14, v22, vcc
	v_cndmask_b32_e32 v15, v15, v23, vcc
	v_add_u32_e32 v16, v16, v25
	v_cndmask_b32_e64 v25, v14, v24, s[6:7]
	v_cndmask_b32_e64 v14, v15, v14, s[6:7]
	v_cndmask_b32_e32 v15, v22, v20, vcc
	v_cndmask_b32_e64 v22, v24, v15, s[6:7]
	v_sub_u32_e32 v24, 32, v16
	v_cmp_eq_u32_e64 s[10:11], 0, v16
	v_cndmask_b32_e32 v16, v21, v19, vcc
	v_cndmask_b32_e64 v14, v14, v25, s[8:9]
	v_cndmask_b32_e64 v23, v25, v22, s[8:9]
	;; [unrolled: 1-line block ×3, first 2 shown]
	v_alignbit_b32 v25, v14, v23, v24
	v_cndmask_b32_e64 v19, v22, v15, s[8:9]
	v_cndmask_b32_e64 v14, v25, v14, s[10:11]
	v_alignbit_b32 v21, v23, v19, v24
	v_cndmask_b32_e32 v13, v20, v13, vcc
	v_cndmask_b32_e64 v21, v21, v23, s[10:11]
	v_bfe_u32 v25, v14, 29, 1
	v_cndmask_b32_e64 v13, v16, v13, s[6:7]
	v_alignbit_b32 v22, v14, v21, 30
	v_sub_u32_e32 v26, 0, v25
	v_cndmask_b32_e64 v13, v15, v13, s[8:9]
	v_xor_b32_e32 v22, v22, v26
	v_alignbit_b32 v15, v19, v13, v24
	v_cndmask_b32_e64 v15, v15, v19, s[10:11]
	v_ffbh_u32_e32 v19, v22
	v_alignbit_b32 v16, v21, v15, 30
	v_min_u32_e32 v19, 32, v19
	v_alignbit_b32 v13, v15, v13, 30
	v_xor_b32_e32 v16, v16, v26
	v_sub_u32_e32 v20, 31, v19
	v_xor_b32_e32 v13, v13, v26
	v_alignbit_b32 v21, v22, v16, v20
	v_alignbit_b32 v13, v16, v13, v20
	;; [unrolled: 1-line block ×3, first 2 shown]
	v_ffbh_u32_e32 v16, v15
	v_min_u32_e32 v16, 32, v16
	v_lshrrev_b32_e32 v23, 29, v14
	v_not_b32_e32 v20, v16
	v_alignbit_b32 v13, v15, v13, v20
	v_lshlrev_b32_e32 v15, 31, v23
	v_or_b32_e32 v20, 0x33000000, v15
	v_add_lshl_u32 v16, v16, v19, 23
	v_lshrrev_b32_e32 v13, 9, v13
	v_sub_u32_e32 v16, v20, v16
	v_or_b32_e32 v15, 0.5, v15
	v_lshlrev_b32_e32 v19, 23, v19
	v_or_b32_e32 v13, v16, v13
	v_lshrrev_b32_e32 v16, 9, v21
	v_sub_u32_e32 v15, v15, v19
	v_or_b32_e32 v15, v16, v15
	s_mov_b32 s6, 0x3fc90fda
	v_mul_f32_e32 v16, 0x3fc90fda, v15
	v_fma_f32 v19, v15, s6, -v16
	v_fmac_f32_e32 v19, 0x33a22168, v15
	v_fmac_f32_e32 v19, 0x3fc90fda, v13
	v_lshrrev_b32_e32 v13, 30, v14
	v_add_f32_e32 v16, v16, v19
	v_add_u32_e32 v15, v25, v13
	s_andn2_saveexec_b64 s[6:7], s[18:19]
	s_cbranch_execz .LBB12_56
	s_branch .LBB12_55
.LBB12_54:
	s_andn2_saveexec_b64 s[6:7], s[18:19]
	s_cbranch_execz .LBB12_56
.LBB12_55:
	s_mov_b32 s8, 0x3f22f983
	v_mul_f32_e64 v13, |v9|, s8
	v_rndne_f32_e32 v13, v13
	s_mov_b32 s8, 0xbfc90fda
	v_cvt_i32_f32_e32 v15, v13
	v_fma_f32 v16, v13, s8, |v9|
	v_fmac_f32_e32 v16, 0xb3a22168, v13
	v_fmac_f32_e32 v16, 0xa7c234c4, v13
.LBB12_56:
	s_or_b64 exec, exec, s[6:7]
                                        ; implicit-def: $vgpr13
                                        ; implicit-def: $vgpr14
	s_and_saveexec_b64 s[6:7], s[16:17]
	s_xor_b64 s[16:17], exec, s[6:7]
	s_cbranch_execz .LBB12_58
; %bb.57:
	v_and_b32_e32 v13, 0x7fffff, v12
	v_or_b32_e32 v26, 0x800000, v13
	s_mov_b32 s6, 0xfe5163ab
	v_mad_u64_u32 v[13:14], s[6:7], v26, s6, 0
	v_mov_b32_e32 v20, 0
	s_mov_b32 s6, 0x3c439041
	v_mov_b32_e32 v19, v14
	v_mad_u64_u32 v[21:22], s[6:7], v26, s6, v[19:20]
	s_mov_b32 s6, 0xdb629599
	v_add_u32_e32 v14, 0xffffff88, v18
	v_mov_b32_e32 v19, v22
	v_mad_u64_u32 v[22:23], s[6:7], v26, s6, v[19:20]
	s_mov_b32 s6, 0xf534ddc0
	v_not_b32_e32 v25, 63
	v_mov_b32_e32 v19, v23
	v_mad_u64_u32 v[23:24], s[6:7], v26, s6, v[19:20]
	s_mov_b32 s6, 0xfc2757d1
	v_cmp_lt_u32_e32 vcc, 63, v14
	v_mov_b32_e32 v19, v24
	v_mad_u64_u32 v[18:19], s[6:7], v26, s6, v[19:20]
	v_cndmask_b32_e32 v24, 0, v25, vcc
	s_mov_b32 s6, 0x4e441529
	v_add_u32_e32 v14, v24, v14
	v_mad_u64_u32 v[24:25], s[6:7], v26, s6, v[19:20]
	v_not_b32_e32 v27, 31
	v_cmp_lt_u32_e64 s[6:7], 31, v14
	v_cndmask_b32_e64 v19, 0, v27, s[6:7]
	v_add_u32_e32 v14, v19, v14
	v_mov_b32_e32 v19, v25
	s_mov_b32 s8, 0xa2f9836e
	v_mad_u64_u32 v[19:20], s[8:9], v26, s8, v[19:20]
	v_cmp_lt_u32_e64 s[8:9], 31, v14
	v_cndmask_b32_e64 v25, 0, v27, s[8:9]
	v_add_u32_e32 v14, v25, v14
	v_cndmask_b32_e32 v25, v24, v23, vcc
	v_cndmask_b32_e32 v19, v19, v18, vcc
	;; [unrolled: 1-line block ×4, first 2 shown]
	v_cndmask_b32_e64 v26, v19, v25, s[6:7]
	v_cndmask_b32_e64 v19, v20, v19, s[6:7]
	;; [unrolled: 1-line block ×3, first 2 shown]
	v_sub_u32_e32 v25, 32, v14
	v_cmp_eq_u32_e64 s[10:11], 0, v14
	v_cndmask_b32_e32 v14, v23, v21, vcc
	v_cndmask_b32_e64 v19, v19, v26, s[8:9]
	v_cndmask_b32_e64 v24, v26, v20, s[8:9]
	;; [unrolled: 1-line block ×3, first 2 shown]
	v_alignbit_b32 v26, v19, v24, v25
	v_cndmask_b32_e64 v20, v20, v18, s[8:9]
	v_cndmask_b32_e64 v19, v26, v19, s[10:11]
	v_alignbit_b32 v21, v24, v20, v25
	v_cndmask_b32_e32 v13, v22, v13, vcc
	v_cndmask_b32_e64 v21, v21, v24, s[10:11]
	v_bfe_u32 v26, v19, 29, 1
	v_cndmask_b32_e64 v13, v14, v13, s[6:7]
	v_alignbit_b32 v23, v19, v21, 30
	v_sub_u32_e32 v27, 0, v26
	v_cndmask_b32_e64 v13, v18, v13, s[8:9]
	v_xor_b32_e32 v23, v23, v27
	v_alignbit_b32 v14, v20, v13, v25
	v_cndmask_b32_e64 v14, v14, v20, s[10:11]
	v_ffbh_u32_e32 v20, v23
	v_alignbit_b32 v18, v21, v14, 30
	v_min_u32_e32 v20, 32, v20
	v_alignbit_b32 v13, v14, v13, 30
	v_xor_b32_e32 v18, v18, v27
	v_sub_u32_e32 v21, 31, v20
	v_xor_b32_e32 v13, v13, v27
	v_alignbit_b32 v22, v23, v18, v21
	v_alignbit_b32 v13, v18, v13, v21
	;; [unrolled: 1-line block ×3, first 2 shown]
	v_ffbh_u32_e32 v18, v14
	v_min_u32_e32 v18, 32, v18
	v_lshrrev_b32_e32 v24, 29, v19
	v_not_b32_e32 v21, v18
	v_alignbit_b32 v13, v14, v13, v21
	v_lshlrev_b32_e32 v14, 31, v24
	v_or_b32_e32 v21, 0x33000000, v14
	v_add_lshl_u32 v18, v18, v20, 23
	v_lshrrev_b32_e32 v13, 9, v13
	v_sub_u32_e32 v18, v21, v18
	v_or_b32_e32 v14, 0.5, v14
	v_lshlrev_b32_e32 v20, 23, v20
	v_or_b32_e32 v13, v18, v13
	v_lshrrev_b32_e32 v18, 9, v22
	v_sub_u32_e32 v14, v14, v20
	v_or_b32_e32 v14, v18, v14
	s_mov_b32 s6, 0x3fc90fda
	v_mul_f32_e32 v18, 0x3fc90fda, v14
	v_fma_f32 v20, v14, s6, -v18
	v_fmac_f32_e32 v20, 0x33a22168, v14
	v_fmac_f32_e32 v20, 0x3fc90fda, v13
	v_lshrrev_b32_e32 v13, 30, v19
	v_add_f32_e32 v14, v18, v20
	v_add_u32_e32 v13, v26, v13
	s_andn2_saveexec_b64 s[6:7], s[16:17]
	s_cbranch_execnz .LBB12_59
	s_branch .LBB12_60
.LBB12_58:
	s_andn2_saveexec_b64 s[6:7], s[16:17]
	s_cbranch_execz .LBB12_60
.LBB12_59:
	s_mov_b32 s8, 0x3f22f983
	v_mul_f32_e64 v13, |v9|, s8
	v_rndne_f32_e32 v18, v13
	s_mov_b32 s8, 0xbfc90fda
	v_cvt_i32_f32_e32 v13, v18
	v_fma_f32 v14, v18, s8, |v9|
	v_fmac_f32_e32 v14, 0xb3a22168, v18
	v_fmac_f32_e32 v14, 0xa7c234c4, v18
.LBB12_60:
	s_or_b64 exec, exec, s[6:7]
	s_mov_b32 s8, 0x41c80000
	v_div_scale_f32 v18, s[6:7], v17, v17, s8
	v_mov_b32_e32 v26, 0xbf000004
	s_mov_b32 s10, 0xc0a00000
	v_rcp_f32_e32 v19, v18
	v_fma_f32 v20, -v18, v19, 1.0
	v_fmac_f32_e32 v19, v20, v19
	v_div_scale_f32 v20, vcc, s8, v17, s8
	v_mul_f32_e32 v21, v20, v19
	v_fma_f32 v22, -v18, v21, v20
	v_fmac_f32_e32 v21, v22, v19
	v_fma_f32 v18, -v18, v21, v20
	v_div_fmas_f32 v18, v18, v19, v21
	v_mov_b32_e32 v19, 0x3da9a586
	v_mov_b32_e32 v20, 0x3daf5e2d
	;; [unrolled: 1-line block ×4, first 2 shown]
	v_div_fixup_f32 v17, v18, v17, s8
	v_mov_b32_e32 v18, 0x3a50e985
	v_fmac_f32_e32 v18, 0, v17
	v_fmac_f32_e32 v19, v17, v18
	v_mov_b32_e32 v18, 0x3f9ea90a
	v_fmac_f32_e32 v18, v17, v19
	v_mov_b32_e32 v19, 0x40ae4fdf
	;; [unrolled: 2-line block ×5, first 2 shown]
	v_fmac_f32_e32 v18, 0, v17
	v_fmac_f32_e32 v20, v17, v18
	v_mov_b32_e32 v18, 0x3fa07396
	v_fmac_f32_e32 v18, v17, v20
	v_mov_b32_e32 v20, 0x40af123f
	;; [unrolled: 2-line block ×4, first 2 shown]
	v_fmac_f32_e32 v20, v17, v18
	v_fma_f32 v18, v17, v20, 1.0
	v_mov_b32_e32 v20, 0xbc3a3a12
	v_fmac_f32_e32 v20, 0, v17
	v_fmac_f32_e32 v21, v17, v20
	v_mov_b32_e32 v20, 0xc19c6e80
	v_fmac_f32_e32 v20, v17, v21
	v_mov_b32_e32 v21, 0xc2ba697b
	;; [unrolled: 2-line block ×7, first 2 shown]
	v_fmac_f32_e32 v20, 0, v17
	v_fmac_f32_e32 v22, v17, v20
	v_mov_b32_e32 v20, 0x4572a66e
	v_fmac_f32_e32 v20, v17, v22
	v_mov_b32_e32 v22, 0x45e243be
	;; [unrolled: 2-line block ×5, first 2 shown]
	v_fmac_f32_e32 v20, v17, v22
	v_fma_f32 v17, v17, v19, 1.0
	v_div_scale_f32 v19, s[6:7], v18, v18, v17
	s_movk_i32 s6, 0x1f8
	v_cmp_class_f32_e64 s[6:7], v9, s6
	v_xor_b32_e32 v9, v12, v9
	v_mul_f32_e32 v12, 0x4f800000, v11
	v_rcp_f32_e32 v22, v19
	v_fma_f32 v23, -v19, v22, 1.0
	v_fmac_f32_e32 v22, v23, v22
	v_div_scale_f32 v23, vcc, v17, v18, v17
	v_mul_f32_e32 v24, v23, v22
	v_fma_f32 v25, -v19, v24, v23
	v_fmac_f32_e32 v24, v25, v22
	v_fma_f32 v19, -v19, v24, v23
	v_div_fmas_f32 v19, v19, v22, v24
	v_mov_b32_e32 v24, 0xbab64f3b
	v_mov_b32_e32 v22, 0x3c0881c4
	;; [unrolled: 1-line block ×4, first 2 shown]
	v_div_fixup_f32 v17, v19, v18, v17
	v_mul_f32_e32 v18, v16, v16
	v_fmac_f32_e32 v24, 0x37d75334, v18
	v_fmac_f32_e32 v22, 0xb94c1982, v18
	v_fma_f32 v24, v18, v24, v25
	v_fma_f32 v22, v18, v22, v23
	;; [unrolled: 1-line block ×3, first 2 shown]
	v_mul_f32_e32 v22, v18, v22
	v_fma_f32 v18, v18, v24, 1.0
	v_and_b32_e32 v24, 1, v15
	v_fmac_f32_e32 v16, v16, v22
	v_cmp_eq_u32_e32 vcc, 0, v24
	v_cndmask_b32_e64 v16, -v16, v18, vcc
	v_div_scale_f32 v18, s[8:9], v11, v11, s10
	v_mov_b32_e32 v19, 0x3c0881c4
	v_mov_b32_e32 v22, 0xbab64f3b
	v_lshlrev_b32_e32 v15, 30, v15
	v_and_b32_e32 v15, 0x80000000, v15
	v_xor_b32_e32 v15, v15, v16
	v_mov_b32_e32 v16, 0x7fc00000
	v_cndmask_b32_e64 v15, v16, v15, s[6:7]
	v_rcp_f32_e32 v24, v18
	v_fma_f32 v27, -v18, v24, 1.0
	v_fmac_f32_e32 v24, v27, v24
	v_div_scale_f32 v27, vcc, s10, v11, s10
	v_mul_f32_e32 v28, v27, v24
	v_fma_f32 v29, -v18, v28, v27
	v_fmac_f32_e32 v28, v29, v24
	v_fma_f32 v18, -v18, v28, v27
	v_div_fmas_f32 v18, v18, v24, v28
	v_div_scale_f32 v24, s[8:9], v20, v20, v21
	v_div_fixup_f32 v18, v18, v11, s10
	v_rcp_f32_e32 v27, v24
	v_fma_f32 v28, -v24, v27, 1.0
	v_fmac_f32_e32 v27, v28, v27
	v_div_scale_f32 v28, vcc, v21, v20, v21
	v_mul_f32_e32 v29, v28, v27
	v_fma_f32 v30, -v24, v29, v28
	v_fmac_f32_e32 v29, v30, v27
	v_fma_f32 v24, -v24, v29, v28
	v_div_fmas_f32 v24, v24, v27, v29
	v_div_fixup_f32 v20, v24, v20, v21
	v_mul_f32_e32 v18, v18, v20
	v_mul_f32_e32 v20, v14, v14
	v_fmac_f32_e32 v19, 0xb94c1982, v20
	v_fmac_f32_e32 v22, 0x37d75334, v20
	;; [unrolled: 1-line block ×4, first 2 shown]
	v_mul_f32_e32 v19, v20, v23
	v_fmac_f32_e32 v26, v20, v25
	v_fmac_f32_e32 v14, v14, v19
	v_fma_f32 v19, v20, v26, 1.0
	v_and_b32_e32 v20, 1, v13
	v_lshlrev_b32_e32 v13, 30, v13
	v_cmp_eq_u32_e32 vcc, 0, v20
	v_and_b32_e32 v13, 0x80000000, v13
	v_cndmask_b32_e32 v14, v19, v14, vcc
	v_xor_b32_e32 v9, v9, v13
	v_xor_b32_e32 v9, v9, v14
	v_cndmask_b32_e64 v9, v16, v9, s[6:7]
	s_mov_b32 s6, 0xf800000
	v_cmp_gt_f32_e32 vcc, s6, v11
	v_cndmask_b32_e32 v11, v11, v12, vcc
	v_sqrt_f32_e32 v12, v11
	v_mul_f32_e32 v9, v18, v9
	v_fmac_f32_e32 v9, v17, v15
	v_mul_f32_e32 v9, 0x3f4c422a, v9
	v_add_u32_e32 v13, -1, v12
	v_fma_f32 v14, -v13, v12, v11
	v_cmp_ge_f32_e64 s[6:7], 0, v14
	v_add_u32_e32 v14, 1, v12
	v_cndmask_b32_e64 v13, v12, v13, s[6:7]
	v_fma_f32 v12, -v14, v12, v11
	v_cmp_lt_f32_e64 s[6:7], 0, v12
	v_cndmask_b32_e64 v12, v13, v14, s[6:7]
	v_mul_f32_e32 v13, 0x37800000, v12
	v_cndmask_b32_e32 v12, v12, v13, vcc
	v_mov_b32_e32 v13, 0x260
	v_cmp_class_f32_e32 vcc, v11, v13
	v_cndmask_b32_e32 v11, v12, v11, vcc
	v_div_scale_f32 v12, s[6:7], v11, v11, v9
	v_rcp_f32_e32 v13, v12
	v_fma_f32 v14, -v12, v13, 1.0
	v_fmac_f32_e32 v13, v14, v13
	v_div_scale_f32 v14, vcc, v9, v11, v9
	v_mul_f32_e32 v15, v14, v13
	v_fma_f32 v16, -v12, v15, v14
	v_fmac_f32_e32 v15, v16, v13
	v_fma_f32 v12, -v12, v15, v14
	v_div_fmas_f32 v12, v12, v13, v15
	v_div_fixup_f32 v9, v12, v11, v9
.LBB12_61:
	s_or_b64 exec, exec, s[14:15]
.LBB12_62:
	s_or_b64 exec, exec, s[12:13]
	v_add_u32_e32 v11, 0x300, v7
	v_cmp_lt_i32_e32 vcc, v11, v4
	s_and_saveexec_b64 s[12:13], vcc
	s_cbranch_execz .LBB12_72
; %bb.63:
	v_cmp_gt_f32_e32 vcc, 0, v6
	v_cndmask_b32_e64 v6, v6, -v6, vcc
	s_mov_b32 s6, 0x40a00000
	v_cmp_ge_f32_e32 vcc, s6, v6
	v_mul_f32_e32 v16, v6, v6
	s_and_saveexec_b64 s[6:7], vcc
	s_xor_b64 s[6:7], exec, s[6:7]
                                        ; implicit-def: $vgpr8
	s_cbranch_execz .LBB12_69
; %bb.64:
	s_mov_b32 s8, 0x3727c5ac
	v_cmp_ngt_f32_e32 vcc, s8, v6
	s_and_saveexec_b64 s[8:9], vcc
	s_xor_b64 s[8:9], exec, s[8:9]
                                        ; implicit-def: $vgpr8
	s_cbranch_execz .LBB12_66
; %bb.65:
	v_mov_b32_e32 v6, 0xcf8ee29d
	v_fmac_f32_e32 v6, 0, v16
	v_mov_b32_e32 v8, 0x53e3ba8e
	v_fmac_f32_e32 v8, v16, v6
	v_mov_b32_e32 v6, 0xd762b0a7
	v_fmac_f32_e32 v6, v16, v8
	v_mov_b32_e32 v8, 0x43f9c815
	v_fmac_f32_e32 v8, 0, v16
	v_mov_b32_e32 v11, 0x4829b65a
	v_fmac_f32_e32 v11, v16, v8
	v_mov_b32_e32 v8, 0x4c38c9a1
	v_fmac_f32_e32 v8, v16, v11
	v_mov_b32_e32 v11, 0x5026ad80
	v_fmac_f32_e32 v11, v16, v8
	v_mov_b32_e32 v8, 0x53f5f59c
	v_fmac_f32_e32 v8, v16, v11
	v_mov_b32_e32 v11, 0x578d3514
	v_fmac_f32_e32 v11, v16, v8
	v_mov_b32_e32 v8, 0x5ae20a0c
	v_fmac_f32_e32 v8, v16, v11
	v_mov_b32_e32 v11, 0x5dbdf1a6
	v_fmac_f32_e32 v11, v16, v8
	v_mov_b32_e32 v8, 0x5a09f7c3
	v_fmac_f32_e32 v8, v16, v6
	v_add_f32_e32 v6, 0xc0b90fdc, v16
	v_add_f32_e32 v12, 0xc1f3c525, v16
	v_mul_f32_e32 v6, v6, v12
	v_mul_f32_e32 v6, v6, v8
	v_div_scale_f32 v8, s[10:11], v11, v11, v6
	v_div_scale_f32 v12, vcc, v6, v11, v6
                                        ; implicit-def: $vgpr16
	v_rcp_f32_e32 v13, v8
	v_fma_f32 v14, -v8, v13, 1.0
	v_fmac_f32_e32 v13, v14, v13
	v_mul_f32_e32 v14, v12, v13
	v_fma_f32 v15, -v8, v14, v12
	v_fmac_f32_e32 v14, v15, v13
	v_fma_f32 v8, -v8, v14, v12
	v_div_fmas_f32 v8, v8, v13, v14
	v_div_fixup_f32 v8, v8, v11, v6
.LBB12_66:
	s_andn2_saveexec_b64 s[8:9], s[8:9]
; %bb.67:
	s_mov_b32 s10, 0xbe800000
	v_fma_f32 v8, v16, s10, 1.0
; %bb.68:
	s_or_b64 exec, exec, s[8:9]
                                        ; implicit-def: $vgpr16
                                        ; implicit-def: $vgpr6
.LBB12_69:
	s_andn2_saveexec_b64 s[14:15], s[6:7]
	s_cbranch_execz .LBB12_84
; %bb.70:
	v_add_f32_e32 v8, 0xbf490fdb, v6
	v_and_b32_e32 v11, 0x7fffffff, v8
	s_brev_b32 s6, 18
	v_cmp_nlt_f32_e64 s[16:17], |v8|, s6
	v_lshrrev_b32_e32 v17, 23, v11
                                        ; implicit-def: $vgpr14
                                        ; implicit-def: $vgpr15
	s_and_saveexec_b64 s[6:7], s[16:17]
	s_xor_b64 s[18:19], exec, s[6:7]
	s_cbranch_execz .LBB12_77
; %bb.71:
	v_and_b32_e32 v12, 0x7fffff, v11
	v_or_b32_e32 v15, 0x800000, v12
	s_mov_b32 s6, 0xfe5163ab
	v_mad_u64_u32 v[12:13], s[6:7], v15, s6, 0
	v_mov_b32_e32 v14, 0
	s_mov_b32 s6, 0x3c439041
	v_mad_u64_u32 v[18:19], s[6:7], v15, s6, v[13:14]
	s_mov_b32 s6, 0xdb629599
	v_add_u32_e32 v23, 0xffffff88, v17
	v_mov_b32_e32 v13, v19
	v_mad_u64_u32 v[19:20], s[6:7], v15, s6, v[13:14]
	s_mov_b32 s6, 0xf534ddc0
	v_not_b32_e32 v24, 63
	v_mov_b32_e32 v13, v20
	v_mad_u64_u32 v[20:21], s[6:7], v15, s6, v[13:14]
	s_mov_b32 s6, 0xfc2757d1
	v_cmp_lt_u32_e32 vcc, 63, v23
	v_mov_b32_e32 v13, v21
	v_mad_u64_u32 v[21:22], s[6:7], v15, s6, v[13:14]
	v_cndmask_b32_e32 v13, 0, v24, vcc
	v_add_u32_e32 v24, v13, v23
	v_mov_b32_e32 v13, v22
	s_mov_b32 s6, 0x4e441529
	v_mad_u64_u32 v[22:23], s[6:7], v15, s6, v[13:14]
	v_not_b32_e32 v25, 31
	v_cmp_lt_u32_e64 s[6:7], 31, v24
	v_cndmask_b32_e64 v13, 0, v25, s[6:7]
	v_add_u32_e32 v24, v13, v24
	v_mov_b32_e32 v13, v23
	s_mov_b32 s8, 0xa2f9836e
	v_mad_u64_u32 v[13:14], s[8:9], v15, s8, v[13:14]
	v_cmp_lt_u32_e64 s[8:9], 31, v24
	v_cndmask_b32_e64 v15, 0, v25, s[8:9]
	v_cndmask_b32_e32 v23, v22, v20, vcc
	v_cndmask_b32_e32 v13, v13, v21, vcc
	;; [unrolled: 1-line block ×3, first 2 shown]
	v_add_u32_e32 v15, v15, v24
	v_cndmask_b32_e64 v24, v13, v23, s[6:7]
	v_cndmask_b32_e64 v13, v14, v13, s[6:7]
	v_cndmask_b32_e32 v14, v21, v19, vcc
	v_cndmask_b32_e64 v21, v23, v14, s[6:7]
	v_sub_u32_e32 v23, 32, v15
	v_cmp_eq_u32_e64 s[10:11], 0, v15
	v_cndmask_b32_e32 v15, v20, v18, vcc
	v_cndmask_b32_e64 v13, v13, v24, s[8:9]
	v_cndmask_b32_e64 v22, v24, v21, s[8:9]
	;; [unrolled: 1-line block ×3, first 2 shown]
	v_alignbit_b32 v24, v13, v22, v23
	v_cndmask_b32_e64 v18, v21, v14, s[8:9]
	v_cndmask_b32_e64 v13, v24, v13, s[10:11]
	v_alignbit_b32 v20, v22, v18, v23
	v_cndmask_b32_e32 v12, v19, v12, vcc
	v_cndmask_b32_e64 v20, v20, v22, s[10:11]
	v_bfe_u32 v24, v13, 29, 1
	v_cndmask_b32_e64 v12, v15, v12, s[6:7]
	v_alignbit_b32 v21, v13, v20, 30
	v_sub_u32_e32 v25, 0, v24
	v_cndmask_b32_e64 v12, v14, v12, s[8:9]
	v_xor_b32_e32 v21, v21, v25
	v_alignbit_b32 v14, v18, v12, v23
	v_cndmask_b32_e64 v14, v14, v18, s[10:11]
	v_ffbh_u32_e32 v18, v21
	v_alignbit_b32 v15, v20, v14, 30
	v_min_u32_e32 v18, 32, v18
	v_alignbit_b32 v12, v14, v12, 30
	v_xor_b32_e32 v15, v15, v25
	v_sub_u32_e32 v19, 31, v18
	v_xor_b32_e32 v12, v12, v25
	v_alignbit_b32 v20, v21, v15, v19
	v_alignbit_b32 v12, v15, v12, v19
	;; [unrolled: 1-line block ×3, first 2 shown]
	v_ffbh_u32_e32 v15, v14
	v_min_u32_e32 v15, 32, v15
	v_lshrrev_b32_e32 v22, 29, v13
	v_not_b32_e32 v19, v15
	v_alignbit_b32 v12, v14, v12, v19
	v_lshlrev_b32_e32 v14, 31, v22
	v_or_b32_e32 v19, 0x33000000, v14
	v_add_lshl_u32 v15, v15, v18, 23
	v_lshrrev_b32_e32 v12, 9, v12
	v_sub_u32_e32 v15, v19, v15
	v_or_b32_e32 v14, 0.5, v14
	v_lshlrev_b32_e32 v18, 23, v18
	v_or_b32_e32 v12, v15, v12
	v_lshrrev_b32_e32 v15, 9, v20
	v_sub_u32_e32 v14, v14, v18
	v_or_b32_e32 v14, v15, v14
	s_mov_b32 s6, 0x3fc90fda
	v_mul_f32_e32 v15, 0x3fc90fda, v14
	v_fma_f32 v18, v14, s6, -v15
	v_fmac_f32_e32 v18, 0x33a22168, v14
	v_fmac_f32_e32 v18, 0x3fc90fda, v12
	v_lshrrev_b32_e32 v12, 30, v13
	v_add_f32_e32 v15, v15, v18
	v_add_u32_e32 v14, v24, v12
	s_andn2_saveexec_b64 s[6:7], s[18:19]
	s_cbranch_execz .LBB12_79
	s_branch .LBB12_78
.LBB12_72:
	s_or_b64 exec, exec, s[12:13]
	s_and_saveexec_b64 s[6:7], s[4:5]
	s_xor_b64 s[4:5], exec, s[6:7]
	s_cbranch_execz .LBB12_85
.LBB12_73:
	v_mov_b32_e32 v6, 0
	v_lshlrev_b64 v[5:6], 2, v[5:6]
	v_mov_b32_e32 v7, v3
	v_add_co_u32_e32 v5, vcc, v0, v5
	v_addc_co_u32_e32 v6, vcc, v1, v6, vcc
	flat_store_dword v[5:6], v2
	s_or_b64 exec, exec, s[4:5]
	v_cmp_lt_i32_e32 vcc, v7, v4
	s_and_saveexec_b64 s[4:5], vcc
	s_cbranch_execnz .LBB12_86
.LBB12_74:
	s_or_b64 exec, exec, s[4:5]
	v_cmp_lt_i32_e32 vcc, v7, v4
	s_and_saveexec_b64 s[4:5], vcc
	s_cbranch_execz .LBB12_87
.LBB12_75:
	v_add_u32_e32 v2, s20, v7
	v_mov_b32_e32 v3, 0
	v_lshlrev_b64 v[2:3], 2, v[2:3]
	v_add_u32_e32 v7, 0x100, v7
	v_add_co_u32_e32 v2, vcc, v0, v2
	v_addc_co_u32_e32 v3, vcc, v1, v3, vcc
	flat_store_dword v[2:3], v9
	s_or_b64 exec, exec, s[4:5]
	v_cmp_lt_i32_e32 vcc, v7, v4
	s_and_saveexec_b64 s[4:5], vcc
	s_cbranch_execnz .LBB12_88
.LBB12_76:
	s_or_b64 exec, exec, s[4:5]
	s_waitcnt vmcnt(0) lgkmcnt(0)
	s_setpc_b64 s[30:31]
.LBB12_77:
	s_andn2_saveexec_b64 s[6:7], s[18:19]
	s_cbranch_execz .LBB12_79
.LBB12_78:
	s_mov_b32 s8, 0x3f22f983
	v_mul_f32_e64 v12, |v8|, s8
	v_rndne_f32_e32 v12, v12
	s_mov_b32 s8, 0xbfc90fda
	v_cvt_i32_f32_e32 v14, v12
	v_fma_f32 v15, v12, s8, |v8|
	v_fmac_f32_e32 v15, 0xb3a22168, v12
	v_fmac_f32_e32 v15, 0xa7c234c4, v12
.LBB12_79:
	s_or_b64 exec, exec, s[6:7]
                                        ; implicit-def: $vgpr12
                                        ; implicit-def: $vgpr13
	s_and_saveexec_b64 s[6:7], s[16:17]
	s_xor_b64 s[16:17], exec, s[6:7]
	s_cbranch_execz .LBB12_81
; %bb.80:
	v_and_b32_e32 v12, 0x7fffff, v11
	v_or_b32_e32 v25, 0x800000, v12
	s_mov_b32 s6, 0xfe5163ab
	v_mad_u64_u32 v[12:13], s[6:7], v25, s6, 0
	v_mov_b32_e32 v19, 0
	s_mov_b32 s6, 0x3c439041
	v_mov_b32_e32 v18, v13
	v_mad_u64_u32 v[20:21], s[6:7], v25, s6, v[18:19]
	s_mov_b32 s6, 0xdb629599
	v_add_u32_e32 v13, 0xffffff88, v17
	v_mov_b32_e32 v18, v21
	v_mad_u64_u32 v[21:22], s[6:7], v25, s6, v[18:19]
	s_mov_b32 s6, 0xf534ddc0
	v_not_b32_e32 v24, 63
	v_mov_b32_e32 v18, v22
	v_mad_u64_u32 v[22:23], s[6:7], v25, s6, v[18:19]
	s_mov_b32 s6, 0xfc2757d1
	v_cmp_lt_u32_e32 vcc, 63, v13
	v_mov_b32_e32 v18, v23
	v_mad_u64_u32 v[17:18], s[6:7], v25, s6, v[18:19]
	v_cndmask_b32_e32 v23, 0, v24, vcc
	s_mov_b32 s6, 0x4e441529
	v_add_u32_e32 v13, v23, v13
	v_mad_u64_u32 v[23:24], s[6:7], v25, s6, v[18:19]
	v_not_b32_e32 v26, 31
	v_cmp_lt_u32_e64 s[6:7], 31, v13
	v_cndmask_b32_e64 v18, 0, v26, s[6:7]
	v_add_u32_e32 v13, v18, v13
	v_mov_b32_e32 v18, v24
	s_mov_b32 s8, 0xa2f9836e
	v_mad_u64_u32 v[18:19], s[8:9], v25, s8, v[18:19]
	v_cmp_lt_u32_e64 s[8:9], 31, v13
	v_cndmask_b32_e64 v24, 0, v26, s[8:9]
	v_add_u32_e32 v13, v24, v13
	v_cndmask_b32_e32 v24, v23, v22, vcc
	v_cndmask_b32_e32 v18, v18, v17, vcc
	;; [unrolled: 1-line block ×4, first 2 shown]
	v_cndmask_b32_e64 v25, v18, v24, s[6:7]
	v_cndmask_b32_e64 v18, v19, v18, s[6:7]
	;; [unrolled: 1-line block ×3, first 2 shown]
	v_sub_u32_e32 v24, 32, v13
	v_cmp_eq_u32_e64 s[10:11], 0, v13
	v_cndmask_b32_e32 v13, v22, v20, vcc
	v_cndmask_b32_e64 v18, v18, v25, s[8:9]
	v_cndmask_b32_e64 v23, v25, v19, s[8:9]
	;; [unrolled: 1-line block ×3, first 2 shown]
	v_alignbit_b32 v25, v18, v23, v24
	v_cndmask_b32_e64 v19, v19, v17, s[8:9]
	v_cndmask_b32_e64 v18, v25, v18, s[10:11]
	v_alignbit_b32 v20, v23, v19, v24
	v_cndmask_b32_e32 v12, v21, v12, vcc
	v_cndmask_b32_e64 v20, v20, v23, s[10:11]
	v_bfe_u32 v25, v18, 29, 1
	v_cndmask_b32_e64 v12, v13, v12, s[6:7]
	v_alignbit_b32 v22, v18, v20, 30
	v_sub_u32_e32 v26, 0, v25
	v_cndmask_b32_e64 v12, v17, v12, s[8:9]
	v_xor_b32_e32 v22, v22, v26
	v_alignbit_b32 v13, v19, v12, v24
	v_cndmask_b32_e64 v13, v13, v19, s[10:11]
	v_ffbh_u32_e32 v19, v22
	v_alignbit_b32 v17, v20, v13, 30
	v_min_u32_e32 v19, 32, v19
	v_alignbit_b32 v12, v13, v12, 30
	v_xor_b32_e32 v17, v17, v26
	v_sub_u32_e32 v20, 31, v19
	v_xor_b32_e32 v12, v12, v26
	v_alignbit_b32 v21, v22, v17, v20
	v_alignbit_b32 v12, v17, v12, v20
	v_alignbit_b32 v13, v21, v12, 9
	v_ffbh_u32_e32 v17, v13
	v_min_u32_e32 v17, 32, v17
	v_lshrrev_b32_e32 v23, 29, v18
	v_not_b32_e32 v20, v17
	v_alignbit_b32 v12, v13, v12, v20
	v_lshlrev_b32_e32 v13, 31, v23
	v_or_b32_e32 v20, 0x33000000, v13
	v_add_lshl_u32 v17, v17, v19, 23
	v_lshrrev_b32_e32 v12, 9, v12
	v_sub_u32_e32 v17, v20, v17
	v_or_b32_e32 v13, 0.5, v13
	v_lshlrev_b32_e32 v19, 23, v19
	v_or_b32_e32 v12, v17, v12
	v_lshrrev_b32_e32 v17, 9, v21
	v_sub_u32_e32 v13, v13, v19
	v_or_b32_e32 v13, v17, v13
	s_mov_b32 s6, 0x3fc90fda
	v_mul_f32_e32 v17, 0x3fc90fda, v13
	v_fma_f32 v19, v13, s6, -v17
	v_fmac_f32_e32 v19, 0x33a22168, v13
	v_fmac_f32_e32 v19, 0x3fc90fda, v12
	v_lshrrev_b32_e32 v12, 30, v18
	v_add_f32_e32 v13, v17, v19
	v_add_u32_e32 v12, v25, v12
	s_andn2_saveexec_b64 s[6:7], s[16:17]
	s_cbranch_execnz .LBB12_82
	s_branch .LBB12_83
.LBB12_81:
	s_andn2_saveexec_b64 s[6:7], s[16:17]
	s_cbranch_execz .LBB12_83
.LBB12_82:
	s_mov_b32 s8, 0x3f22f983
	v_mul_f32_e64 v12, |v8|, s8
	v_rndne_f32_e32 v17, v12
	s_mov_b32 s8, 0xbfc90fda
	v_cvt_i32_f32_e32 v12, v17
	v_fma_f32 v13, v17, s8, |v8|
	v_fmac_f32_e32 v13, 0xb3a22168, v17
	v_fmac_f32_e32 v13, 0xa7c234c4, v17
.LBB12_83:
	s_or_b64 exec, exec, s[6:7]
	s_mov_b32 s8, 0x41c80000
	v_div_scale_f32 v17, s[6:7], v16, v16, s8
	v_mov_b32_e32 v25, 0xbf000004
	s_mov_b32 s10, 0xc0a00000
	v_rcp_f32_e32 v18, v17
	v_fma_f32 v19, -v17, v18, 1.0
	v_fmac_f32_e32 v18, v19, v18
	v_div_scale_f32 v19, vcc, s8, v16, s8
	v_mul_f32_e32 v20, v19, v18
	v_fma_f32 v21, -v17, v20, v19
	v_fmac_f32_e32 v20, v21, v18
	v_fma_f32 v17, -v17, v20, v19
	v_div_fmas_f32 v17, v17, v18, v20
	v_mov_b32_e32 v18, 0x3da9a586
	v_mov_b32_e32 v19, 0x3daf5e2d
	;; [unrolled: 1-line block ×4, first 2 shown]
	v_div_fixup_f32 v16, v17, v16, s8
	v_mov_b32_e32 v17, 0x3a50e985
	v_fmac_f32_e32 v17, 0, v16
	v_fmac_f32_e32 v18, v16, v17
	v_mov_b32_e32 v17, 0x3f9ea90a
	v_fmac_f32_e32 v17, v16, v18
	v_mov_b32_e32 v18, 0x40ae4fdf
	v_fmac_f32_e32 v18, v16, v17
	v_mov_b32_e32 v17, 0x410bf463
	v_fmac_f32_e32 v17, v16, v18
	v_mov_b32_e32 v18, 0x40a9b425
	v_fmac_f32_e32 v18, v16, v17
	v_mov_b32_e32 v17, 0x3a725406
	v_fmac_f32_e32 v17, 0, v16
	v_fmac_f32_e32 v19, v16, v17
	v_mov_b32_e32 v17, 0x3fa07396
	v_fmac_f32_e32 v17, v16, v19
	v_mov_b32_e32 v19, 0x40af123f
	;; [unrolled: 2-line block ×4, first 2 shown]
	v_fmac_f32_e32 v19, v16, v17
	v_fma_f32 v17, v16, v19, 1.0
	v_mov_b32_e32 v19, 0xbc3a3a12
	v_fmac_f32_e32 v19, 0, v16
	v_fmac_f32_e32 v20, v16, v19
	v_mov_b32_e32 v19, 0xc19c6e80
	v_fmac_f32_e32 v19, v16, v20
	v_mov_b32_e32 v20, 0xc2ba697b
	;; [unrolled: 2-line block ×7, first 2 shown]
	v_fmac_f32_e32 v19, 0, v16
	v_fmac_f32_e32 v21, v16, v19
	v_mov_b32_e32 v19, 0x4572a66e
	v_fmac_f32_e32 v19, v16, v21
	v_mov_b32_e32 v21, 0x45e243be
	;; [unrolled: 2-line block ×5, first 2 shown]
	v_fmac_f32_e32 v19, v16, v21
	v_fma_f32 v16, v16, v18, 1.0
	v_div_scale_f32 v18, s[6:7], v17, v17, v16
	s_movk_i32 s6, 0x1f8
	v_cmp_class_f32_e64 s[6:7], v8, s6
	v_xor_b32_e32 v8, v11, v8
	v_mul_f32_e32 v11, 0x4f800000, v6
	v_rcp_f32_e32 v21, v18
	v_fma_f32 v22, -v18, v21, 1.0
	v_fmac_f32_e32 v21, v22, v21
	v_div_scale_f32 v22, vcc, v16, v17, v16
	v_mul_f32_e32 v23, v22, v21
	v_fma_f32 v24, -v18, v23, v22
	v_fmac_f32_e32 v23, v24, v21
	v_fma_f32 v18, -v18, v23, v22
	v_div_fmas_f32 v18, v18, v21, v23
	v_mov_b32_e32 v23, 0xbab64f3b
	v_mov_b32_e32 v21, 0x3c0881c4
	;; [unrolled: 1-line block ×4, first 2 shown]
	v_div_fixup_f32 v16, v18, v17, v16
	v_mul_f32_e32 v17, v15, v15
	v_fmac_f32_e32 v23, 0x37d75334, v17
	v_fmac_f32_e32 v21, 0xb94c1982, v17
	v_fma_f32 v23, v17, v23, v24
	v_fma_f32 v21, v17, v21, v22
	;; [unrolled: 1-line block ×3, first 2 shown]
	v_mul_f32_e32 v21, v17, v21
	v_fma_f32 v17, v17, v23, 1.0
	v_and_b32_e32 v23, 1, v14
	v_fmac_f32_e32 v15, v15, v21
	v_cmp_eq_u32_e32 vcc, 0, v23
	v_cndmask_b32_e64 v15, -v15, v17, vcc
	v_div_scale_f32 v17, s[8:9], v6, v6, s10
	v_mov_b32_e32 v18, 0x3c0881c4
	v_mov_b32_e32 v21, 0xbab64f3b
	v_lshlrev_b32_e32 v14, 30, v14
	v_and_b32_e32 v14, 0x80000000, v14
	v_xor_b32_e32 v14, v14, v15
	v_mov_b32_e32 v15, 0x7fc00000
	v_cndmask_b32_e64 v14, v15, v14, s[6:7]
	v_rcp_f32_e32 v23, v17
	v_fma_f32 v26, -v17, v23, 1.0
	v_fmac_f32_e32 v23, v26, v23
	v_div_scale_f32 v26, vcc, s10, v6, s10
	v_mul_f32_e32 v27, v26, v23
	v_fma_f32 v28, -v17, v27, v26
	v_fmac_f32_e32 v27, v28, v23
	v_fma_f32 v17, -v17, v27, v26
	v_div_fmas_f32 v17, v17, v23, v27
	v_div_scale_f32 v23, s[8:9], v19, v19, v20
	v_div_fixup_f32 v17, v17, v6, s10
	v_rcp_f32_e32 v26, v23
	v_fma_f32 v27, -v23, v26, 1.0
	v_fmac_f32_e32 v26, v27, v26
	v_div_scale_f32 v27, vcc, v20, v19, v20
	v_mul_f32_e32 v28, v27, v26
	v_fma_f32 v29, -v23, v28, v27
	v_fmac_f32_e32 v28, v29, v26
	v_fma_f32 v23, -v23, v28, v27
	v_div_fmas_f32 v23, v23, v26, v28
	v_div_fixup_f32 v19, v23, v19, v20
	v_mul_f32_e32 v17, v17, v19
	v_mul_f32_e32 v19, v13, v13
	v_fmac_f32_e32 v18, 0xb94c1982, v19
	v_fmac_f32_e32 v21, 0x37d75334, v19
	;; [unrolled: 1-line block ×4, first 2 shown]
	v_mul_f32_e32 v18, v19, v22
	v_fmac_f32_e32 v25, v19, v24
	v_fmac_f32_e32 v13, v13, v18
	v_fma_f32 v18, v19, v25, 1.0
	v_and_b32_e32 v19, 1, v12
	v_lshlrev_b32_e32 v12, 30, v12
	v_cmp_eq_u32_e32 vcc, 0, v19
	v_and_b32_e32 v12, 0x80000000, v12
	v_cndmask_b32_e32 v13, v18, v13, vcc
	v_xor_b32_e32 v8, v8, v12
	v_xor_b32_e32 v8, v8, v13
	v_cndmask_b32_e64 v8, v15, v8, s[6:7]
	s_mov_b32 s6, 0xf800000
	v_cmp_gt_f32_e32 vcc, s6, v6
	v_cndmask_b32_e32 v6, v6, v11, vcc
	v_sqrt_f32_e32 v11, v6
	v_mul_f32_e32 v8, v17, v8
	v_fmac_f32_e32 v8, v16, v14
	v_mul_f32_e32 v8, 0x3f4c422a, v8
	v_add_u32_e32 v12, -1, v11
	v_fma_f32 v13, -v12, v11, v6
	v_cmp_ge_f32_e64 s[6:7], 0, v13
	v_add_u32_e32 v13, 1, v11
	v_cndmask_b32_e64 v12, v11, v12, s[6:7]
	v_fma_f32 v11, -v13, v11, v6
	v_cmp_lt_f32_e64 s[6:7], 0, v11
	v_cndmask_b32_e64 v11, v12, v13, s[6:7]
	v_mul_f32_e32 v12, 0x37800000, v11
	v_cndmask_b32_e32 v11, v11, v12, vcc
	v_mov_b32_e32 v12, 0x260
	v_cmp_class_f32_e32 vcc, v6, v12
	v_cndmask_b32_e32 v6, v11, v6, vcc
	v_div_scale_f32 v11, s[6:7], v6, v6, v8
	v_rcp_f32_e32 v12, v11
	v_fma_f32 v13, -v11, v12, 1.0
	v_fmac_f32_e32 v12, v13, v12
	v_div_scale_f32 v13, vcc, v8, v6, v8
	v_mul_f32_e32 v14, v13, v12
	v_fma_f32 v15, -v11, v14, v13
	v_fmac_f32_e32 v14, v15, v12
	v_fma_f32 v11, -v11, v14, v13
	v_div_fmas_f32 v11, v11, v12, v14
	v_div_fixup_f32 v8, v11, v6, v8
.LBB12_84:
	s_or_b64 exec, exec, s[14:15]
	s_or_b64 exec, exec, s[12:13]
	s_and_saveexec_b64 s[6:7], s[4:5]
	s_xor_b64 s[4:5], exec, s[6:7]
	s_cbranch_execnz .LBB12_73
.LBB12_85:
	s_or_b64 exec, exec, s[4:5]
	v_cmp_lt_i32_e32 vcc, v7, v4
	s_and_saveexec_b64 s[4:5], vcc
	s_cbranch_execz .LBB12_74
.LBB12_86:
	v_add_u32_e32 v2, s20, v7
	v_mov_b32_e32 v3, 0
	v_lshlrev_b64 v[2:3], 2, v[2:3]
	v_add_u32_e32 v7, 0x100, v7
	v_add_co_u32_e32 v2, vcc, v0, v2
	v_addc_co_u32_e32 v3, vcc, v1, v3, vcc
	flat_store_dword v[2:3], v10
	s_or_b64 exec, exec, s[4:5]
	v_cmp_lt_i32_e32 vcc, v7, v4
	s_and_saveexec_b64 s[4:5], vcc
	s_cbranch_execnz .LBB12_75
.LBB12_87:
	s_or_b64 exec, exec, s[4:5]
	v_cmp_lt_i32_e32 vcc, v7, v4
	s_and_saveexec_b64 s[4:5], vcc
	s_cbranch_execz .LBB12_76
.LBB12_88:
	v_add_u32_e32 v2, s20, v7
	v_mov_b32_e32 v3, 0
	v_lshlrev_b64 v[2:3], 2, v[2:3]
	v_add_co_u32_e32 v0, vcc, v0, v2
	v_addc_co_u32_e32 v1, vcc, v1, v3, vcc
	flat_store_dword v[0:1], v8
	s_or_b64 exec, exec, s[4:5]
	s_waitcnt vmcnt(0) lgkmcnt(0)
	s_setpc_b64 s[30:31]
.Lfunc_end12:
	.size	_ZN2at6native25elementwise_kernel_helperILb0EZZZNS0_12_GLOBAL__N_121bessel_j0_kernel_cudaERNS_18TensorIteratorBaseEENKUlvE_clEvENKUlvE0_clEvEUlfE_NS0_6memory8policies11unroll_baseILi256ESt5arrayIPcLm2EE23TrivialOffsetCalculatorILi1EjESF_NS8_15LoadWithoutCastENS8_16StoreWithoutCastELi4ELi1EEEEEvT0_T1_, .Lfunc_end12-_ZN2at6native25elementwise_kernel_helperILb0EZZZNS0_12_GLOBAL__N_121bessel_j0_kernel_cudaERNS_18TensorIteratorBaseEENKUlvE_clEvENKUlvE0_clEvEUlfE_NS0_6memory8policies11unroll_baseILi256ESt5arrayIPcLm2EE23TrivialOffsetCalculatorILi1EjESF_NS8_15LoadWithoutCastENS8_16StoreWithoutCastELi4ELi1EEEEEvT0_T1_
                                        ; -- End function
	.set .L_ZN2at6native25elementwise_kernel_helperILb0EZZZNS0_12_GLOBAL__N_121bessel_j0_kernel_cudaERNS_18TensorIteratorBaseEENKUlvE_clEvENKUlvE0_clEvEUlfE_NS0_6memory8policies11unroll_baseILi256ESt5arrayIPcLm2EE23TrivialOffsetCalculatorILi1EjESF_NS8_15LoadWithoutCastENS8_16StoreWithoutCastELi4ELi1EEEEEvT0_T1_.num_vgpr, 32
	.set .L_ZN2at6native25elementwise_kernel_helperILb0EZZZNS0_12_GLOBAL__N_121bessel_j0_kernel_cudaERNS_18TensorIteratorBaseEENKUlvE_clEvENKUlvE0_clEvEUlfE_NS0_6memory8policies11unroll_baseILi256ESt5arrayIPcLm2EE23TrivialOffsetCalculatorILi1EjESF_NS8_15LoadWithoutCastENS8_16StoreWithoutCastELi4ELi1EEEEEvT0_T1_.num_agpr, 0
	.set .L_ZN2at6native25elementwise_kernel_helperILb0EZZZNS0_12_GLOBAL__N_121bessel_j0_kernel_cudaERNS_18TensorIteratorBaseEENKUlvE_clEvENKUlvE0_clEvEUlfE_NS0_6memory8policies11unroll_baseILi256ESt5arrayIPcLm2EE23TrivialOffsetCalculatorILi1EjESF_NS8_15LoadWithoutCastENS8_16StoreWithoutCastELi4ELi1EEEEEvT0_T1_.numbered_sgpr, 32
	.set .L_ZN2at6native25elementwise_kernel_helperILb0EZZZNS0_12_GLOBAL__N_121bessel_j0_kernel_cudaERNS_18TensorIteratorBaseEENKUlvE_clEvENKUlvE0_clEvEUlfE_NS0_6memory8policies11unroll_baseILi256ESt5arrayIPcLm2EE23TrivialOffsetCalculatorILi1EjESF_NS8_15LoadWithoutCastENS8_16StoreWithoutCastELi4ELi1EEEEEvT0_T1_.num_named_barrier, 0
	.set .L_ZN2at6native25elementwise_kernel_helperILb0EZZZNS0_12_GLOBAL__N_121bessel_j0_kernel_cudaERNS_18TensorIteratorBaseEENKUlvE_clEvENKUlvE0_clEvEUlfE_NS0_6memory8policies11unroll_baseILi256ESt5arrayIPcLm2EE23TrivialOffsetCalculatorILi1EjESF_NS8_15LoadWithoutCastENS8_16StoreWithoutCastELi4ELi1EEEEEvT0_T1_.private_seg_size, 0
	.set .L_ZN2at6native25elementwise_kernel_helperILb0EZZZNS0_12_GLOBAL__N_121bessel_j0_kernel_cudaERNS_18TensorIteratorBaseEENKUlvE_clEvENKUlvE0_clEvEUlfE_NS0_6memory8policies11unroll_baseILi256ESt5arrayIPcLm2EE23TrivialOffsetCalculatorILi1EjESF_NS8_15LoadWithoutCastENS8_16StoreWithoutCastELi4ELi1EEEEEvT0_T1_.uses_vcc, 1
	.set .L_ZN2at6native25elementwise_kernel_helperILb0EZZZNS0_12_GLOBAL__N_121bessel_j0_kernel_cudaERNS_18TensorIteratorBaseEENKUlvE_clEvENKUlvE0_clEvEUlfE_NS0_6memory8policies11unroll_baseILi256ESt5arrayIPcLm2EE23TrivialOffsetCalculatorILi1EjESF_NS8_15LoadWithoutCastENS8_16StoreWithoutCastELi4ELi1EEEEEvT0_T1_.uses_flat_scratch, 0
	.set .L_ZN2at6native25elementwise_kernel_helperILb0EZZZNS0_12_GLOBAL__N_121bessel_j0_kernel_cudaERNS_18TensorIteratorBaseEENKUlvE_clEvENKUlvE0_clEvEUlfE_NS0_6memory8policies11unroll_baseILi256ESt5arrayIPcLm2EE23TrivialOffsetCalculatorILi1EjESF_NS8_15LoadWithoutCastENS8_16StoreWithoutCastELi4ELi1EEEEEvT0_T1_.has_dyn_sized_stack, 0
	.set .L_ZN2at6native25elementwise_kernel_helperILb0EZZZNS0_12_GLOBAL__N_121bessel_j0_kernel_cudaERNS_18TensorIteratorBaseEENKUlvE_clEvENKUlvE0_clEvEUlfE_NS0_6memory8policies11unroll_baseILi256ESt5arrayIPcLm2EE23TrivialOffsetCalculatorILi1EjESF_NS8_15LoadWithoutCastENS8_16StoreWithoutCastELi4ELi1EEEEEvT0_T1_.has_recursion, 0
	.set .L_ZN2at6native25elementwise_kernel_helperILb0EZZZNS0_12_GLOBAL__N_121bessel_j0_kernel_cudaERNS_18TensorIteratorBaseEENKUlvE_clEvENKUlvE0_clEvEUlfE_NS0_6memory8policies11unroll_baseILi256ESt5arrayIPcLm2EE23TrivialOffsetCalculatorILi1EjESF_NS8_15LoadWithoutCastENS8_16StoreWithoutCastELi4ELi1EEEEEvT0_T1_.has_indirect_call, 0
	.section	.AMDGPU.csdata,"",@progbits
; Function info:
; codeLenInByte = 12072
; TotalNumSgprs: 36
; NumVgprs: 32
; ScratchSize: 0
; MemoryBound: 0
	.text
	.p2align	2                               ; -- Begin function _ZN2at6native25elementwise_kernel_helperILb0EZZZNS0_12_GLOBAL__N_121bessel_j0_kernel_cudaERNS_18TensorIteratorBaseEENKUlvE_clEvENKUlvE0_clEvEUlfE_NS0_6memory8policies10vectorizedILi4ESt5arrayIPcLm2EELi4EEEEEvT0_T1_
	.type	_ZN2at6native25elementwise_kernel_helperILb0EZZZNS0_12_GLOBAL__N_121bessel_j0_kernel_cudaERNS_18TensorIteratorBaseEENKUlvE_clEvENKUlvE0_clEvEUlfE_NS0_6memory8policies10vectorizedILi4ESt5arrayIPcLm2EELi4EEEEEvT0_T1_,@function
_ZN2at6native25elementwise_kernel_helperILb0EZZZNS0_12_GLOBAL__N_121bessel_j0_kernel_cudaERNS_18TensorIteratorBaseEENKUlvE_clEvENKUlvE0_clEvEUlfE_NS0_6memory8policies10vectorizedILi4ESt5arrayIPcLm2EELi4EEEEEvT0_T1_: ; @_ZN2at6native25elementwise_kernel_helperILb0EZZZNS0_12_GLOBAL__N_121bessel_j0_kernel_cudaERNS_18TensorIteratorBaseEENKUlvE_clEvENKUlvE0_clEvEUlfE_NS0_6memory8policies10vectorizedILi4ESt5arrayIPcLm2EELi4EEEEEvT0_T1_
; %bb.0:
	s_waitcnt vmcnt(0) expcnt(0) lgkmcnt(0)
	s_lshl_b32 s4, s12, 10
	s_ashr_i32 s5, s4, 31
	s_lshl_b64 s[10:11], s[4:5], 2
	v_mov_b32_e32 v4, s11
	v_add_co_u32_e32 v2, vcc, s10, v2
	v_addc_co_u32_e32 v3, vcc, v3, v4, vcc
	v_and_b32_e32 v4, 0x3ff, v31
	v_lshlrev_b32_e32 v6, 4, v4
	v_add_co_u32_e32 v2, vcc, v2, v6
	v_addc_co_u32_e32 v3, vcc, 0, v3, vcc
	flat_load_dwordx4 v[2:5], v[2:3]
	s_mov_b32 s4, 0x40a00000
	s_waitcnt vmcnt(0) lgkmcnt(0)
	v_cmp_gt_f32_e32 vcc, 0, v2
	v_cndmask_b32_e64 v7, v2, -v2, vcc
	v_cmp_ge_f32_e32 vcc, s4, v7
	v_mul_f32_e32 v13, v7, v7
                                        ; implicit-def: $vgpr2
	s_and_saveexec_b64 s[4:5], vcc
	s_xor_b64 s[4:5], exec, s[4:5]
	s_cbranch_execz .LBB13_6
; %bb.1:
	s_mov_b32 s6, 0x3727c5ac
	v_cmp_ngt_f32_e32 vcc, s6, v7
                                        ; implicit-def: $vgpr2
	s_and_saveexec_b64 s[6:7], vcc
	s_xor_b64 s[6:7], exec, s[6:7]
	s_cbranch_execz .LBB13_3
; %bb.2:
	v_mov_b32_e32 v2, 0xcf8ee29d
	v_fmac_f32_e32 v2, 0, v13
	v_mov_b32_e32 v7, 0x53e3ba8e
	v_fmac_f32_e32 v7, v13, v2
	;; [unrolled: 2-line block ×12, first 2 shown]
	v_add_f32_e32 v2, 0xc0b90fdc, v13
	v_add_f32_e32 v9, 0xc1f3c525, v13
	v_mul_f32_e32 v2, v2, v9
	v_mul_f32_e32 v2, v2, v7
	v_div_scale_f32 v7, s[8:9], v8, v8, v2
	v_div_scale_f32 v9, vcc, v2, v8, v2
                                        ; implicit-def: $vgpr13
	v_rcp_f32_e32 v10, v7
	v_fma_f32 v11, -v7, v10, 1.0
	v_fmac_f32_e32 v10, v11, v10
	v_mul_f32_e32 v11, v9, v10
	v_fma_f32 v12, -v7, v11, v9
	v_fmac_f32_e32 v11, v12, v10
	v_fma_f32 v7, -v7, v11, v9
	v_div_fmas_f32 v7, v7, v10, v11
	v_div_fixup_f32 v2, v7, v8, v2
.LBB13_3:
	s_andn2_saveexec_b64 s[6:7], s[6:7]
; %bb.4:
	s_mov_b32 s8, 0xbe800000
	v_fma_f32 v2, v13, s8, 1.0
; %bb.5:
	s_or_b64 exec, exec, s[6:7]
                                        ; implicit-def: $vgpr13
                                        ; implicit-def: $vgpr7
.LBB13_6:
	s_andn2_saveexec_b64 s[12:13], s[4:5]
	s_cbranch_execz .LBB13_16
; %bb.7:
	v_add_f32_e32 v2, 0xbf490fdb, v7
	v_and_b32_e32 v8, 0x7fffffff, v2
	s_brev_b32 s4, 18
	v_cmp_nlt_f32_e64 s[14:15], |v2|, s4
	v_lshrrev_b32_e32 v14, 23, v8
                                        ; implicit-def: $vgpr11
                                        ; implicit-def: $vgpr12
	s_and_saveexec_b64 s[4:5], s[14:15]
	s_xor_b64 s[16:17], exec, s[4:5]
	s_cbranch_execz .LBB13_9
; %bb.8:
	v_and_b32_e32 v9, 0x7fffff, v8
	v_or_b32_e32 v12, 0x800000, v9
	s_mov_b32 s4, 0xfe5163ab
	v_mad_u64_u32 v[9:10], s[4:5], v12, s4, 0
	v_mov_b32_e32 v11, 0
	s_mov_b32 s4, 0x3c439041
	v_mad_u64_u32 v[15:16], s[4:5], v12, s4, v[10:11]
	s_mov_b32 s4, 0xdb629599
	v_add_u32_e32 v20, 0xffffff88, v14
	v_mov_b32_e32 v10, v16
	v_mad_u64_u32 v[16:17], s[4:5], v12, s4, v[10:11]
	s_mov_b32 s4, 0xf534ddc0
	v_not_b32_e32 v21, 63
	v_mov_b32_e32 v10, v17
	v_mad_u64_u32 v[17:18], s[4:5], v12, s4, v[10:11]
	s_mov_b32 s4, 0xfc2757d1
	v_cmp_lt_u32_e32 vcc, 63, v20
	v_mov_b32_e32 v10, v18
	v_mad_u64_u32 v[18:19], s[4:5], v12, s4, v[10:11]
	v_cndmask_b32_e32 v10, 0, v21, vcc
	v_add_u32_e32 v21, v10, v20
	v_mov_b32_e32 v10, v19
	s_mov_b32 s4, 0x4e441529
	v_mad_u64_u32 v[19:20], s[4:5], v12, s4, v[10:11]
	v_not_b32_e32 v22, 31
	v_cmp_lt_u32_e64 s[4:5], 31, v21
	v_cndmask_b32_e64 v10, 0, v22, s[4:5]
	v_add_u32_e32 v21, v10, v21
	v_mov_b32_e32 v10, v20
	s_mov_b32 s6, 0xa2f9836e
	v_mad_u64_u32 v[10:11], s[6:7], v12, s6, v[10:11]
	v_cmp_lt_u32_e64 s[6:7], 31, v21
	v_cndmask_b32_e64 v12, 0, v22, s[6:7]
	v_cndmask_b32_e32 v20, v19, v17, vcc
	v_cndmask_b32_e32 v10, v10, v18, vcc
	;; [unrolled: 1-line block ×3, first 2 shown]
	v_add_u32_e32 v12, v12, v21
	v_cndmask_b32_e64 v21, v10, v20, s[4:5]
	v_cndmask_b32_e64 v10, v11, v10, s[4:5]
	v_cndmask_b32_e32 v11, v18, v16, vcc
	v_cndmask_b32_e64 v18, v20, v11, s[4:5]
	v_sub_u32_e32 v20, 32, v12
	v_cmp_eq_u32_e64 s[8:9], 0, v12
	v_cndmask_b32_e32 v12, v17, v15, vcc
	v_cndmask_b32_e64 v10, v10, v21, s[6:7]
	v_cndmask_b32_e64 v19, v21, v18, s[6:7]
	;; [unrolled: 1-line block ×3, first 2 shown]
	v_alignbit_b32 v21, v10, v19, v20
	v_cndmask_b32_e64 v15, v18, v11, s[6:7]
	v_cndmask_b32_e64 v10, v21, v10, s[8:9]
	v_alignbit_b32 v17, v19, v15, v20
	v_cndmask_b32_e32 v9, v16, v9, vcc
	v_cndmask_b32_e64 v17, v17, v19, s[8:9]
	v_bfe_u32 v21, v10, 29, 1
	v_cndmask_b32_e64 v9, v12, v9, s[4:5]
	v_alignbit_b32 v18, v10, v17, 30
	v_sub_u32_e32 v22, 0, v21
	v_cndmask_b32_e64 v9, v11, v9, s[6:7]
	v_xor_b32_e32 v18, v18, v22
	v_alignbit_b32 v11, v15, v9, v20
	v_cndmask_b32_e64 v11, v11, v15, s[8:9]
	v_ffbh_u32_e32 v15, v18
	v_alignbit_b32 v12, v17, v11, 30
	v_min_u32_e32 v15, 32, v15
	v_alignbit_b32 v9, v11, v9, 30
	v_xor_b32_e32 v12, v12, v22
	v_sub_u32_e32 v16, 31, v15
	v_xor_b32_e32 v9, v9, v22
	v_alignbit_b32 v17, v18, v12, v16
	v_alignbit_b32 v9, v12, v9, v16
	;; [unrolled: 1-line block ×3, first 2 shown]
	v_ffbh_u32_e32 v12, v11
	v_min_u32_e32 v12, 32, v12
	v_lshrrev_b32_e32 v19, 29, v10
	v_not_b32_e32 v16, v12
	v_alignbit_b32 v9, v11, v9, v16
	v_lshlrev_b32_e32 v11, 31, v19
	v_or_b32_e32 v16, 0x33000000, v11
	v_add_lshl_u32 v12, v12, v15, 23
	v_lshrrev_b32_e32 v9, 9, v9
	v_sub_u32_e32 v12, v16, v12
	v_or_b32_e32 v11, 0.5, v11
	v_lshlrev_b32_e32 v15, 23, v15
	v_or_b32_e32 v9, v12, v9
	v_lshrrev_b32_e32 v12, 9, v17
	v_sub_u32_e32 v11, v11, v15
	v_or_b32_e32 v11, v12, v11
	s_mov_b32 s4, 0x3fc90fda
	v_mul_f32_e32 v12, 0x3fc90fda, v11
	v_fma_f32 v15, v11, s4, -v12
	v_fmac_f32_e32 v15, 0x33a22168, v11
	v_fmac_f32_e32 v15, 0x3fc90fda, v9
	v_lshrrev_b32_e32 v9, 30, v10
	v_add_f32_e32 v12, v12, v15
	v_add_u32_e32 v11, v21, v9
	s_andn2_saveexec_b64 s[4:5], s[16:17]
	s_cbranch_execz .LBB13_11
	s_branch .LBB13_10
.LBB13_9:
	s_andn2_saveexec_b64 s[4:5], s[16:17]
	s_cbranch_execz .LBB13_11
.LBB13_10:
	s_mov_b32 s6, 0x3f22f983
	v_mul_f32_e64 v9, |v2|, s6
	v_rndne_f32_e32 v9, v9
	s_mov_b32 s6, 0xbfc90fda
	v_cvt_i32_f32_e32 v11, v9
	v_fma_f32 v12, v9, s6, |v2|
	v_fmac_f32_e32 v12, 0xb3a22168, v9
	v_fmac_f32_e32 v12, 0xa7c234c4, v9
.LBB13_11:
	s_or_b64 exec, exec, s[4:5]
                                        ; implicit-def: $vgpr9
                                        ; implicit-def: $vgpr10
	s_and_saveexec_b64 s[4:5], s[14:15]
	s_xor_b64 s[14:15], exec, s[4:5]
	s_cbranch_execz .LBB13_13
; %bb.12:
	v_and_b32_e32 v9, 0x7fffff, v8
	v_or_b32_e32 v22, 0x800000, v9
	s_mov_b32 s4, 0xfe5163ab
	v_mad_u64_u32 v[9:10], s[4:5], v22, s4, 0
	v_mov_b32_e32 v16, 0
	s_mov_b32 s4, 0x3c439041
	v_mov_b32_e32 v15, v10
	v_mad_u64_u32 v[17:18], s[4:5], v22, s4, v[15:16]
	s_mov_b32 s4, 0xdb629599
	v_add_u32_e32 v10, 0xffffff88, v14
	v_mov_b32_e32 v15, v18
	v_mad_u64_u32 v[18:19], s[4:5], v22, s4, v[15:16]
	s_mov_b32 s4, 0xf534ddc0
	v_not_b32_e32 v21, 63
	v_mov_b32_e32 v15, v19
	v_mad_u64_u32 v[19:20], s[4:5], v22, s4, v[15:16]
	s_mov_b32 s4, 0xfc2757d1
	v_cmp_lt_u32_e32 vcc, 63, v10
	v_mov_b32_e32 v15, v20
	v_mad_u64_u32 v[14:15], s[4:5], v22, s4, v[15:16]
	v_cndmask_b32_e32 v20, 0, v21, vcc
	s_mov_b32 s4, 0x4e441529
	v_add_u32_e32 v10, v20, v10
	v_mad_u64_u32 v[20:21], s[4:5], v22, s4, v[15:16]
	v_not_b32_e32 v23, 31
	v_cmp_lt_u32_e64 s[4:5], 31, v10
	v_cndmask_b32_e64 v15, 0, v23, s[4:5]
	v_add_u32_e32 v10, v15, v10
	v_mov_b32_e32 v15, v21
	s_mov_b32 s6, 0xa2f9836e
	v_mad_u64_u32 v[15:16], s[6:7], v22, s6, v[15:16]
	v_cmp_lt_u32_e64 s[6:7], 31, v10
	v_cndmask_b32_e64 v21, 0, v23, s[6:7]
	v_cndmask_b32_e32 v17, v19, v17, vcc
	v_cndmask_b32_e32 v19, v20, v19, vcc
	;; [unrolled: 1-line block ×5, first 2 shown]
	v_add_u32_e32 v10, v21, v10
	v_cndmask_b32_e64 v20, v15, v19, s[4:5]
	v_cndmask_b32_e64 v15, v16, v15, s[4:5]
	;; [unrolled: 1-line block ×5, first 2 shown]
	v_sub_u32_e32 v20, 32, v10
	v_cmp_eq_u32_e64 s[8:9], 0, v10
	v_cndmask_b32_e64 v10, v14, v17, s[4:5]
	v_alignbit_b32 v21, v15, v19, v20
	v_cndmask_b32_e64 v14, v16, v10, s[6:7]
	v_cndmask_b32_e32 v9, v18, v9, vcc
	v_cndmask_b32_e64 v15, v21, v15, s[8:9]
	v_alignbit_b32 v16, v19, v14, v20
	v_cndmask_b32_e64 v9, v17, v9, s[4:5]
	v_cndmask_b32_e64 v16, v16, v19, s[8:9]
	v_bfe_u32 v18, v15, 29, 1
	v_cndmask_b32_e64 v9, v10, v9, s[6:7]
	v_alignbit_b32 v19, v15, v16, 30
	v_sub_u32_e32 v22, 0, v18
	v_alignbit_b32 v10, v14, v9, v20
	v_xor_b32_e32 v19, v19, v22
	v_cndmask_b32_e64 v10, v10, v14, s[8:9]
	v_alignbit_b32 v14, v16, v10, 30
	v_ffbh_u32_e32 v16, v19
	v_min_u32_e32 v16, 32, v16
	v_alignbit_b32 v9, v10, v9, 30
	v_xor_b32_e32 v14, v14, v22
	v_sub_u32_e32 v17, 31, v16
	v_xor_b32_e32 v9, v9, v22
	v_alignbit_b32 v19, v19, v14, v17
	v_alignbit_b32 v9, v14, v9, v17
	;; [unrolled: 1-line block ×3, first 2 shown]
	v_ffbh_u32_e32 v14, v10
	v_min_u32_e32 v14, 32, v14
	v_lshrrev_b32_e32 v21, 29, v15
	v_not_b32_e32 v17, v14
	v_alignbit_b32 v9, v10, v9, v17
	v_lshlrev_b32_e32 v10, 31, v21
	v_or_b32_e32 v17, 0x33000000, v10
	v_add_lshl_u32 v14, v14, v16, 23
	v_lshrrev_b32_e32 v9, 9, v9
	v_sub_u32_e32 v14, v17, v14
	v_or_b32_e32 v10, 0.5, v10
	v_lshlrev_b32_e32 v16, 23, v16
	v_or_b32_e32 v9, v14, v9
	v_lshrrev_b32_e32 v14, 9, v19
	v_sub_u32_e32 v10, v10, v16
	v_or_b32_e32 v10, v14, v10
	s_mov_b32 s4, 0x3fc90fda
	v_mul_f32_e32 v14, 0x3fc90fda, v10
	v_fma_f32 v16, v10, s4, -v14
	v_fmac_f32_e32 v16, 0x33a22168, v10
	v_fmac_f32_e32 v16, 0x3fc90fda, v9
	v_lshrrev_b32_e32 v9, 30, v15
	v_add_f32_e32 v10, v14, v16
	v_add_u32_e32 v9, v18, v9
	s_andn2_saveexec_b64 s[4:5], s[14:15]
	s_cbranch_execnz .LBB13_14
	s_branch .LBB13_15
.LBB13_13:
	s_andn2_saveexec_b64 s[4:5], s[14:15]
	s_cbranch_execz .LBB13_15
.LBB13_14:
	s_mov_b32 s6, 0x3f22f983
	v_mul_f32_e64 v9, |v2|, s6
	v_rndne_f32_e32 v14, v9
	s_mov_b32 s6, 0xbfc90fda
	v_cvt_i32_f32_e32 v9, v14
	v_fma_f32 v10, v14, s6, |v2|
	v_fmac_f32_e32 v10, 0xb3a22168, v14
	v_fmac_f32_e32 v10, 0xa7c234c4, v14
.LBB13_15:
	s_or_b64 exec, exec, s[4:5]
	s_mov_b32 s6, 0x41c80000
	v_div_scale_f32 v14, s[4:5], v13, v13, s6
	v_mov_b32_e32 v22, 0xbf000004
	s_mov_b32 s8, 0xc0a00000
	v_rcp_f32_e32 v15, v14
	v_fma_f32 v16, -v14, v15, 1.0
	v_fmac_f32_e32 v15, v16, v15
	v_div_scale_f32 v16, vcc, s6, v13, s6
	v_mul_f32_e32 v17, v16, v15
	v_fma_f32 v18, -v14, v17, v16
	v_fmac_f32_e32 v17, v18, v15
	v_fma_f32 v14, -v14, v17, v16
	v_div_fmas_f32 v14, v14, v15, v17
	v_mov_b32_e32 v15, 0x3da9a586
	v_mov_b32_e32 v16, 0x3daf5e2d
	;; [unrolled: 1-line block ×4, first 2 shown]
	v_div_fixup_f32 v13, v14, v13, s6
	v_mov_b32_e32 v14, 0x3a50e985
	v_fmac_f32_e32 v14, 0, v13
	v_fmac_f32_e32 v15, v13, v14
	v_mov_b32_e32 v14, 0x3f9ea90a
	v_fmac_f32_e32 v14, v13, v15
	v_mov_b32_e32 v15, 0x40ae4fdf
	v_fmac_f32_e32 v15, v13, v14
	v_mov_b32_e32 v14, 0x410bf463
	v_fmac_f32_e32 v14, v13, v15
	v_mov_b32_e32 v15, 0x40a9b425
	v_fmac_f32_e32 v15, v13, v14
	v_mov_b32_e32 v14, 0x3a725406
	v_fmac_f32_e32 v14, 0, v13
	v_fmac_f32_e32 v16, v13, v14
	v_mov_b32_e32 v14, 0x3fa07396
	v_fmac_f32_e32 v14, v13, v16
	v_mov_b32_e32 v16, 0x40af123f
	;; [unrolled: 2-line block ×4, first 2 shown]
	v_fmac_f32_e32 v16, v13, v14
	v_fma_f32 v14, v13, v16, 1.0
	v_mov_b32_e32 v16, 0xbc3a3a12
	v_fmac_f32_e32 v16, 0, v13
	v_fmac_f32_e32 v17, v13, v16
	v_mov_b32_e32 v16, 0xc19c6e80
	v_fmac_f32_e32 v16, v13, v17
	v_mov_b32_e32 v17, 0xc2ba697b
	;; [unrolled: 2-line block ×7, first 2 shown]
	v_fmac_f32_e32 v16, 0, v13
	v_fmac_f32_e32 v18, v13, v16
	v_mov_b32_e32 v16, 0x4572a66e
	v_fmac_f32_e32 v16, v13, v18
	v_mov_b32_e32 v18, 0x45e243be
	;; [unrolled: 2-line block ×5, first 2 shown]
	v_fmac_f32_e32 v16, v13, v18
	v_fma_f32 v13, v13, v15, 1.0
	v_div_scale_f32 v15, s[4:5], v14, v14, v13
	s_movk_i32 s4, 0x1f8
	v_cmp_class_f32_e64 s[4:5], v2, s4
	v_xor_b32_e32 v2, v8, v2
	v_mul_f32_e32 v8, 0x4f800000, v7
	v_rcp_f32_e32 v18, v15
	v_fma_f32 v19, -v15, v18, 1.0
	v_fmac_f32_e32 v18, v19, v18
	v_div_scale_f32 v19, vcc, v13, v14, v13
	v_mul_f32_e32 v20, v19, v18
	v_fma_f32 v21, -v15, v20, v19
	v_fmac_f32_e32 v20, v21, v18
	v_fma_f32 v15, -v15, v20, v19
	v_div_fmas_f32 v15, v15, v18, v20
	v_mov_b32_e32 v20, 0xbab64f3b
	v_mov_b32_e32 v18, 0x3c0881c4
	;; [unrolled: 1-line block ×4, first 2 shown]
	v_div_fixup_f32 v13, v15, v14, v13
	v_mul_f32_e32 v14, v12, v12
	v_fmac_f32_e32 v20, 0x37d75334, v14
	v_fmac_f32_e32 v18, 0xb94c1982, v14
	v_fma_f32 v20, v14, v20, v21
	v_fma_f32 v18, v14, v18, v19
	;; [unrolled: 1-line block ×3, first 2 shown]
	v_mul_f32_e32 v18, v14, v18
	v_fma_f32 v14, v14, v20, 1.0
	v_and_b32_e32 v20, 1, v11
	v_fmac_f32_e32 v12, v12, v18
	v_cmp_eq_u32_e32 vcc, 0, v20
	v_cndmask_b32_e64 v12, -v12, v14, vcc
	v_div_scale_f32 v14, s[6:7], v7, v7, s8
	v_mov_b32_e32 v15, 0x3c0881c4
	v_mov_b32_e32 v18, 0xbab64f3b
	v_lshlrev_b32_e32 v11, 30, v11
	v_and_b32_e32 v11, 0x80000000, v11
	v_xor_b32_e32 v11, v11, v12
	v_mov_b32_e32 v12, 0x7fc00000
	v_cndmask_b32_e64 v11, v12, v11, s[4:5]
	v_rcp_f32_e32 v20, v14
	v_fma_f32 v23, -v14, v20, 1.0
	v_fmac_f32_e32 v20, v23, v20
	v_div_scale_f32 v23, vcc, s8, v7, s8
	v_mul_f32_e32 v24, v23, v20
	v_fma_f32 v25, -v14, v24, v23
	v_fmac_f32_e32 v24, v25, v20
	v_fma_f32 v14, -v14, v24, v23
	v_div_fmas_f32 v14, v14, v20, v24
	v_div_scale_f32 v20, s[6:7], v16, v16, v17
	v_div_fixup_f32 v14, v14, v7, s8
	v_rcp_f32_e32 v23, v20
	v_fma_f32 v24, -v20, v23, 1.0
	v_fmac_f32_e32 v23, v24, v23
	v_div_scale_f32 v24, vcc, v17, v16, v17
	v_mul_f32_e32 v25, v24, v23
	v_fma_f32 v26, -v20, v25, v24
	v_fmac_f32_e32 v25, v26, v23
	v_fma_f32 v20, -v20, v25, v24
	v_div_fmas_f32 v20, v20, v23, v25
	v_div_fixup_f32 v16, v20, v16, v17
	v_mul_f32_e32 v14, v14, v16
	v_mul_f32_e32 v16, v10, v10
	v_fmac_f32_e32 v15, 0xb94c1982, v16
	v_fmac_f32_e32 v18, 0x37d75334, v16
	;; [unrolled: 1-line block ×4, first 2 shown]
	v_mul_f32_e32 v15, v16, v19
	v_fmac_f32_e32 v22, v16, v21
	v_fmac_f32_e32 v10, v10, v15
	v_fma_f32 v15, v16, v22, 1.0
	v_and_b32_e32 v16, 1, v9
	v_lshlrev_b32_e32 v9, 30, v9
	v_cmp_eq_u32_e32 vcc, 0, v16
	v_and_b32_e32 v9, 0x80000000, v9
	v_cndmask_b32_e32 v10, v15, v10, vcc
	v_xor_b32_e32 v2, v2, v9
	v_xor_b32_e32 v2, v2, v10
	v_cndmask_b32_e64 v2, v12, v2, s[4:5]
	s_mov_b32 s4, 0xf800000
	v_cmp_gt_f32_e32 vcc, s4, v7
	v_cndmask_b32_e32 v7, v7, v8, vcc
	v_sqrt_f32_e32 v8, v7
	v_mul_f32_e32 v2, v14, v2
	v_fmac_f32_e32 v2, v13, v11
	v_mul_f32_e32 v2, 0x3f4c422a, v2
	v_add_u32_e32 v9, -1, v8
	v_fma_f32 v10, -v9, v8, v7
	v_cmp_ge_f32_e64 s[4:5], 0, v10
	v_add_u32_e32 v10, 1, v8
	v_cndmask_b32_e64 v9, v8, v9, s[4:5]
	v_fma_f32 v8, -v10, v8, v7
	v_cmp_lt_f32_e64 s[4:5], 0, v8
	v_cndmask_b32_e64 v8, v9, v10, s[4:5]
	v_mul_f32_e32 v9, 0x37800000, v8
	v_cndmask_b32_e32 v8, v8, v9, vcc
	v_mov_b32_e32 v9, 0x260
	v_cmp_class_f32_e32 vcc, v7, v9
	v_cndmask_b32_e32 v7, v8, v7, vcc
	v_div_scale_f32 v8, s[4:5], v7, v7, v2
	v_rcp_f32_e32 v9, v8
	v_fma_f32 v10, -v8, v9, 1.0
	v_fmac_f32_e32 v9, v10, v9
	v_div_scale_f32 v10, vcc, v2, v7, v2
	v_mul_f32_e32 v11, v10, v9
	v_fma_f32 v12, -v8, v11, v10
	v_fmac_f32_e32 v11, v12, v9
	v_fma_f32 v8, -v8, v11, v10
	v_div_fmas_f32 v8, v8, v9, v11
	v_div_fixup_f32 v2, v8, v7, v2
.LBB13_16:
	s_or_b64 exec, exec, s[12:13]
	v_cmp_gt_f32_e32 vcc, 0, v3
	v_cndmask_b32_e64 v7, v3, -v3, vcc
	s_mov_b32 s4, 0x40a00000
	v_cmp_ge_f32_e32 vcc, s4, v7
	v_mul_f32_e32 v13, v7, v7
	s_and_saveexec_b64 s[4:5], vcc
	s_xor_b64 s[4:5], exec, s[4:5]
	s_cbranch_execz .LBB13_22
; %bb.17:
	s_mov_b32 s6, 0x3727c5ac
	v_cmp_ngt_f32_e32 vcc, s6, v7
	s_and_saveexec_b64 s[6:7], vcc
	s_xor_b64 s[6:7], exec, s[6:7]
	s_cbranch_execz .LBB13_19
; %bb.18:
	v_mov_b32_e32 v3, 0xcf8ee29d
	v_fmac_f32_e32 v3, 0, v13
	v_mov_b32_e32 v7, 0x53e3ba8e
	v_fmac_f32_e32 v7, v13, v3
	;; [unrolled: 2-line block ×12, first 2 shown]
	v_add_f32_e32 v3, 0xc0b90fdc, v13
	v_add_f32_e32 v9, 0xc1f3c525, v13
	v_mul_f32_e32 v3, v3, v9
	v_mul_f32_e32 v3, v3, v7
	v_div_scale_f32 v7, s[8:9], v8, v8, v3
	v_div_scale_f32 v9, vcc, v3, v8, v3
                                        ; implicit-def: $vgpr13
	v_rcp_f32_e32 v10, v7
	v_fma_f32 v11, -v7, v10, 1.0
	v_fmac_f32_e32 v10, v11, v10
	v_mul_f32_e32 v11, v9, v10
	v_fma_f32 v12, -v7, v11, v9
	v_fmac_f32_e32 v11, v12, v10
	v_fma_f32 v7, -v7, v11, v9
	v_div_fmas_f32 v7, v7, v10, v11
	v_div_fixup_f32 v3, v7, v8, v3
.LBB13_19:
	s_andn2_saveexec_b64 s[6:7], s[6:7]
; %bb.20:
	s_mov_b32 s8, 0xbe800000
	v_fma_f32 v3, v13, s8, 1.0
; %bb.21:
	s_or_b64 exec, exec, s[6:7]
                                        ; implicit-def: $vgpr13
                                        ; implicit-def: $vgpr7
.LBB13_22:
	s_andn2_saveexec_b64 s[12:13], s[4:5]
	s_cbranch_execz .LBB13_32
; %bb.23:
	v_add_f32_e32 v3, 0xbf490fdb, v7
	v_and_b32_e32 v8, 0x7fffffff, v3
	s_brev_b32 s4, 18
	v_cmp_nlt_f32_e64 s[14:15], |v3|, s4
	v_lshrrev_b32_e32 v14, 23, v8
                                        ; implicit-def: $vgpr11
                                        ; implicit-def: $vgpr12
	s_and_saveexec_b64 s[4:5], s[14:15]
	s_xor_b64 s[16:17], exec, s[4:5]
	s_cbranch_execz .LBB13_25
; %bb.24:
	v_and_b32_e32 v9, 0x7fffff, v8
	v_or_b32_e32 v12, 0x800000, v9
	s_mov_b32 s4, 0xfe5163ab
	v_mad_u64_u32 v[9:10], s[4:5], v12, s4, 0
	v_mov_b32_e32 v11, 0
	s_mov_b32 s4, 0x3c439041
	v_mad_u64_u32 v[15:16], s[4:5], v12, s4, v[10:11]
	s_mov_b32 s4, 0xdb629599
	v_add_u32_e32 v20, 0xffffff88, v14
	v_mov_b32_e32 v10, v16
	v_mad_u64_u32 v[16:17], s[4:5], v12, s4, v[10:11]
	s_mov_b32 s4, 0xf534ddc0
	v_not_b32_e32 v21, 63
	v_mov_b32_e32 v10, v17
	v_mad_u64_u32 v[17:18], s[4:5], v12, s4, v[10:11]
	s_mov_b32 s4, 0xfc2757d1
	v_cmp_lt_u32_e32 vcc, 63, v20
	v_mov_b32_e32 v10, v18
	v_mad_u64_u32 v[18:19], s[4:5], v12, s4, v[10:11]
	v_cndmask_b32_e32 v10, 0, v21, vcc
	v_add_u32_e32 v21, v10, v20
	v_mov_b32_e32 v10, v19
	s_mov_b32 s4, 0x4e441529
	v_mad_u64_u32 v[19:20], s[4:5], v12, s4, v[10:11]
	v_not_b32_e32 v22, 31
	v_cmp_lt_u32_e64 s[4:5], 31, v21
	v_cndmask_b32_e64 v10, 0, v22, s[4:5]
	v_add_u32_e32 v21, v10, v21
	v_mov_b32_e32 v10, v20
	s_mov_b32 s6, 0xa2f9836e
	v_mad_u64_u32 v[10:11], s[6:7], v12, s6, v[10:11]
	v_cmp_lt_u32_e64 s[6:7], 31, v21
	v_cndmask_b32_e64 v12, 0, v22, s[6:7]
	v_cndmask_b32_e32 v20, v19, v17, vcc
	v_cndmask_b32_e32 v10, v10, v18, vcc
	;; [unrolled: 1-line block ×3, first 2 shown]
	v_add_u32_e32 v12, v12, v21
	v_cndmask_b32_e64 v21, v10, v20, s[4:5]
	v_cndmask_b32_e64 v10, v11, v10, s[4:5]
	v_cndmask_b32_e32 v11, v18, v16, vcc
	v_cndmask_b32_e64 v18, v20, v11, s[4:5]
	v_sub_u32_e32 v20, 32, v12
	v_cmp_eq_u32_e64 s[8:9], 0, v12
	v_cndmask_b32_e32 v12, v17, v15, vcc
	v_cndmask_b32_e64 v10, v10, v21, s[6:7]
	v_cndmask_b32_e64 v19, v21, v18, s[6:7]
	;; [unrolled: 1-line block ×3, first 2 shown]
	v_alignbit_b32 v21, v10, v19, v20
	v_cndmask_b32_e64 v15, v18, v11, s[6:7]
	v_cndmask_b32_e64 v10, v21, v10, s[8:9]
	v_alignbit_b32 v17, v19, v15, v20
	v_cndmask_b32_e32 v9, v16, v9, vcc
	v_cndmask_b32_e64 v17, v17, v19, s[8:9]
	v_bfe_u32 v21, v10, 29, 1
	v_cndmask_b32_e64 v9, v12, v9, s[4:5]
	v_alignbit_b32 v18, v10, v17, 30
	v_sub_u32_e32 v22, 0, v21
	v_cndmask_b32_e64 v9, v11, v9, s[6:7]
	v_xor_b32_e32 v18, v18, v22
	v_alignbit_b32 v11, v15, v9, v20
	v_cndmask_b32_e64 v11, v11, v15, s[8:9]
	v_ffbh_u32_e32 v15, v18
	v_alignbit_b32 v12, v17, v11, 30
	v_min_u32_e32 v15, 32, v15
	v_alignbit_b32 v9, v11, v9, 30
	v_xor_b32_e32 v12, v12, v22
	v_sub_u32_e32 v16, 31, v15
	v_xor_b32_e32 v9, v9, v22
	v_alignbit_b32 v17, v18, v12, v16
	v_alignbit_b32 v9, v12, v9, v16
	;; [unrolled: 1-line block ×3, first 2 shown]
	v_ffbh_u32_e32 v12, v11
	v_min_u32_e32 v12, 32, v12
	v_lshrrev_b32_e32 v19, 29, v10
	v_not_b32_e32 v16, v12
	v_alignbit_b32 v9, v11, v9, v16
	v_lshlrev_b32_e32 v11, 31, v19
	v_or_b32_e32 v16, 0x33000000, v11
	v_add_lshl_u32 v12, v12, v15, 23
	v_lshrrev_b32_e32 v9, 9, v9
	v_sub_u32_e32 v12, v16, v12
	v_or_b32_e32 v11, 0.5, v11
	v_lshlrev_b32_e32 v15, 23, v15
	v_or_b32_e32 v9, v12, v9
	v_lshrrev_b32_e32 v12, 9, v17
	v_sub_u32_e32 v11, v11, v15
	v_or_b32_e32 v11, v12, v11
	s_mov_b32 s4, 0x3fc90fda
	v_mul_f32_e32 v12, 0x3fc90fda, v11
	v_fma_f32 v15, v11, s4, -v12
	v_fmac_f32_e32 v15, 0x33a22168, v11
	v_fmac_f32_e32 v15, 0x3fc90fda, v9
	v_lshrrev_b32_e32 v9, 30, v10
	v_add_f32_e32 v12, v12, v15
	v_add_u32_e32 v11, v21, v9
	s_andn2_saveexec_b64 s[4:5], s[16:17]
	s_cbranch_execz .LBB13_27
	s_branch .LBB13_26
.LBB13_25:
	s_andn2_saveexec_b64 s[4:5], s[16:17]
	s_cbranch_execz .LBB13_27
.LBB13_26:
	s_mov_b32 s6, 0x3f22f983
	v_mul_f32_e64 v9, |v3|, s6
	v_rndne_f32_e32 v9, v9
	s_mov_b32 s6, 0xbfc90fda
	v_cvt_i32_f32_e32 v11, v9
	v_fma_f32 v12, v9, s6, |v3|
	v_fmac_f32_e32 v12, 0xb3a22168, v9
	v_fmac_f32_e32 v12, 0xa7c234c4, v9
.LBB13_27:
	s_or_b64 exec, exec, s[4:5]
                                        ; implicit-def: $vgpr9
                                        ; implicit-def: $vgpr10
	s_and_saveexec_b64 s[4:5], s[14:15]
	s_xor_b64 s[14:15], exec, s[4:5]
	s_cbranch_execz .LBB13_29
; %bb.28:
	v_and_b32_e32 v9, 0x7fffff, v8
	v_or_b32_e32 v22, 0x800000, v9
	s_mov_b32 s4, 0xfe5163ab
	v_mad_u64_u32 v[9:10], s[4:5], v22, s4, 0
	v_mov_b32_e32 v16, 0
	s_mov_b32 s4, 0x3c439041
	v_mov_b32_e32 v15, v10
	v_mad_u64_u32 v[17:18], s[4:5], v22, s4, v[15:16]
	s_mov_b32 s4, 0xdb629599
	v_add_u32_e32 v10, 0xffffff88, v14
	v_mov_b32_e32 v15, v18
	v_mad_u64_u32 v[18:19], s[4:5], v22, s4, v[15:16]
	s_mov_b32 s4, 0xf534ddc0
	v_not_b32_e32 v21, 63
	v_mov_b32_e32 v15, v19
	v_mad_u64_u32 v[19:20], s[4:5], v22, s4, v[15:16]
	s_mov_b32 s4, 0xfc2757d1
	v_cmp_lt_u32_e32 vcc, 63, v10
	v_mov_b32_e32 v15, v20
	v_mad_u64_u32 v[14:15], s[4:5], v22, s4, v[15:16]
	v_cndmask_b32_e32 v20, 0, v21, vcc
	s_mov_b32 s4, 0x4e441529
	v_add_u32_e32 v10, v20, v10
	v_mad_u64_u32 v[20:21], s[4:5], v22, s4, v[15:16]
	v_not_b32_e32 v23, 31
	v_cmp_lt_u32_e64 s[4:5], 31, v10
	v_cndmask_b32_e64 v15, 0, v23, s[4:5]
	v_add_u32_e32 v10, v15, v10
	v_mov_b32_e32 v15, v21
	s_mov_b32 s6, 0xa2f9836e
	v_mad_u64_u32 v[15:16], s[6:7], v22, s6, v[15:16]
	v_cmp_lt_u32_e64 s[6:7], 31, v10
	v_cndmask_b32_e64 v21, 0, v23, s[6:7]
	v_add_u32_e32 v10, v21, v10
	v_cndmask_b32_e32 v21, v20, v19, vcc
	v_cndmask_b32_e32 v15, v15, v14, vcc
	;; [unrolled: 1-line block ×4, first 2 shown]
	v_cndmask_b32_e64 v22, v15, v21, s[4:5]
	v_cndmask_b32_e64 v15, v16, v15, s[4:5]
	;; [unrolled: 1-line block ×3, first 2 shown]
	v_sub_u32_e32 v21, 32, v10
	v_cmp_eq_u32_e64 s[8:9], 0, v10
	v_cndmask_b32_e32 v10, v19, v17, vcc
	v_cndmask_b32_e64 v15, v15, v22, s[6:7]
	v_cndmask_b32_e64 v20, v22, v16, s[6:7]
	;; [unrolled: 1-line block ×3, first 2 shown]
	v_alignbit_b32 v22, v15, v20, v21
	v_cndmask_b32_e64 v16, v16, v14, s[6:7]
	v_cndmask_b32_e64 v15, v22, v15, s[8:9]
	v_alignbit_b32 v17, v20, v16, v21
	v_cndmask_b32_e32 v9, v18, v9, vcc
	v_cndmask_b32_e64 v17, v17, v20, s[8:9]
	v_bfe_u32 v22, v15, 29, 1
	v_cndmask_b32_e64 v9, v10, v9, s[4:5]
	v_alignbit_b32 v19, v15, v17, 30
	v_sub_u32_e32 v23, 0, v22
	v_cndmask_b32_e64 v9, v14, v9, s[6:7]
	v_xor_b32_e32 v19, v19, v23
	v_alignbit_b32 v10, v16, v9, v21
	v_cndmask_b32_e64 v10, v10, v16, s[8:9]
	v_ffbh_u32_e32 v16, v19
	v_alignbit_b32 v14, v17, v10, 30
	v_min_u32_e32 v16, 32, v16
	v_alignbit_b32 v9, v10, v9, 30
	v_xor_b32_e32 v14, v14, v23
	v_sub_u32_e32 v17, 31, v16
	v_xor_b32_e32 v9, v9, v23
	v_alignbit_b32 v18, v19, v14, v17
	v_alignbit_b32 v9, v14, v9, v17
	;; [unrolled: 1-line block ×3, first 2 shown]
	v_ffbh_u32_e32 v14, v10
	v_min_u32_e32 v14, 32, v14
	v_lshrrev_b32_e32 v20, 29, v15
	v_not_b32_e32 v17, v14
	v_alignbit_b32 v9, v10, v9, v17
	v_lshlrev_b32_e32 v10, 31, v20
	v_or_b32_e32 v17, 0x33000000, v10
	v_add_lshl_u32 v14, v14, v16, 23
	v_lshrrev_b32_e32 v9, 9, v9
	v_sub_u32_e32 v14, v17, v14
	v_or_b32_e32 v10, 0.5, v10
	v_lshlrev_b32_e32 v16, 23, v16
	v_or_b32_e32 v9, v14, v9
	v_lshrrev_b32_e32 v14, 9, v18
	v_sub_u32_e32 v10, v10, v16
	v_or_b32_e32 v10, v14, v10
	s_mov_b32 s4, 0x3fc90fda
	v_mul_f32_e32 v14, 0x3fc90fda, v10
	v_fma_f32 v16, v10, s4, -v14
	v_fmac_f32_e32 v16, 0x33a22168, v10
	v_fmac_f32_e32 v16, 0x3fc90fda, v9
	v_lshrrev_b32_e32 v9, 30, v15
	v_add_f32_e32 v10, v14, v16
	v_add_u32_e32 v9, v22, v9
	s_andn2_saveexec_b64 s[4:5], s[14:15]
	s_cbranch_execnz .LBB13_30
	s_branch .LBB13_31
.LBB13_29:
	s_andn2_saveexec_b64 s[4:5], s[14:15]
	s_cbranch_execz .LBB13_31
.LBB13_30:
	s_mov_b32 s6, 0x3f22f983
	v_mul_f32_e64 v9, |v3|, s6
	v_rndne_f32_e32 v14, v9
	s_mov_b32 s6, 0xbfc90fda
	v_cvt_i32_f32_e32 v9, v14
	v_fma_f32 v10, v14, s6, |v3|
	v_fmac_f32_e32 v10, 0xb3a22168, v14
	v_fmac_f32_e32 v10, 0xa7c234c4, v14
.LBB13_31:
	s_or_b64 exec, exec, s[4:5]
	s_mov_b32 s6, 0x41c80000
	v_div_scale_f32 v14, s[4:5], v13, v13, s6
	v_mov_b32_e32 v22, 0xbf000004
	s_mov_b32 s8, 0xc0a00000
	v_rcp_f32_e32 v15, v14
	v_fma_f32 v16, -v14, v15, 1.0
	v_fmac_f32_e32 v15, v16, v15
	v_div_scale_f32 v16, vcc, s6, v13, s6
	v_mul_f32_e32 v17, v16, v15
	v_fma_f32 v18, -v14, v17, v16
	v_fmac_f32_e32 v17, v18, v15
	v_fma_f32 v14, -v14, v17, v16
	v_div_fmas_f32 v14, v14, v15, v17
	v_mov_b32_e32 v15, 0x3da9a586
	v_mov_b32_e32 v16, 0x3daf5e2d
	;; [unrolled: 1-line block ×4, first 2 shown]
	v_div_fixup_f32 v13, v14, v13, s6
	v_mov_b32_e32 v14, 0x3a50e985
	v_fmac_f32_e32 v14, 0, v13
	v_fmac_f32_e32 v15, v13, v14
	v_mov_b32_e32 v14, 0x3f9ea90a
	v_fmac_f32_e32 v14, v13, v15
	v_mov_b32_e32 v15, 0x40ae4fdf
	;; [unrolled: 2-line block ×5, first 2 shown]
	v_fmac_f32_e32 v14, 0, v13
	v_fmac_f32_e32 v16, v13, v14
	v_mov_b32_e32 v14, 0x3fa07396
	v_fmac_f32_e32 v14, v13, v16
	v_mov_b32_e32 v16, 0x40af123f
	;; [unrolled: 2-line block ×4, first 2 shown]
	v_fmac_f32_e32 v16, v13, v14
	v_fma_f32 v14, v13, v16, 1.0
	v_mov_b32_e32 v16, 0xbc3a3a12
	v_fmac_f32_e32 v16, 0, v13
	v_fmac_f32_e32 v17, v13, v16
	v_mov_b32_e32 v16, 0xc19c6e80
	v_fmac_f32_e32 v16, v13, v17
	v_mov_b32_e32 v17, 0xc2ba697b
	v_fmac_f32_e32 v17, v13, v16
	v_mov_b32_e32 v16, 0xc331ae61
	v_fmac_f32_e32 v16, v13, v17
	v_mov_b32_e32 v17, 0xc31313d7
	v_fmac_f32_e32 v17, v13, v16
	v_mov_b32_e32 v16, 0xc24da463
	v_fmac_f32_e32 v16, v13, v17
	v_mov_b32_e32 v17, 0xc0c19ac7
	v_fmac_f32_e32 v17, v13, v16
	v_mov_b32_e32 v16, 0x4280a2ba
	v_fmac_f32_e32 v16, 0, v13
	v_fmac_f32_e32 v18, v13, v16
	v_mov_b32_e32 v16, 0x4572a66e
	v_fmac_f32_e32 v16, v13, v18
	v_mov_b32_e32 v18, 0x45e243be
	;; [unrolled: 2-line block ×5, first 2 shown]
	v_fmac_f32_e32 v16, v13, v18
	v_fma_f32 v13, v13, v15, 1.0
	v_div_scale_f32 v15, s[4:5], v14, v14, v13
	s_movk_i32 s4, 0x1f8
	v_cmp_class_f32_e64 s[4:5], v3, s4
	v_xor_b32_e32 v3, v8, v3
	v_mul_f32_e32 v8, 0x4f800000, v7
	v_rcp_f32_e32 v18, v15
	v_fma_f32 v19, -v15, v18, 1.0
	v_fmac_f32_e32 v18, v19, v18
	v_div_scale_f32 v19, vcc, v13, v14, v13
	v_mul_f32_e32 v20, v19, v18
	v_fma_f32 v21, -v15, v20, v19
	v_fmac_f32_e32 v20, v21, v18
	v_fma_f32 v15, -v15, v20, v19
	v_div_fmas_f32 v15, v15, v18, v20
	v_mov_b32_e32 v20, 0xbab64f3b
	v_mov_b32_e32 v18, 0x3c0881c4
	;; [unrolled: 1-line block ×4, first 2 shown]
	v_div_fixup_f32 v13, v15, v14, v13
	v_mul_f32_e32 v14, v12, v12
	v_fmac_f32_e32 v20, 0x37d75334, v14
	v_fmac_f32_e32 v18, 0xb94c1982, v14
	v_fma_f32 v20, v14, v20, v21
	v_fma_f32 v18, v14, v18, v19
	;; [unrolled: 1-line block ×3, first 2 shown]
	v_mul_f32_e32 v18, v14, v18
	v_fma_f32 v14, v14, v20, 1.0
	v_and_b32_e32 v20, 1, v11
	v_fmac_f32_e32 v12, v12, v18
	v_cmp_eq_u32_e32 vcc, 0, v20
	v_cndmask_b32_e64 v12, -v12, v14, vcc
	v_div_scale_f32 v14, s[6:7], v7, v7, s8
	v_mov_b32_e32 v15, 0x3c0881c4
	v_mov_b32_e32 v18, 0xbab64f3b
	v_lshlrev_b32_e32 v11, 30, v11
	v_and_b32_e32 v11, 0x80000000, v11
	v_xor_b32_e32 v11, v11, v12
	v_mov_b32_e32 v12, 0x7fc00000
	v_cndmask_b32_e64 v11, v12, v11, s[4:5]
	v_rcp_f32_e32 v20, v14
	v_fma_f32 v23, -v14, v20, 1.0
	v_fmac_f32_e32 v20, v23, v20
	v_div_scale_f32 v23, vcc, s8, v7, s8
	v_mul_f32_e32 v24, v23, v20
	v_fma_f32 v25, -v14, v24, v23
	v_fmac_f32_e32 v24, v25, v20
	v_fma_f32 v14, -v14, v24, v23
	v_div_fmas_f32 v14, v14, v20, v24
	v_div_scale_f32 v20, s[6:7], v16, v16, v17
	v_div_fixup_f32 v14, v14, v7, s8
	v_rcp_f32_e32 v23, v20
	v_fma_f32 v24, -v20, v23, 1.0
	v_fmac_f32_e32 v23, v24, v23
	v_div_scale_f32 v24, vcc, v17, v16, v17
	v_mul_f32_e32 v25, v24, v23
	v_fma_f32 v26, -v20, v25, v24
	v_fmac_f32_e32 v25, v26, v23
	v_fma_f32 v20, -v20, v25, v24
	v_div_fmas_f32 v20, v20, v23, v25
	v_div_fixup_f32 v16, v20, v16, v17
	v_mul_f32_e32 v14, v14, v16
	v_mul_f32_e32 v16, v10, v10
	v_fmac_f32_e32 v15, 0xb94c1982, v16
	v_fmac_f32_e32 v18, 0x37d75334, v16
	;; [unrolled: 1-line block ×4, first 2 shown]
	v_mul_f32_e32 v15, v16, v19
	v_fmac_f32_e32 v22, v16, v21
	v_fmac_f32_e32 v10, v10, v15
	v_fma_f32 v15, v16, v22, 1.0
	v_and_b32_e32 v16, 1, v9
	v_lshlrev_b32_e32 v9, 30, v9
	v_cmp_eq_u32_e32 vcc, 0, v16
	v_and_b32_e32 v9, 0x80000000, v9
	v_cndmask_b32_e32 v10, v15, v10, vcc
	v_xor_b32_e32 v3, v3, v9
	v_xor_b32_e32 v3, v3, v10
	v_cndmask_b32_e64 v3, v12, v3, s[4:5]
	s_mov_b32 s4, 0xf800000
	v_cmp_gt_f32_e32 vcc, s4, v7
	v_cndmask_b32_e32 v7, v7, v8, vcc
	v_sqrt_f32_e32 v8, v7
	v_mul_f32_e32 v3, v14, v3
	v_fmac_f32_e32 v3, v13, v11
	v_mul_f32_e32 v3, 0x3f4c422a, v3
	v_add_u32_e32 v9, -1, v8
	v_fma_f32 v10, -v9, v8, v7
	v_cmp_ge_f32_e64 s[4:5], 0, v10
	v_add_u32_e32 v10, 1, v8
	v_cndmask_b32_e64 v9, v8, v9, s[4:5]
	v_fma_f32 v8, -v10, v8, v7
	v_cmp_lt_f32_e64 s[4:5], 0, v8
	v_cndmask_b32_e64 v8, v9, v10, s[4:5]
	v_mul_f32_e32 v9, 0x37800000, v8
	v_cndmask_b32_e32 v8, v8, v9, vcc
	v_mov_b32_e32 v9, 0x260
	v_cmp_class_f32_e32 vcc, v7, v9
	v_cndmask_b32_e32 v7, v8, v7, vcc
	v_div_scale_f32 v8, s[4:5], v7, v7, v3
	v_rcp_f32_e32 v9, v8
	v_fma_f32 v10, -v8, v9, 1.0
	v_fmac_f32_e32 v9, v10, v9
	v_div_scale_f32 v10, vcc, v3, v7, v3
	v_mul_f32_e32 v11, v10, v9
	v_fma_f32 v12, -v8, v11, v10
	v_fmac_f32_e32 v11, v12, v9
	v_fma_f32 v8, -v8, v11, v10
	v_div_fmas_f32 v8, v8, v9, v11
	v_div_fixup_f32 v3, v8, v7, v3
.LBB13_32:
	s_or_b64 exec, exec, s[12:13]
	v_cmp_gt_f32_e32 vcc, 0, v4
	v_cndmask_b32_e64 v7, v4, -v4, vcc
	s_mov_b32 s4, 0x40a00000
	v_cmp_ge_f32_e32 vcc, s4, v7
	v_mul_f32_e32 v13, v7, v7
	s_and_saveexec_b64 s[4:5], vcc
	s_xor_b64 s[4:5], exec, s[4:5]
	s_cbranch_execz .LBB13_38
; %bb.33:
	s_mov_b32 s6, 0x3727c5ac
	v_cmp_ngt_f32_e32 vcc, s6, v7
	s_and_saveexec_b64 s[6:7], vcc
	s_xor_b64 s[6:7], exec, s[6:7]
	s_cbranch_execz .LBB13_35
; %bb.34:
	v_mov_b32_e32 v4, 0xcf8ee29d
	v_fmac_f32_e32 v4, 0, v13
	v_mov_b32_e32 v7, 0x53e3ba8e
	v_fmac_f32_e32 v7, v13, v4
	;; [unrolled: 2-line block ×12, first 2 shown]
	v_add_f32_e32 v4, 0xc0b90fdc, v13
	v_add_f32_e32 v9, 0xc1f3c525, v13
	v_mul_f32_e32 v4, v4, v9
	v_mul_f32_e32 v4, v4, v7
	v_div_scale_f32 v7, s[8:9], v8, v8, v4
	v_div_scale_f32 v9, vcc, v4, v8, v4
                                        ; implicit-def: $vgpr13
	v_rcp_f32_e32 v10, v7
	v_fma_f32 v11, -v7, v10, 1.0
	v_fmac_f32_e32 v10, v11, v10
	v_mul_f32_e32 v11, v9, v10
	v_fma_f32 v12, -v7, v11, v9
	v_fmac_f32_e32 v11, v12, v10
	v_fma_f32 v7, -v7, v11, v9
	v_div_fmas_f32 v7, v7, v10, v11
	v_div_fixup_f32 v4, v7, v8, v4
.LBB13_35:
	s_andn2_saveexec_b64 s[6:7], s[6:7]
; %bb.36:
	s_mov_b32 s8, 0xbe800000
	v_fma_f32 v4, v13, s8, 1.0
; %bb.37:
	s_or_b64 exec, exec, s[6:7]
                                        ; implicit-def: $vgpr13
                                        ; implicit-def: $vgpr7
.LBB13_38:
	s_andn2_saveexec_b64 s[12:13], s[4:5]
	s_cbranch_execz .LBB13_48
; %bb.39:
	v_add_f32_e32 v4, 0xbf490fdb, v7
	v_and_b32_e32 v8, 0x7fffffff, v4
	s_brev_b32 s4, 18
	v_cmp_nlt_f32_e64 s[14:15], |v4|, s4
	v_lshrrev_b32_e32 v14, 23, v8
                                        ; implicit-def: $vgpr11
                                        ; implicit-def: $vgpr12
	s_and_saveexec_b64 s[4:5], s[14:15]
	s_xor_b64 s[16:17], exec, s[4:5]
	s_cbranch_execz .LBB13_41
; %bb.40:
	v_and_b32_e32 v9, 0x7fffff, v8
	v_or_b32_e32 v12, 0x800000, v9
	s_mov_b32 s4, 0xfe5163ab
	v_mad_u64_u32 v[9:10], s[4:5], v12, s4, 0
	v_mov_b32_e32 v11, 0
	s_mov_b32 s4, 0x3c439041
	v_mad_u64_u32 v[15:16], s[4:5], v12, s4, v[10:11]
	s_mov_b32 s4, 0xdb629599
	v_add_u32_e32 v20, 0xffffff88, v14
	v_mov_b32_e32 v10, v16
	v_mad_u64_u32 v[16:17], s[4:5], v12, s4, v[10:11]
	s_mov_b32 s4, 0xf534ddc0
	v_not_b32_e32 v21, 63
	v_mov_b32_e32 v10, v17
	v_mad_u64_u32 v[17:18], s[4:5], v12, s4, v[10:11]
	s_mov_b32 s4, 0xfc2757d1
	v_cmp_lt_u32_e32 vcc, 63, v20
	v_mov_b32_e32 v10, v18
	v_mad_u64_u32 v[18:19], s[4:5], v12, s4, v[10:11]
	v_cndmask_b32_e32 v10, 0, v21, vcc
	v_add_u32_e32 v21, v10, v20
	v_mov_b32_e32 v10, v19
	s_mov_b32 s4, 0x4e441529
	v_mad_u64_u32 v[19:20], s[4:5], v12, s4, v[10:11]
	v_not_b32_e32 v22, 31
	v_cmp_lt_u32_e64 s[4:5], 31, v21
	v_cndmask_b32_e64 v10, 0, v22, s[4:5]
	v_add_u32_e32 v21, v10, v21
	v_mov_b32_e32 v10, v20
	s_mov_b32 s6, 0xa2f9836e
	v_mad_u64_u32 v[10:11], s[6:7], v12, s6, v[10:11]
	v_cmp_lt_u32_e64 s[6:7], 31, v21
	v_cndmask_b32_e64 v12, 0, v22, s[6:7]
	v_cndmask_b32_e32 v20, v19, v17, vcc
	v_cndmask_b32_e32 v10, v10, v18, vcc
	;; [unrolled: 1-line block ×3, first 2 shown]
	v_add_u32_e32 v12, v12, v21
	v_cndmask_b32_e64 v21, v10, v20, s[4:5]
	v_cndmask_b32_e64 v10, v11, v10, s[4:5]
	v_cndmask_b32_e32 v11, v18, v16, vcc
	v_cndmask_b32_e64 v18, v20, v11, s[4:5]
	v_sub_u32_e32 v20, 32, v12
	v_cmp_eq_u32_e64 s[8:9], 0, v12
	v_cndmask_b32_e32 v12, v17, v15, vcc
	v_cndmask_b32_e64 v10, v10, v21, s[6:7]
	v_cndmask_b32_e64 v19, v21, v18, s[6:7]
	;; [unrolled: 1-line block ×3, first 2 shown]
	v_alignbit_b32 v21, v10, v19, v20
	v_cndmask_b32_e64 v15, v18, v11, s[6:7]
	v_cndmask_b32_e64 v10, v21, v10, s[8:9]
	v_alignbit_b32 v17, v19, v15, v20
	v_cndmask_b32_e32 v9, v16, v9, vcc
	v_cndmask_b32_e64 v17, v17, v19, s[8:9]
	v_bfe_u32 v21, v10, 29, 1
	v_cndmask_b32_e64 v9, v12, v9, s[4:5]
	v_alignbit_b32 v18, v10, v17, 30
	v_sub_u32_e32 v22, 0, v21
	v_cndmask_b32_e64 v9, v11, v9, s[6:7]
	v_xor_b32_e32 v18, v18, v22
	v_alignbit_b32 v11, v15, v9, v20
	v_cndmask_b32_e64 v11, v11, v15, s[8:9]
	v_ffbh_u32_e32 v15, v18
	v_alignbit_b32 v12, v17, v11, 30
	v_min_u32_e32 v15, 32, v15
	v_alignbit_b32 v9, v11, v9, 30
	v_xor_b32_e32 v12, v12, v22
	v_sub_u32_e32 v16, 31, v15
	v_xor_b32_e32 v9, v9, v22
	v_alignbit_b32 v17, v18, v12, v16
	v_alignbit_b32 v9, v12, v9, v16
	;; [unrolled: 1-line block ×3, first 2 shown]
	v_ffbh_u32_e32 v12, v11
	v_min_u32_e32 v12, 32, v12
	v_lshrrev_b32_e32 v19, 29, v10
	v_not_b32_e32 v16, v12
	v_alignbit_b32 v9, v11, v9, v16
	v_lshlrev_b32_e32 v11, 31, v19
	v_or_b32_e32 v16, 0x33000000, v11
	v_add_lshl_u32 v12, v12, v15, 23
	v_lshrrev_b32_e32 v9, 9, v9
	v_sub_u32_e32 v12, v16, v12
	v_or_b32_e32 v11, 0.5, v11
	v_lshlrev_b32_e32 v15, 23, v15
	v_or_b32_e32 v9, v12, v9
	v_lshrrev_b32_e32 v12, 9, v17
	v_sub_u32_e32 v11, v11, v15
	v_or_b32_e32 v11, v12, v11
	s_mov_b32 s4, 0x3fc90fda
	v_mul_f32_e32 v12, 0x3fc90fda, v11
	v_fma_f32 v15, v11, s4, -v12
	v_fmac_f32_e32 v15, 0x33a22168, v11
	v_fmac_f32_e32 v15, 0x3fc90fda, v9
	v_lshrrev_b32_e32 v9, 30, v10
	v_add_f32_e32 v12, v12, v15
	v_add_u32_e32 v11, v21, v9
	s_andn2_saveexec_b64 s[4:5], s[16:17]
	s_cbranch_execz .LBB13_43
	s_branch .LBB13_42
.LBB13_41:
	s_andn2_saveexec_b64 s[4:5], s[16:17]
	s_cbranch_execz .LBB13_43
.LBB13_42:
	s_mov_b32 s6, 0x3f22f983
	v_mul_f32_e64 v9, |v4|, s6
	v_rndne_f32_e32 v9, v9
	s_mov_b32 s6, 0xbfc90fda
	v_cvt_i32_f32_e32 v11, v9
	v_fma_f32 v12, v9, s6, |v4|
	v_fmac_f32_e32 v12, 0xb3a22168, v9
	v_fmac_f32_e32 v12, 0xa7c234c4, v9
.LBB13_43:
	s_or_b64 exec, exec, s[4:5]
                                        ; implicit-def: $vgpr9
                                        ; implicit-def: $vgpr10
	s_and_saveexec_b64 s[4:5], s[14:15]
	s_xor_b64 s[14:15], exec, s[4:5]
	s_cbranch_execz .LBB13_45
; %bb.44:
	v_and_b32_e32 v9, 0x7fffff, v8
	v_or_b32_e32 v22, 0x800000, v9
	s_mov_b32 s4, 0xfe5163ab
	v_mad_u64_u32 v[9:10], s[4:5], v22, s4, 0
	v_mov_b32_e32 v16, 0
	s_mov_b32 s4, 0x3c439041
	v_mov_b32_e32 v15, v10
	v_mad_u64_u32 v[17:18], s[4:5], v22, s4, v[15:16]
	s_mov_b32 s4, 0xdb629599
	v_add_u32_e32 v10, 0xffffff88, v14
	v_mov_b32_e32 v15, v18
	v_mad_u64_u32 v[18:19], s[4:5], v22, s4, v[15:16]
	s_mov_b32 s4, 0xf534ddc0
	v_not_b32_e32 v21, 63
	v_mov_b32_e32 v15, v19
	v_mad_u64_u32 v[19:20], s[4:5], v22, s4, v[15:16]
	s_mov_b32 s4, 0xfc2757d1
	v_cmp_lt_u32_e32 vcc, 63, v10
	v_mov_b32_e32 v15, v20
	v_mad_u64_u32 v[14:15], s[4:5], v22, s4, v[15:16]
	v_cndmask_b32_e32 v20, 0, v21, vcc
	s_mov_b32 s4, 0x4e441529
	v_add_u32_e32 v10, v20, v10
	v_mad_u64_u32 v[20:21], s[4:5], v22, s4, v[15:16]
	v_not_b32_e32 v23, 31
	v_cmp_lt_u32_e64 s[4:5], 31, v10
	v_cndmask_b32_e64 v15, 0, v23, s[4:5]
	v_add_u32_e32 v10, v15, v10
	v_mov_b32_e32 v15, v21
	s_mov_b32 s6, 0xa2f9836e
	v_mad_u64_u32 v[15:16], s[6:7], v22, s6, v[15:16]
	v_cmp_lt_u32_e64 s[6:7], 31, v10
	v_cndmask_b32_e64 v21, 0, v23, s[6:7]
	v_add_u32_e32 v10, v21, v10
	v_cndmask_b32_e32 v21, v20, v19, vcc
	v_cndmask_b32_e32 v15, v15, v14, vcc
	;; [unrolled: 1-line block ×4, first 2 shown]
	v_cndmask_b32_e64 v22, v15, v21, s[4:5]
	v_cndmask_b32_e64 v15, v16, v15, s[4:5]
	;; [unrolled: 1-line block ×3, first 2 shown]
	v_sub_u32_e32 v21, 32, v10
	v_cmp_eq_u32_e64 s[8:9], 0, v10
	v_cndmask_b32_e32 v10, v19, v17, vcc
	v_cndmask_b32_e64 v15, v15, v22, s[6:7]
	v_cndmask_b32_e64 v20, v22, v16, s[6:7]
	;; [unrolled: 1-line block ×3, first 2 shown]
	v_alignbit_b32 v22, v15, v20, v21
	v_cndmask_b32_e64 v16, v16, v14, s[6:7]
	v_cndmask_b32_e64 v15, v22, v15, s[8:9]
	v_alignbit_b32 v17, v20, v16, v21
	v_cndmask_b32_e32 v9, v18, v9, vcc
	v_cndmask_b32_e64 v17, v17, v20, s[8:9]
	v_bfe_u32 v22, v15, 29, 1
	v_cndmask_b32_e64 v9, v10, v9, s[4:5]
	v_alignbit_b32 v19, v15, v17, 30
	v_sub_u32_e32 v23, 0, v22
	v_cndmask_b32_e64 v9, v14, v9, s[6:7]
	v_xor_b32_e32 v19, v19, v23
	v_alignbit_b32 v10, v16, v9, v21
	v_cndmask_b32_e64 v10, v10, v16, s[8:9]
	v_ffbh_u32_e32 v16, v19
	v_alignbit_b32 v14, v17, v10, 30
	v_min_u32_e32 v16, 32, v16
	v_alignbit_b32 v9, v10, v9, 30
	v_xor_b32_e32 v14, v14, v23
	v_sub_u32_e32 v17, 31, v16
	v_xor_b32_e32 v9, v9, v23
	v_alignbit_b32 v18, v19, v14, v17
	v_alignbit_b32 v9, v14, v9, v17
	;; [unrolled: 1-line block ×3, first 2 shown]
	v_ffbh_u32_e32 v14, v10
	v_min_u32_e32 v14, 32, v14
	v_lshrrev_b32_e32 v20, 29, v15
	v_not_b32_e32 v17, v14
	v_alignbit_b32 v9, v10, v9, v17
	v_lshlrev_b32_e32 v10, 31, v20
	v_or_b32_e32 v17, 0x33000000, v10
	v_add_lshl_u32 v14, v14, v16, 23
	v_lshrrev_b32_e32 v9, 9, v9
	v_sub_u32_e32 v14, v17, v14
	v_or_b32_e32 v10, 0.5, v10
	v_lshlrev_b32_e32 v16, 23, v16
	v_or_b32_e32 v9, v14, v9
	v_lshrrev_b32_e32 v14, 9, v18
	v_sub_u32_e32 v10, v10, v16
	v_or_b32_e32 v10, v14, v10
	s_mov_b32 s4, 0x3fc90fda
	v_mul_f32_e32 v14, 0x3fc90fda, v10
	v_fma_f32 v16, v10, s4, -v14
	v_fmac_f32_e32 v16, 0x33a22168, v10
	v_fmac_f32_e32 v16, 0x3fc90fda, v9
	v_lshrrev_b32_e32 v9, 30, v15
	v_add_f32_e32 v10, v14, v16
	v_add_u32_e32 v9, v22, v9
	s_andn2_saveexec_b64 s[4:5], s[14:15]
	s_cbranch_execnz .LBB13_46
	s_branch .LBB13_47
.LBB13_45:
	s_andn2_saveexec_b64 s[4:5], s[14:15]
	s_cbranch_execz .LBB13_47
.LBB13_46:
	s_mov_b32 s6, 0x3f22f983
	v_mul_f32_e64 v9, |v4|, s6
	v_rndne_f32_e32 v14, v9
	s_mov_b32 s6, 0xbfc90fda
	v_cvt_i32_f32_e32 v9, v14
	v_fma_f32 v10, v14, s6, |v4|
	v_fmac_f32_e32 v10, 0xb3a22168, v14
	v_fmac_f32_e32 v10, 0xa7c234c4, v14
.LBB13_47:
	s_or_b64 exec, exec, s[4:5]
	s_mov_b32 s6, 0x41c80000
	v_div_scale_f32 v14, s[4:5], v13, v13, s6
	v_mov_b32_e32 v22, 0xbf000004
	s_mov_b32 s8, 0xc0a00000
	v_rcp_f32_e32 v15, v14
	v_fma_f32 v16, -v14, v15, 1.0
	v_fmac_f32_e32 v15, v16, v15
	v_div_scale_f32 v16, vcc, s6, v13, s6
	v_mul_f32_e32 v17, v16, v15
	v_fma_f32 v18, -v14, v17, v16
	v_fmac_f32_e32 v17, v18, v15
	v_fma_f32 v14, -v14, v17, v16
	v_div_fmas_f32 v14, v14, v15, v17
	v_mov_b32_e32 v15, 0x3da9a586
	v_mov_b32_e32 v16, 0x3daf5e2d
	;; [unrolled: 1-line block ×4, first 2 shown]
	v_div_fixup_f32 v13, v14, v13, s6
	v_mov_b32_e32 v14, 0x3a50e985
	v_fmac_f32_e32 v14, 0, v13
	v_fmac_f32_e32 v15, v13, v14
	v_mov_b32_e32 v14, 0x3f9ea90a
	v_fmac_f32_e32 v14, v13, v15
	v_mov_b32_e32 v15, 0x40ae4fdf
	;; [unrolled: 2-line block ×5, first 2 shown]
	v_fmac_f32_e32 v14, 0, v13
	v_fmac_f32_e32 v16, v13, v14
	v_mov_b32_e32 v14, 0x3fa07396
	v_fmac_f32_e32 v14, v13, v16
	v_mov_b32_e32 v16, 0x40af123f
	;; [unrolled: 2-line block ×4, first 2 shown]
	v_fmac_f32_e32 v16, v13, v14
	v_fma_f32 v14, v13, v16, 1.0
	v_mov_b32_e32 v16, 0xbc3a3a12
	v_fmac_f32_e32 v16, 0, v13
	v_fmac_f32_e32 v17, v13, v16
	v_mov_b32_e32 v16, 0xc19c6e80
	v_fmac_f32_e32 v16, v13, v17
	v_mov_b32_e32 v17, 0xc2ba697b
	;; [unrolled: 2-line block ×7, first 2 shown]
	v_fmac_f32_e32 v16, 0, v13
	v_fmac_f32_e32 v18, v13, v16
	v_mov_b32_e32 v16, 0x4572a66e
	v_fmac_f32_e32 v16, v13, v18
	v_mov_b32_e32 v18, 0x45e243be
	;; [unrolled: 2-line block ×5, first 2 shown]
	v_fmac_f32_e32 v16, v13, v18
	v_fma_f32 v13, v13, v15, 1.0
	v_div_scale_f32 v15, s[4:5], v14, v14, v13
	s_movk_i32 s4, 0x1f8
	v_cmp_class_f32_e64 s[4:5], v4, s4
	v_xor_b32_e32 v4, v8, v4
	v_mul_f32_e32 v8, 0x4f800000, v7
	v_rcp_f32_e32 v18, v15
	v_fma_f32 v19, -v15, v18, 1.0
	v_fmac_f32_e32 v18, v19, v18
	v_div_scale_f32 v19, vcc, v13, v14, v13
	v_mul_f32_e32 v20, v19, v18
	v_fma_f32 v21, -v15, v20, v19
	v_fmac_f32_e32 v20, v21, v18
	v_fma_f32 v15, -v15, v20, v19
	v_div_fmas_f32 v15, v15, v18, v20
	v_mov_b32_e32 v20, 0xbab64f3b
	v_mov_b32_e32 v18, 0x3c0881c4
	;; [unrolled: 1-line block ×4, first 2 shown]
	v_div_fixup_f32 v13, v15, v14, v13
	v_mul_f32_e32 v14, v12, v12
	v_fmac_f32_e32 v20, 0x37d75334, v14
	v_fmac_f32_e32 v18, 0xb94c1982, v14
	v_fma_f32 v20, v14, v20, v21
	v_fma_f32 v18, v14, v18, v19
	;; [unrolled: 1-line block ×3, first 2 shown]
	v_mul_f32_e32 v18, v14, v18
	v_fma_f32 v14, v14, v20, 1.0
	v_and_b32_e32 v20, 1, v11
	v_fmac_f32_e32 v12, v12, v18
	v_cmp_eq_u32_e32 vcc, 0, v20
	v_cndmask_b32_e64 v12, -v12, v14, vcc
	v_div_scale_f32 v14, s[6:7], v7, v7, s8
	v_mov_b32_e32 v15, 0x3c0881c4
	v_mov_b32_e32 v18, 0xbab64f3b
	v_lshlrev_b32_e32 v11, 30, v11
	v_and_b32_e32 v11, 0x80000000, v11
	v_xor_b32_e32 v11, v11, v12
	v_mov_b32_e32 v12, 0x7fc00000
	v_cndmask_b32_e64 v11, v12, v11, s[4:5]
	v_rcp_f32_e32 v20, v14
	v_fma_f32 v23, -v14, v20, 1.0
	v_fmac_f32_e32 v20, v23, v20
	v_div_scale_f32 v23, vcc, s8, v7, s8
	v_mul_f32_e32 v24, v23, v20
	v_fma_f32 v25, -v14, v24, v23
	v_fmac_f32_e32 v24, v25, v20
	v_fma_f32 v14, -v14, v24, v23
	v_div_fmas_f32 v14, v14, v20, v24
	v_div_scale_f32 v20, s[6:7], v16, v16, v17
	v_div_fixup_f32 v14, v14, v7, s8
	v_rcp_f32_e32 v23, v20
	v_fma_f32 v24, -v20, v23, 1.0
	v_fmac_f32_e32 v23, v24, v23
	v_div_scale_f32 v24, vcc, v17, v16, v17
	v_mul_f32_e32 v25, v24, v23
	v_fma_f32 v26, -v20, v25, v24
	v_fmac_f32_e32 v25, v26, v23
	v_fma_f32 v20, -v20, v25, v24
	v_div_fmas_f32 v20, v20, v23, v25
	v_div_fixup_f32 v16, v20, v16, v17
	v_mul_f32_e32 v14, v14, v16
	v_mul_f32_e32 v16, v10, v10
	v_fmac_f32_e32 v15, 0xb94c1982, v16
	v_fmac_f32_e32 v18, 0x37d75334, v16
	;; [unrolled: 1-line block ×4, first 2 shown]
	v_mul_f32_e32 v15, v16, v19
	v_fmac_f32_e32 v22, v16, v21
	v_fmac_f32_e32 v10, v10, v15
	v_fma_f32 v15, v16, v22, 1.0
	v_and_b32_e32 v16, 1, v9
	v_lshlrev_b32_e32 v9, 30, v9
	v_cmp_eq_u32_e32 vcc, 0, v16
	v_and_b32_e32 v9, 0x80000000, v9
	v_cndmask_b32_e32 v10, v15, v10, vcc
	v_xor_b32_e32 v4, v4, v9
	v_xor_b32_e32 v4, v4, v10
	v_cndmask_b32_e64 v4, v12, v4, s[4:5]
	s_mov_b32 s4, 0xf800000
	v_cmp_gt_f32_e32 vcc, s4, v7
	v_cndmask_b32_e32 v7, v7, v8, vcc
	v_sqrt_f32_e32 v8, v7
	v_mul_f32_e32 v4, v14, v4
	v_fmac_f32_e32 v4, v13, v11
	v_mul_f32_e32 v4, 0x3f4c422a, v4
	v_add_u32_e32 v9, -1, v8
	v_fma_f32 v10, -v9, v8, v7
	v_cmp_ge_f32_e64 s[4:5], 0, v10
	v_add_u32_e32 v10, 1, v8
	v_cndmask_b32_e64 v9, v8, v9, s[4:5]
	v_fma_f32 v8, -v10, v8, v7
	v_cmp_lt_f32_e64 s[4:5], 0, v8
	v_cndmask_b32_e64 v8, v9, v10, s[4:5]
	v_mul_f32_e32 v9, 0x37800000, v8
	v_cndmask_b32_e32 v8, v8, v9, vcc
	v_mov_b32_e32 v9, 0x260
	v_cmp_class_f32_e32 vcc, v7, v9
	v_cndmask_b32_e32 v7, v8, v7, vcc
	v_div_scale_f32 v8, s[4:5], v7, v7, v4
	v_rcp_f32_e32 v9, v8
	v_fma_f32 v10, -v8, v9, 1.0
	v_fmac_f32_e32 v9, v10, v9
	v_div_scale_f32 v10, vcc, v4, v7, v4
	v_mul_f32_e32 v11, v10, v9
	v_fma_f32 v12, -v8, v11, v10
	v_fmac_f32_e32 v11, v12, v9
	v_fma_f32 v8, -v8, v11, v10
	v_div_fmas_f32 v8, v8, v9, v11
	v_div_fixup_f32 v4, v8, v7, v4
.LBB13_48:
	s_or_b64 exec, exec, s[12:13]
	v_cmp_gt_f32_e32 vcc, 0, v5
	v_cndmask_b32_e64 v7, v5, -v5, vcc
	s_mov_b32 s4, 0x40a00000
	v_cmp_ge_f32_e32 vcc, s4, v7
	v_mul_f32_e32 v13, v7, v7
	s_and_saveexec_b64 s[4:5], vcc
	s_xor_b64 s[4:5], exec, s[4:5]
	s_cbranch_execz .LBB13_54
; %bb.49:
	s_mov_b32 s6, 0x3727c5ac
	v_cmp_ngt_f32_e32 vcc, s6, v7
	s_and_saveexec_b64 s[6:7], vcc
	s_xor_b64 s[6:7], exec, s[6:7]
	s_cbranch_execz .LBB13_51
; %bb.50:
	v_mov_b32_e32 v5, 0xcf8ee29d
	v_fmac_f32_e32 v5, 0, v13
	v_mov_b32_e32 v7, 0x53e3ba8e
	v_fmac_f32_e32 v7, v13, v5
	;; [unrolled: 2-line block ×12, first 2 shown]
	v_add_f32_e32 v5, 0xc0b90fdc, v13
	v_add_f32_e32 v9, 0xc1f3c525, v13
	v_mul_f32_e32 v5, v5, v9
	v_mul_f32_e32 v5, v5, v7
	v_div_scale_f32 v7, s[8:9], v8, v8, v5
	v_div_scale_f32 v9, vcc, v5, v8, v5
                                        ; implicit-def: $vgpr13
	v_rcp_f32_e32 v10, v7
	v_fma_f32 v11, -v7, v10, 1.0
	v_fmac_f32_e32 v10, v11, v10
	v_mul_f32_e32 v11, v9, v10
	v_fma_f32 v12, -v7, v11, v9
	v_fmac_f32_e32 v11, v12, v10
	v_fma_f32 v7, -v7, v11, v9
	v_div_fmas_f32 v7, v7, v10, v11
	v_div_fixup_f32 v5, v7, v8, v5
.LBB13_51:
	s_andn2_saveexec_b64 s[6:7], s[6:7]
; %bb.52:
	s_mov_b32 s8, 0xbe800000
	v_fma_f32 v5, v13, s8, 1.0
; %bb.53:
	s_or_b64 exec, exec, s[6:7]
                                        ; implicit-def: $vgpr13
                                        ; implicit-def: $vgpr7
.LBB13_54:
	s_andn2_saveexec_b64 s[12:13], s[4:5]
	s_cbranch_execz .LBB13_64
; %bb.55:
	v_add_f32_e32 v5, 0xbf490fdb, v7
	v_and_b32_e32 v8, 0x7fffffff, v5
	s_brev_b32 s4, 18
	v_cmp_nlt_f32_e64 s[14:15], |v5|, s4
	v_lshrrev_b32_e32 v14, 23, v8
                                        ; implicit-def: $vgpr11
                                        ; implicit-def: $vgpr12
	s_and_saveexec_b64 s[4:5], s[14:15]
	s_xor_b64 s[16:17], exec, s[4:5]
	s_cbranch_execz .LBB13_57
; %bb.56:
	v_and_b32_e32 v9, 0x7fffff, v8
	v_or_b32_e32 v12, 0x800000, v9
	s_mov_b32 s4, 0xfe5163ab
	v_mad_u64_u32 v[9:10], s[4:5], v12, s4, 0
	v_mov_b32_e32 v11, 0
	s_mov_b32 s4, 0x3c439041
	v_mad_u64_u32 v[15:16], s[4:5], v12, s4, v[10:11]
	s_mov_b32 s4, 0xdb629599
	v_add_u32_e32 v20, 0xffffff88, v14
	v_mov_b32_e32 v10, v16
	v_mad_u64_u32 v[16:17], s[4:5], v12, s4, v[10:11]
	s_mov_b32 s4, 0xf534ddc0
	v_not_b32_e32 v21, 63
	v_mov_b32_e32 v10, v17
	v_mad_u64_u32 v[17:18], s[4:5], v12, s4, v[10:11]
	s_mov_b32 s4, 0xfc2757d1
	v_cmp_lt_u32_e32 vcc, 63, v20
	v_mov_b32_e32 v10, v18
	v_mad_u64_u32 v[18:19], s[4:5], v12, s4, v[10:11]
	v_cndmask_b32_e32 v10, 0, v21, vcc
	v_add_u32_e32 v21, v10, v20
	v_mov_b32_e32 v10, v19
	s_mov_b32 s4, 0x4e441529
	v_mad_u64_u32 v[19:20], s[4:5], v12, s4, v[10:11]
	v_not_b32_e32 v22, 31
	v_cmp_lt_u32_e64 s[4:5], 31, v21
	v_cndmask_b32_e64 v10, 0, v22, s[4:5]
	v_add_u32_e32 v21, v10, v21
	v_mov_b32_e32 v10, v20
	s_mov_b32 s6, 0xa2f9836e
	v_mad_u64_u32 v[10:11], s[6:7], v12, s6, v[10:11]
	v_cmp_lt_u32_e64 s[6:7], 31, v21
	v_cndmask_b32_e64 v12, 0, v22, s[6:7]
	v_cndmask_b32_e32 v20, v19, v17, vcc
	v_cndmask_b32_e32 v10, v10, v18, vcc
	;; [unrolled: 1-line block ×3, first 2 shown]
	v_add_u32_e32 v12, v12, v21
	v_cndmask_b32_e64 v21, v10, v20, s[4:5]
	v_cndmask_b32_e64 v10, v11, v10, s[4:5]
	v_cndmask_b32_e32 v11, v18, v16, vcc
	v_cndmask_b32_e64 v18, v20, v11, s[4:5]
	v_sub_u32_e32 v20, 32, v12
	v_cmp_eq_u32_e64 s[8:9], 0, v12
	v_cndmask_b32_e32 v12, v17, v15, vcc
	v_cndmask_b32_e64 v10, v10, v21, s[6:7]
	v_cndmask_b32_e64 v19, v21, v18, s[6:7]
	;; [unrolled: 1-line block ×3, first 2 shown]
	v_alignbit_b32 v21, v10, v19, v20
	v_cndmask_b32_e64 v15, v18, v11, s[6:7]
	v_cndmask_b32_e64 v10, v21, v10, s[8:9]
	v_alignbit_b32 v17, v19, v15, v20
	v_cndmask_b32_e32 v9, v16, v9, vcc
	v_cndmask_b32_e64 v17, v17, v19, s[8:9]
	v_bfe_u32 v21, v10, 29, 1
	v_cndmask_b32_e64 v9, v12, v9, s[4:5]
	v_alignbit_b32 v18, v10, v17, 30
	v_sub_u32_e32 v22, 0, v21
	v_cndmask_b32_e64 v9, v11, v9, s[6:7]
	v_xor_b32_e32 v18, v18, v22
	v_alignbit_b32 v11, v15, v9, v20
	v_cndmask_b32_e64 v11, v11, v15, s[8:9]
	v_ffbh_u32_e32 v15, v18
	v_alignbit_b32 v12, v17, v11, 30
	v_min_u32_e32 v15, 32, v15
	v_alignbit_b32 v9, v11, v9, 30
	v_xor_b32_e32 v12, v12, v22
	v_sub_u32_e32 v16, 31, v15
	v_xor_b32_e32 v9, v9, v22
	v_alignbit_b32 v17, v18, v12, v16
	v_alignbit_b32 v9, v12, v9, v16
	;; [unrolled: 1-line block ×3, first 2 shown]
	v_ffbh_u32_e32 v12, v11
	v_min_u32_e32 v12, 32, v12
	v_lshrrev_b32_e32 v19, 29, v10
	v_not_b32_e32 v16, v12
	v_alignbit_b32 v9, v11, v9, v16
	v_lshlrev_b32_e32 v11, 31, v19
	v_or_b32_e32 v16, 0x33000000, v11
	v_add_lshl_u32 v12, v12, v15, 23
	v_lshrrev_b32_e32 v9, 9, v9
	v_sub_u32_e32 v12, v16, v12
	v_or_b32_e32 v11, 0.5, v11
	v_lshlrev_b32_e32 v15, 23, v15
	v_or_b32_e32 v9, v12, v9
	v_lshrrev_b32_e32 v12, 9, v17
	v_sub_u32_e32 v11, v11, v15
	v_or_b32_e32 v11, v12, v11
	s_mov_b32 s4, 0x3fc90fda
	v_mul_f32_e32 v12, 0x3fc90fda, v11
	v_fma_f32 v15, v11, s4, -v12
	v_fmac_f32_e32 v15, 0x33a22168, v11
	v_fmac_f32_e32 v15, 0x3fc90fda, v9
	v_lshrrev_b32_e32 v9, 30, v10
	v_add_f32_e32 v12, v12, v15
	v_add_u32_e32 v11, v21, v9
	s_andn2_saveexec_b64 s[4:5], s[16:17]
	s_cbranch_execz .LBB13_59
	s_branch .LBB13_58
.LBB13_57:
	s_andn2_saveexec_b64 s[4:5], s[16:17]
	s_cbranch_execz .LBB13_59
.LBB13_58:
	s_mov_b32 s6, 0x3f22f983
	v_mul_f32_e64 v9, |v5|, s6
	v_rndne_f32_e32 v9, v9
	s_mov_b32 s6, 0xbfc90fda
	v_cvt_i32_f32_e32 v11, v9
	v_fma_f32 v12, v9, s6, |v5|
	v_fmac_f32_e32 v12, 0xb3a22168, v9
	v_fmac_f32_e32 v12, 0xa7c234c4, v9
.LBB13_59:
	s_or_b64 exec, exec, s[4:5]
                                        ; implicit-def: $vgpr9
                                        ; implicit-def: $vgpr10
	s_and_saveexec_b64 s[4:5], s[14:15]
	s_xor_b64 s[14:15], exec, s[4:5]
	s_cbranch_execz .LBB13_61
; %bb.60:
	v_and_b32_e32 v9, 0x7fffff, v8
	v_or_b32_e32 v22, 0x800000, v9
	s_mov_b32 s4, 0xfe5163ab
	v_mad_u64_u32 v[9:10], s[4:5], v22, s4, 0
	v_mov_b32_e32 v16, 0
	s_mov_b32 s4, 0x3c439041
	v_mov_b32_e32 v15, v10
	v_mad_u64_u32 v[17:18], s[4:5], v22, s4, v[15:16]
	s_mov_b32 s4, 0xdb629599
	v_add_u32_e32 v10, 0xffffff88, v14
	v_mov_b32_e32 v15, v18
	v_mad_u64_u32 v[18:19], s[4:5], v22, s4, v[15:16]
	s_mov_b32 s4, 0xf534ddc0
	v_not_b32_e32 v21, 63
	v_mov_b32_e32 v15, v19
	v_mad_u64_u32 v[19:20], s[4:5], v22, s4, v[15:16]
	s_mov_b32 s4, 0xfc2757d1
	v_cmp_lt_u32_e32 vcc, 63, v10
	v_mov_b32_e32 v15, v20
	v_mad_u64_u32 v[14:15], s[4:5], v22, s4, v[15:16]
	v_cndmask_b32_e32 v20, 0, v21, vcc
	s_mov_b32 s4, 0x4e441529
	v_add_u32_e32 v10, v20, v10
	v_mad_u64_u32 v[20:21], s[4:5], v22, s4, v[15:16]
	v_not_b32_e32 v23, 31
	v_cmp_lt_u32_e64 s[4:5], 31, v10
	v_cndmask_b32_e64 v15, 0, v23, s[4:5]
	v_add_u32_e32 v10, v15, v10
	v_mov_b32_e32 v15, v21
	s_mov_b32 s6, 0xa2f9836e
	v_mad_u64_u32 v[15:16], s[6:7], v22, s6, v[15:16]
	v_cmp_lt_u32_e64 s[6:7], 31, v10
	v_cndmask_b32_e64 v21, 0, v23, s[6:7]
	v_add_u32_e32 v10, v21, v10
	v_cndmask_b32_e32 v21, v20, v19, vcc
	v_cndmask_b32_e32 v15, v15, v14, vcc
	v_cndmask_b32_e32 v16, v16, v20, vcc
	v_cndmask_b32_e32 v14, v14, v18, vcc
	v_cndmask_b32_e64 v22, v15, v21, s[4:5]
	v_cndmask_b32_e64 v15, v16, v15, s[4:5]
	;; [unrolled: 1-line block ×3, first 2 shown]
	v_sub_u32_e32 v21, 32, v10
	v_cmp_eq_u32_e64 s[8:9], 0, v10
	v_cndmask_b32_e32 v10, v19, v17, vcc
	v_cndmask_b32_e64 v15, v15, v22, s[6:7]
	v_cndmask_b32_e64 v20, v22, v16, s[6:7]
	;; [unrolled: 1-line block ×3, first 2 shown]
	v_alignbit_b32 v22, v15, v20, v21
	v_cndmask_b32_e64 v16, v16, v14, s[6:7]
	v_cndmask_b32_e64 v15, v22, v15, s[8:9]
	v_alignbit_b32 v17, v20, v16, v21
	v_cndmask_b32_e32 v9, v18, v9, vcc
	v_cndmask_b32_e64 v17, v17, v20, s[8:9]
	v_bfe_u32 v22, v15, 29, 1
	v_cndmask_b32_e64 v9, v10, v9, s[4:5]
	v_alignbit_b32 v19, v15, v17, 30
	v_sub_u32_e32 v23, 0, v22
	v_cndmask_b32_e64 v9, v14, v9, s[6:7]
	v_xor_b32_e32 v19, v19, v23
	v_alignbit_b32 v10, v16, v9, v21
	v_cndmask_b32_e64 v10, v10, v16, s[8:9]
	v_ffbh_u32_e32 v16, v19
	v_alignbit_b32 v14, v17, v10, 30
	v_min_u32_e32 v16, 32, v16
	v_alignbit_b32 v9, v10, v9, 30
	v_xor_b32_e32 v14, v14, v23
	v_sub_u32_e32 v17, 31, v16
	v_xor_b32_e32 v9, v9, v23
	v_alignbit_b32 v18, v19, v14, v17
	v_alignbit_b32 v9, v14, v9, v17
	v_alignbit_b32 v10, v18, v9, 9
	v_ffbh_u32_e32 v14, v10
	v_min_u32_e32 v14, 32, v14
	v_lshrrev_b32_e32 v20, 29, v15
	v_not_b32_e32 v17, v14
	v_alignbit_b32 v9, v10, v9, v17
	v_lshlrev_b32_e32 v10, 31, v20
	v_or_b32_e32 v17, 0x33000000, v10
	v_add_lshl_u32 v14, v14, v16, 23
	v_lshrrev_b32_e32 v9, 9, v9
	v_sub_u32_e32 v14, v17, v14
	v_or_b32_e32 v10, 0.5, v10
	v_lshlrev_b32_e32 v16, 23, v16
	v_or_b32_e32 v9, v14, v9
	v_lshrrev_b32_e32 v14, 9, v18
	v_sub_u32_e32 v10, v10, v16
	v_or_b32_e32 v10, v14, v10
	s_mov_b32 s4, 0x3fc90fda
	v_mul_f32_e32 v14, 0x3fc90fda, v10
	v_fma_f32 v16, v10, s4, -v14
	v_fmac_f32_e32 v16, 0x33a22168, v10
	v_fmac_f32_e32 v16, 0x3fc90fda, v9
	v_lshrrev_b32_e32 v9, 30, v15
	v_add_f32_e32 v10, v14, v16
	v_add_u32_e32 v9, v22, v9
	s_andn2_saveexec_b64 s[4:5], s[14:15]
	s_cbranch_execnz .LBB13_62
	s_branch .LBB13_63
.LBB13_61:
	s_andn2_saveexec_b64 s[4:5], s[14:15]
	s_cbranch_execz .LBB13_63
.LBB13_62:
	s_mov_b32 s6, 0x3f22f983
	v_mul_f32_e64 v9, |v5|, s6
	v_rndne_f32_e32 v14, v9
	s_mov_b32 s6, 0xbfc90fda
	v_cvt_i32_f32_e32 v9, v14
	v_fma_f32 v10, v14, s6, |v5|
	v_fmac_f32_e32 v10, 0xb3a22168, v14
	v_fmac_f32_e32 v10, 0xa7c234c4, v14
.LBB13_63:
	s_or_b64 exec, exec, s[4:5]
	s_mov_b32 s6, 0x41c80000
	v_div_scale_f32 v14, s[4:5], v13, v13, s6
	v_mov_b32_e32 v22, 0xbf000004
	s_mov_b32 s8, 0xc0a00000
	v_rcp_f32_e32 v15, v14
	v_fma_f32 v16, -v14, v15, 1.0
	v_fmac_f32_e32 v15, v16, v15
	v_div_scale_f32 v16, vcc, s6, v13, s6
	v_mul_f32_e32 v17, v16, v15
	v_fma_f32 v18, -v14, v17, v16
	v_fmac_f32_e32 v17, v18, v15
	v_fma_f32 v14, -v14, v17, v16
	v_div_fmas_f32 v14, v14, v15, v17
	v_mov_b32_e32 v15, 0x3da9a586
	v_mov_b32_e32 v16, 0x3daf5e2d
	;; [unrolled: 1-line block ×4, first 2 shown]
	v_div_fixup_f32 v13, v14, v13, s6
	v_mov_b32_e32 v14, 0x3a50e985
	v_fmac_f32_e32 v14, 0, v13
	v_fmac_f32_e32 v15, v13, v14
	v_mov_b32_e32 v14, 0x3f9ea90a
	v_fmac_f32_e32 v14, v13, v15
	v_mov_b32_e32 v15, 0x40ae4fdf
	;; [unrolled: 2-line block ×5, first 2 shown]
	v_fmac_f32_e32 v14, 0, v13
	v_fmac_f32_e32 v16, v13, v14
	v_mov_b32_e32 v14, 0x3fa07396
	v_fmac_f32_e32 v14, v13, v16
	v_mov_b32_e32 v16, 0x40af123f
	;; [unrolled: 2-line block ×4, first 2 shown]
	v_fmac_f32_e32 v16, v13, v14
	v_fma_f32 v14, v13, v16, 1.0
	v_mov_b32_e32 v16, 0xbc3a3a12
	v_fmac_f32_e32 v16, 0, v13
	v_fmac_f32_e32 v17, v13, v16
	v_mov_b32_e32 v16, 0xc19c6e80
	v_fmac_f32_e32 v16, v13, v17
	v_mov_b32_e32 v17, 0xc2ba697b
	;; [unrolled: 2-line block ×7, first 2 shown]
	v_fmac_f32_e32 v16, 0, v13
	v_fmac_f32_e32 v18, v13, v16
	v_mov_b32_e32 v16, 0x4572a66e
	v_fmac_f32_e32 v16, v13, v18
	v_mov_b32_e32 v18, 0x45e243be
	v_fmac_f32_e32 v18, v13, v16
	v_mov_b32_e32 v16, 0x45b955d1
	v_fmac_f32_e32 v16, v13, v18
	v_mov_b32_e32 v18, 0x4500e17e
	v_fmac_f32_e32 v18, v13, v16
	v_mov_b32_e32 v16, 0x43720178
	v_fmac_f32_e32 v16, v13, v18
	v_fma_f32 v13, v13, v15, 1.0
	v_div_scale_f32 v15, s[4:5], v14, v14, v13
	s_movk_i32 s4, 0x1f8
	v_cmp_class_f32_e64 s[4:5], v5, s4
	v_xor_b32_e32 v5, v8, v5
	v_mul_f32_e32 v8, 0x4f800000, v7
	v_rcp_f32_e32 v18, v15
	v_fma_f32 v19, -v15, v18, 1.0
	v_fmac_f32_e32 v18, v19, v18
	v_div_scale_f32 v19, vcc, v13, v14, v13
	v_mul_f32_e32 v20, v19, v18
	v_fma_f32 v21, -v15, v20, v19
	v_fmac_f32_e32 v20, v21, v18
	v_fma_f32 v15, -v15, v20, v19
	v_div_fmas_f32 v15, v15, v18, v20
	v_mov_b32_e32 v20, 0xbab64f3b
	v_mov_b32_e32 v18, 0x3c0881c4
	;; [unrolled: 1-line block ×4, first 2 shown]
	v_div_fixup_f32 v13, v15, v14, v13
	v_mul_f32_e32 v14, v12, v12
	v_fmac_f32_e32 v20, 0x37d75334, v14
	v_fmac_f32_e32 v18, 0xb94c1982, v14
	v_fma_f32 v20, v14, v20, v21
	v_fma_f32 v18, v14, v18, v19
	;; [unrolled: 1-line block ×3, first 2 shown]
	v_mul_f32_e32 v18, v14, v18
	v_fma_f32 v14, v14, v20, 1.0
	v_and_b32_e32 v20, 1, v11
	v_fmac_f32_e32 v12, v12, v18
	v_cmp_eq_u32_e32 vcc, 0, v20
	v_cndmask_b32_e64 v12, -v12, v14, vcc
	v_div_scale_f32 v14, s[6:7], v7, v7, s8
	v_mov_b32_e32 v15, 0x3c0881c4
	v_mov_b32_e32 v18, 0xbab64f3b
	v_lshlrev_b32_e32 v11, 30, v11
	v_and_b32_e32 v11, 0x80000000, v11
	v_xor_b32_e32 v11, v11, v12
	v_mov_b32_e32 v12, 0x7fc00000
	v_cndmask_b32_e64 v11, v12, v11, s[4:5]
	v_rcp_f32_e32 v20, v14
	v_fma_f32 v23, -v14, v20, 1.0
	v_fmac_f32_e32 v20, v23, v20
	v_div_scale_f32 v23, vcc, s8, v7, s8
	v_mul_f32_e32 v24, v23, v20
	v_fma_f32 v25, -v14, v24, v23
	v_fmac_f32_e32 v24, v25, v20
	v_fma_f32 v14, -v14, v24, v23
	v_div_fmas_f32 v14, v14, v20, v24
	v_div_scale_f32 v20, s[6:7], v16, v16, v17
	v_div_fixup_f32 v14, v14, v7, s8
	v_rcp_f32_e32 v23, v20
	v_fma_f32 v24, -v20, v23, 1.0
	v_fmac_f32_e32 v23, v24, v23
	v_div_scale_f32 v24, vcc, v17, v16, v17
	v_mul_f32_e32 v25, v24, v23
	v_fma_f32 v26, -v20, v25, v24
	v_fmac_f32_e32 v25, v26, v23
	v_fma_f32 v20, -v20, v25, v24
	v_div_fmas_f32 v20, v20, v23, v25
	v_div_fixup_f32 v16, v20, v16, v17
	v_mul_f32_e32 v14, v14, v16
	v_mul_f32_e32 v16, v10, v10
	v_fmac_f32_e32 v15, 0xb94c1982, v16
	v_fmac_f32_e32 v18, 0x37d75334, v16
	v_fmac_f32_e32 v19, v16, v15
	v_fmac_f32_e32 v21, v16, v18
	v_mul_f32_e32 v15, v16, v19
	v_fmac_f32_e32 v22, v16, v21
	v_fmac_f32_e32 v10, v10, v15
	v_fma_f32 v15, v16, v22, 1.0
	v_and_b32_e32 v16, 1, v9
	v_lshlrev_b32_e32 v9, 30, v9
	v_cmp_eq_u32_e32 vcc, 0, v16
	v_and_b32_e32 v9, 0x80000000, v9
	v_cndmask_b32_e32 v10, v15, v10, vcc
	v_xor_b32_e32 v5, v5, v9
	v_xor_b32_e32 v5, v5, v10
	v_cndmask_b32_e64 v5, v12, v5, s[4:5]
	s_mov_b32 s4, 0xf800000
	v_cmp_gt_f32_e32 vcc, s4, v7
	v_cndmask_b32_e32 v7, v7, v8, vcc
	v_sqrt_f32_e32 v8, v7
	v_mul_f32_e32 v5, v14, v5
	v_fmac_f32_e32 v5, v13, v11
	v_mul_f32_e32 v5, 0x3f4c422a, v5
	v_add_u32_e32 v9, -1, v8
	v_fma_f32 v10, -v9, v8, v7
	v_cmp_ge_f32_e64 s[4:5], 0, v10
	v_add_u32_e32 v10, 1, v8
	v_cndmask_b32_e64 v9, v8, v9, s[4:5]
	v_fma_f32 v8, -v10, v8, v7
	v_cmp_lt_f32_e64 s[4:5], 0, v8
	v_cndmask_b32_e64 v8, v9, v10, s[4:5]
	v_mul_f32_e32 v9, 0x37800000, v8
	v_cndmask_b32_e32 v8, v8, v9, vcc
	v_mov_b32_e32 v9, 0x260
	v_cmp_class_f32_e32 vcc, v7, v9
	v_cndmask_b32_e32 v7, v8, v7, vcc
	v_div_scale_f32 v8, s[4:5], v7, v7, v5
	v_rcp_f32_e32 v9, v8
	v_fma_f32 v10, -v8, v9, 1.0
	v_fmac_f32_e32 v9, v10, v9
	v_div_scale_f32 v10, vcc, v5, v7, v5
	v_mul_f32_e32 v11, v10, v9
	v_fma_f32 v12, -v8, v11, v10
	v_fmac_f32_e32 v11, v12, v9
	v_fma_f32 v8, -v8, v11, v10
	v_div_fmas_f32 v8, v8, v9, v11
	v_div_fixup_f32 v5, v8, v7, v5
.LBB13_64:
	s_or_b64 exec, exec, s[12:13]
	v_mov_b32_e32 v7, s11
	v_add_co_u32_e32 v0, vcc, s10, v0
	v_addc_co_u32_e32 v1, vcc, v1, v7, vcc
	v_add_co_u32_e32 v0, vcc, v0, v6
	v_addc_co_u32_e32 v1, vcc, 0, v1, vcc
	flat_store_dwordx4 v[0:1], v[2:5]
	s_waitcnt vmcnt(0) lgkmcnt(0)
	s_setpc_b64 s[30:31]
.Lfunc_end13:
	.size	_ZN2at6native25elementwise_kernel_helperILb0EZZZNS0_12_GLOBAL__N_121bessel_j0_kernel_cudaERNS_18TensorIteratorBaseEENKUlvE_clEvENKUlvE0_clEvEUlfE_NS0_6memory8policies10vectorizedILi4ESt5arrayIPcLm2EELi4EEEEEvT0_T1_, .Lfunc_end13-_ZN2at6native25elementwise_kernel_helperILb0EZZZNS0_12_GLOBAL__N_121bessel_j0_kernel_cudaERNS_18TensorIteratorBaseEENKUlvE_clEvENKUlvE0_clEvEUlfE_NS0_6memory8policies10vectorizedILi4ESt5arrayIPcLm2EELi4EEEEEvT0_T1_
                                        ; -- End function
	.set .L_ZN2at6native25elementwise_kernel_helperILb0EZZZNS0_12_GLOBAL__N_121bessel_j0_kernel_cudaERNS_18TensorIteratorBaseEENKUlvE_clEvENKUlvE0_clEvEUlfE_NS0_6memory8policies10vectorizedILi4ESt5arrayIPcLm2EELi4EEEEEvT0_T1_.num_vgpr, 32
	.set .L_ZN2at6native25elementwise_kernel_helperILb0EZZZNS0_12_GLOBAL__N_121bessel_j0_kernel_cudaERNS_18TensorIteratorBaseEENKUlvE_clEvENKUlvE0_clEvEUlfE_NS0_6memory8policies10vectorizedILi4ESt5arrayIPcLm2EELi4EEEEEvT0_T1_.num_agpr, 0
	.set .L_ZN2at6native25elementwise_kernel_helperILb0EZZZNS0_12_GLOBAL__N_121bessel_j0_kernel_cudaERNS_18TensorIteratorBaseEENKUlvE_clEvENKUlvE0_clEvEUlfE_NS0_6memory8policies10vectorizedILi4ESt5arrayIPcLm2EELi4EEEEEvT0_T1_.numbered_sgpr, 32
	.set .L_ZN2at6native25elementwise_kernel_helperILb0EZZZNS0_12_GLOBAL__N_121bessel_j0_kernel_cudaERNS_18TensorIteratorBaseEENKUlvE_clEvENKUlvE0_clEvEUlfE_NS0_6memory8policies10vectorizedILi4ESt5arrayIPcLm2EELi4EEEEEvT0_T1_.num_named_barrier, 0
	.set .L_ZN2at6native25elementwise_kernel_helperILb0EZZZNS0_12_GLOBAL__N_121bessel_j0_kernel_cudaERNS_18TensorIteratorBaseEENKUlvE_clEvENKUlvE0_clEvEUlfE_NS0_6memory8policies10vectorizedILi4ESt5arrayIPcLm2EELi4EEEEEvT0_T1_.private_seg_size, 0
	.set .L_ZN2at6native25elementwise_kernel_helperILb0EZZZNS0_12_GLOBAL__N_121bessel_j0_kernel_cudaERNS_18TensorIteratorBaseEENKUlvE_clEvENKUlvE0_clEvEUlfE_NS0_6memory8policies10vectorizedILi4ESt5arrayIPcLm2EELi4EEEEEvT0_T1_.uses_vcc, 1
	.set .L_ZN2at6native25elementwise_kernel_helperILb0EZZZNS0_12_GLOBAL__N_121bessel_j0_kernel_cudaERNS_18TensorIteratorBaseEENKUlvE_clEvENKUlvE0_clEvEUlfE_NS0_6memory8policies10vectorizedILi4ESt5arrayIPcLm2EELi4EEEEEvT0_T1_.uses_flat_scratch, 0
	.set .L_ZN2at6native25elementwise_kernel_helperILb0EZZZNS0_12_GLOBAL__N_121bessel_j0_kernel_cudaERNS_18TensorIteratorBaseEENKUlvE_clEvENKUlvE0_clEvEUlfE_NS0_6memory8policies10vectorizedILi4ESt5arrayIPcLm2EELi4EEEEEvT0_T1_.has_dyn_sized_stack, 0
	.set .L_ZN2at6native25elementwise_kernel_helperILb0EZZZNS0_12_GLOBAL__N_121bessel_j0_kernel_cudaERNS_18TensorIteratorBaseEENKUlvE_clEvENKUlvE0_clEvEUlfE_NS0_6memory8policies10vectorizedILi4ESt5arrayIPcLm2EELi4EEEEEvT0_T1_.has_recursion, 0
	.set .L_ZN2at6native25elementwise_kernel_helperILb0EZZZNS0_12_GLOBAL__N_121bessel_j0_kernel_cudaERNS_18TensorIteratorBaseEENKUlvE_clEvENKUlvE0_clEvEUlfE_NS0_6memory8policies10vectorizedILi4ESt5arrayIPcLm2EELi4EEEEEvT0_T1_.has_indirect_call, 0
	.section	.AMDGPU.csdata,"",@progbits
; Function info:
; codeLenInByte = 11488
; TotalNumSgprs: 36
; NumVgprs: 32
; ScratchSize: 0
; MemoryBound: 0
	.section	.text._ZN2at6native29vectorized_elementwise_kernelILi16EZZZNS0_12_GLOBAL__N_121bessel_j0_kernel_cudaERNS_18TensorIteratorBaseEENKUlvE_clEvENKUlvE0_clEvEUlfE_St5arrayIPcLm2EEEEviT0_T1_,"axG",@progbits,_ZN2at6native29vectorized_elementwise_kernelILi16EZZZNS0_12_GLOBAL__N_121bessel_j0_kernel_cudaERNS_18TensorIteratorBaseEENKUlvE_clEvENKUlvE0_clEvEUlfE_St5arrayIPcLm2EEEEviT0_T1_,comdat
	.globl	_ZN2at6native29vectorized_elementwise_kernelILi16EZZZNS0_12_GLOBAL__N_121bessel_j0_kernel_cudaERNS_18TensorIteratorBaseEENKUlvE_clEvENKUlvE0_clEvEUlfE_St5arrayIPcLm2EEEEviT0_T1_ ; -- Begin function _ZN2at6native29vectorized_elementwise_kernelILi16EZZZNS0_12_GLOBAL__N_121bessel_j0_kernel_cudaERNS_18TensorIteratorBaseEENKUlvE_clEvENKUlvE0_clEvEUlfE_St5arrayIPcLm2EEEEviT0_T1_
	.p2align	8
	.type	_ZN2at6native29vectorized_elementwise_kernelILi16EZZZNS0_12_GLOBAL__N_121bessel_j0_kernel_cudaERNS_18TensorIteratorBaseEENKUlvE_clEvENKUlvE0_clEvEUlfE_St5arrayIPcLm2EEEEviT0_T1_,@function
_ZN2at6native29vectorized_elementwise_kernelILi16EZZZNS0_12_GLOBAL__N_121bessel_j0_kernel_cudaERNS_18TensorIteratorBaseEENKUlvE_clEvENKUlvE0_clEvEUlfE_St5arrayIPcLm2EEEEviT0_T1_: ; @_ZN2at6native29vectorized_elementwise_kernelILi16EZZZNS0_12_GLOBAL__N_121bessel_j0_kernel_cudaERNS_18TensorIteratorBaseEENKUlvE_clEvENKUlvE0_clEvEUlfE_St5arrayIPcLm2EEEEviT0_T1_
; %bb.0:
	s_mov_b32 s18, s6
	s_load_dword s6, s[4:5], 0x0
	s_load_dwordx4 s[20:23], s[4:5], 0x8
	s_add_u32 s0, s0, s7
	s_addc_u32 s1, s1, 0
	s_lshl_b32 s4, s18, 10
	s_waitcnt lgkmcnt(0)
	s_sub_i32 s19, s6, s4
	v_mov_b32_e32 v31, v0
	s_cmpk_gt_i32 s19, 0x3ff
	s_mov_b64 s[4:5], -1
	s_mov_b32 s32, 0
	s_cbranch_scc1 .LBB14_3
; %bb.1:
	s_andn2_b64 vcc, exec, s[4:5]
	s_cbranch_vccz .LBB14_4
.LBB14_2:
	s_endpgm
.LBB14_3:
	s_getpc_b64 s[4:5]
	s_add_u32 s4, s4, _ZN2at6native25elementwise_kernel_helperILb0EZZZNS0_12_GLOBAL__N_121bessel_j0_kernel_cudaERNS_18TensorIteratorBaseEENKUlvE_clEvENKUlvE0_clEvEUlfE_NS0_6memory8policies10vectorizedILi4ESt5arrayIPcLm2EELi4EEEEEvT0_T1_@rel32@lo+4
	s_addc_u32 s5, s5, _ZN2at6native25elementwise_kernel_helperILb0EZZZNS0_12_GLOBAL__N_121bessel_j0_kernel_cudaERNS_18TensorIteratorBaseEENKUlvE_clEvENKUlvE0_clEvEUlfE_NS0_6memory8policies10vectorizedILi4ESt5arrayIPcLm2EELi4EEEEEvT0_T1_@rel32@hi+12
	s_mov_b32 s12, s18
	v_mov_b32_e32 v0, s20
	v_mov_b32_e32 v1, s21
	;; [unrolled: 1-line block ×4, first 2 shown]
	s_swappc_b64 s[30:31], s[4:5]
	s_cbranch_execnz .LBB14_2
.LBB14_4:
	s_getpc_b64 s[4:5]
	s_add_u32 s4, s4, _ZN2at6native25elementwise_kernel_helperILb0EZZZNS0_12_GLOBAL__N_121bessel_j0_kernel_cudaERNS_18TensorIteratorBaseEENKUlvE_clEvENKUlvE0_clEvEUlfE_NS0_6memory8policies11unroll_baseILi256ESt5arrayIPcLm2EE23TrivialOffsetCalculatorILi1EjESF_NS8_15LoadWithoutCastENS8_16StoreWithoutCastELi4ELi1EEEEEvT0_T1_@rel32@lo+4
	s_addc_u32 s5, s5, _ZN2at6native25elementwise_kernel_helperILb0EZZZNS0_12_GLOBAL__N_121bessel_j0_kernel_cudaERNS_18TensorIteratorBaseEENKUlvE_clEvENKUlvE0_clEvEUlfE_NS0_6memory8policies11unroll_baseILi256ESt5arrayIPcLm2EE23TrivialOffsetCalculatorILi1EjESF_NS8_15LoadWithoutCastENS8_16StoreWithoutCastELi4ELi1EEEEEvT0_T1_@rel32@hi+12
	s_mov_b32 s12, s18
	v_mov_b32_e32 v0, s20
	v_mov_b32_e32 v1, s21
	;; [unrolled: 1-line block ×5, first 2 shown]
	s_swappc_b64 s[30:31], s[4:5]
	s_endpgm
	.section	.rodata,"a",@progbits
	.p2align	6, 0x0
	.amdhsa_kernel _ZN2at6native29vectorized_elementwise_kernelILi16EZZZNS0_12_GLOBAL__N_121bessel_j0_kernel_cudaERNS_18TensorIteratorBaseEENKUlvE_clEvENKUlvE0_clEvEUlfE_St5arrayIPcLm2EEEEviT0_T1_
		.amdhsa_group_segment_fixed_size 0
		.amdhsa_private_segment_fixed_size 0
		.amdhsa_kernarg_size 24
		.amdhsa_user_sgpr_count 6
		.amdhsa_user_sgpr_private_segment_buffer 1
		.amdhsa_user_sgpr_dispatch_ptr 0
		.amdhsa_user_sgpr_queue_ptr 0
		.amdhsa_user_sgpr_kernarg_segment_ptr 1
		.amdhsa_user_sgpr_dispatch_id 0
		.amdhsa_user_sgpr_flat_scratch_init 0
		.amdhsa_user_sgpr_private_segment_size 0
		.amdhsa_uses_dynamic_stack 0
		.amdhsa_system_sgpr_private_segment_wavefront_offset 0
		.amdhsa_system_sgpr_workgroup_id_x 1
		.amdhsa_system_sgpr_workgroup_id_y 0
		.amdhsa_system_sgpr_workgroup_id_z 0
		.amdhsa_system_sgpr_workgroup_info 0
		.amdhsa_system_vgpr_workitem_id 0
		.amdhsa_next_free_vgpr 32
		.amdhsa_next_free_sgpr 33
		.amdhsa_reserve_vcc 1
		.amdhsa_reserve_flat_scratch 0
		.amdhsa_float_round_mode_32 0
		.amdhsa_float_round_mode_16_64 0
		.amdhsa_float_denorm_mode_32 3
		.amdhsa_float_denorm_mode_16_64 3
		.amdhsa_dx10_clamp 1
		.amdhsa_ieee_mode 1
		.amdhsa_fp16_overflow 0
		.amdhsa_exception_fp_ieee_invalid_op 0
		.amdhsa_exception_fp_denorm_src 0
		.amdhsa_exception_fp_ieee_div_zero 0
		.amdhsa_exception_fp_ieee_overflow 0
		.amdhsa_exception_fp_ieee_underflow 0
		.amdhsa_exception_fp_ieee_inexact 0
		.amdhsa_exception_int_div_zero 0
	.end_amdhsa_kernel
	.section	.text._ZN2at6native29vectorized_elementwise_kernelILi16EZZZNS0_12_GLOBAL__N_121bessel_j0_kernel_cudaERNS_18TensorIteratorBaseEENKUlvE_clEvENKUlvE0_clEvEUlfE_St5arrayIPcLm2EEEEviT0_T1_,"axG",@progbits,_ZN2at6native29vectorized_elementwise_kernelILi16EZZZNS0_12_GLOBAL__N_121bessel_j0_kernel_cudaERNS_18TensorIteratorBaseEENKUlvE_clEvENKUlvE0_clEvEUlfE_St5arrayIPcLm2EEEEviT0_T1_,comdat
.Lfunc_end14:
	.size	_ZN2at6native29vectorized_elementwise_kernelILi16EZZZNS0_12_GLOBAL__N_121bessel_j0_kernel_cudaERNS_18TensorIteratorBaseEENKUlvE_clEvENKUlvE0_clEvEUlfE_St5arrayIPcLm2EEEEviT0_T1_, .Lfunc_end14-_ZN2at6native29vectorized_elementwise_kernelILi16EZZZNS0_12_GLOBAL__N_121bessel_j0_kernel_cudaERNS_18TensorIteratorBaseEENKUlvE_clEvENKUlvE0_clEvEUlfE_St5arrayIPcLm2EEEEviT0_T1_
                                        ; -- End function
	.set _ZN2at6native29vectorized_elementwise_kernelILi16EZZZNS0_12_GLOBAL__N_121bessel_j0_kernel_cudaERNS_18TensorIteratorBaseEENKUlvE_clEvENKUlvE0_clEvEUlfE_St5arrayIPcLm2EEEEviT0_T1_.num_vgpr, max(32, .L_ZN2at6native25elementwise_kernel_helperILb0EZZZNS0_12_GLOBAL__N_121bessel_j0_kernel_cudaERNS_18TensorIteratorBaseEENKUlvE_clEvENKUlvE0_clEvEUlfE_NS0_6memory8policies10vectorizedILi4ESt5arrayIPcLm2EELi4EEEEEvT0_T1_.num_vgpr, .L_ZN2at6native25elementwise_kernel_helperILb0EZZZNS0_12_GLOBAL__N_121bessel_j0_kernel_cudaERNS_18TensorIteratorBaseEENKUlvE_clEvENKUlvE0_clEvEUlfE_NS0_6memory8policies11unroll_baseILi256ESt5arrayIPcLm2EE23TrivialOffsetCalculatorILi1EjESF_NS8_15LoadWithoutCastENS8_16StoreWithoutCastELi4ELi1EEEEEvT0_T1_.num_vgpr)
	.set _ZN2at6native29vectorized_elementwise_kernelILi16EZZZNS0_12_GLOBAL__N_121bessel_j0_kernel_cudaERNS_18TensorIteratorBaseEENKUlvE_clEvENKUlvE0_clEvEUlfE_St5arrayIPcLm2EEEEviT0_T1_.num_agpr, max(0, .L_ZN2at6native25elementwise_kernel_helperILb0EZZZNS0_12_GLOBAL__N_121bessel_j0_kernel_cudaERNS_18TensorIteratorBaseEENKUlvE_clEvENKUlvE0_clEvEUlfE_NS0_6memory8policies10vectorizedILi4ESt5arrayIPcLm2EELi4EEEEEvT0_T1_.num_agpr, .L_ZN2at6native25elementwise_kernel_helperILb0EZZZNS0_12_GLOBAL__N_121bessel_j0_kernel_cudaERNS_18TensorIteratorBaseEENKUlvE_clEvENKUlvE0_clEvEUlfE_NS0_6memory8policies11unroll_baseILi256ESt5arrayIPcLm2EE23TrivialOffsetCalculatorILi1EjESF_NS8_15LoadWithoutCastENS8_16StoreWithoutCastELi4ELi1EEEEEvT0_T1_.num_agpr)
	.set _ZN2at6native29vectorized_elementwise_kernelILi16EZZZNS0_12_GLOBAL__N_121bessel_j0_kernel_cudaERNS_18TensorIteratorBaseEENKUlvE_clEvENKUlvE0_clEvEUlfE_St5arrayIPcLm2EEEEviT0_T1_.numbered_sgpr, max(33, .L_ZN2at6native25elementwise_kernel_helperILb0EZZZNS0_12_GLOBAL__N_121bessel_j0_kernel_cudaERNS_18TensorIteratorBaseEENKUlvE_clEvENKUlvE0_clEvEUlfE_NS0_6memory8policies10vectorizedILi4ESt5arrayIPcLm2EELi4EEEEEvT0_T1_.numbered_sgpr, .L_ZN2at6native25elementwise_kernel_helperILb0EZZZNS0_12_GLOBAL__N_121bessel_j0_kernel_cudaERNS_18TensorIteratorBaseEENKUlvE_clEvENKUlvE0_clEvEUlfE_NS0_6memory8policies11unroll_baseILi256ESt5arrayIPcLm2EE23TrivialOffsetCalculatorILi1EjESF_NS8_15LoadWithoutCastENS8_16StoreWithoutCastELi4ELi1EEEEEvT0_T1_.numbered_sgpr)
	.set _ZN2at6native29vectorized_elementwise_kernelILi16EZZZNS0_12_GLOBAL__N_121bessel_j0_kernel_cudaERNS_18TensorIteratorBaseEENKUlvE_clEvENKUlvE0_clEvEUlfE_St5arrayIPcLm2EEEEviT0_T1_.num_named_barrier, max(0, .L_ZN2at6native25elementwise_kernel_helperILb0EZZZNS0_12_GLOBAL__N_121bessel_j0_kernel_cudaERNS_18TensorIteratorBaseEENKUlvE_clEvENKUlvE0_clEvEUlfE_NS0_6memory8policies10vectorizedILi4ESt5arrayIPcLm2EELi4EEEEEvT0_T1_.num_named_barrier, .L_ZN2at6native25elementwise_kernel_helperILb0EZZZNS0_12_GLOBAL__N_121bessel_j0_kernel_cudaERNS_18TensorIteratorBaseEENKUlvE_clEvENKUlvE0_clEvEUlfE_NS0_6memory8policies11unroll_baseILi256ESt5arrayIPcLm2EE23TrivialOffsetCalculatorILi1EjESF_NS8_15LoadWithoutCastENS8_16StoreWithoutCastELi4ELi1EEEEEvT0_T1_.num_named_barrier)
	.set _ZN2at6native29vectorized_elementwise_kernelILi16EZZZNS0_12_GLOBAL__N_121bessel_j0_kernel_cudaERNS_18TensorIteratorBaseEENKUlvE_clEvENKUlvE0_clEvEUlfE_St5arrayIPcLm2EEEEviT0_T1_.private_seg_size, 0+max(.L_ZN2at6native25elementwise_kernel_helperILb0EZZZNS0_12_GLOBAL__N_121bessel_j0_kernel_cudaERNS_18TensorIteratorBaseEENKUlvE_clEvENKUlvE0_clEvEUlfE_NS0_6memory8policies10vectorizedILi4ESt5arrayIPcLm2EELi4EEEEEvT0_T1_.private_seg_size, .L_ZN2at6native25elementwise_kernel_helperILb0EZZZNS0_12_GLOBAL__N_121bessel_j0_kernel_cudaERNS_18TensorIteratorBaseEENKUlvE_clEvENKUlvE0_clEvEUlfE_NS0_6memory8policies11unroll_baseILi256ESt5arrayIPcLm2EE23TrivialOffsetCalculatorILi1EjESF_NS8_15LoadWithoutCastENS8_16StoreWithoutCastELi4ELi1EEEEEvT0_T1_.private_seg_size)
	.set _ZN2at6native29vectorized_elementwise_kernelILi16EZZZNS0_12_GLOBAL__N_121bessel_j0_kernel_cudaERNS_18TensorIteratorBaseEENKUlvE_clEvENKUlvE0_clEvEUlfE_St5arrayIPcLm2EEEEviT0_T1_.uses_vcc, or(1, .L_ZN2at6native25elementwise_kernel_helperILb0EZZZNS0_12_GLOBAL__N_121bessel_j0_kernel_cudaERNS_18TensorIteratorBaseEENKUlvE_clEvENKUlvE0_clEvEUlfE_NS0_6memory8policies10vectorizedILi4ESt5arrayIPcLm2EELi4EEEEEvT0_T1_.uses_vcc, .L_ZN2at6native25elementwise_kernel_helperILb0EZZZNS0_12_GLOBAL__N_121bessel_j0_kernel_cudaERNS_18TensorIteratorBaseEENKUlvE_clEvENKUlvE0_clEvEUlfE_NS0_6memory8policies11unroll_baseILi256ESt5arrayIPcLm2EE23TrivialOffsetCalculatorILi1EjESF_NS8_15LoadWithoutCastENS8_16StoreWithoutCastELi4ELi1EEEEEvT0_T1_.uses_vcc)
	.set _ZN2at6native29vectorized_elementwise_kernelILi16EZZZNS0_12_GLOBAL__N_121bessel_j0_kernel_cudaERNS_18TensorIteratorBaseEENKUlvE_clEvENKUlvE0_clEvEUlfE_St5arrayIPcLm2EEEEviT0_T1_.uses_flat_scratch, or(0, .L_ZN2at6native25elementwise_kernel_helperILb0EZZZNS0_12_GLOBAL__N_121bessel_j0_kernel_cudaERNS_18TensorIteratorBaseEENKUlvE_clEvENKUlvE0_clEvEUlfE_NS0_6memory8policies10vectorizedILi4ESt5arrayIPcLm2EELi4EEEEEvT0_T1_.uses_flat_scratch, .L_ZN2at6native25elementwise_kernel_helperILb0EZZZNS0_12_GLOBAL__N_121bessel_j0_kernel_cudaERNS_18TensorIteratorBaseEENKUlvE_clEvENKUlvE0_clEvEUlfE_NS0_6memory8policies11unroll_baseILi256ESt5arrayIPcLm2EE23TrivialOffsetCalculatorILi1EjESF_NS8_15LoadWithoutCastENS8_16StoreWithoutCastELi4ELi1EEEEEvT0_T1_.uses_flat_scratch)
	.set _ZN2at6native29vectorized_elementwise_kernelILi16EZZZNS0_12_GLOBAL__N_121bessel_j0_kernel_cudaERNS_18TensorIteratorBaseEENKUlvE_clEvENKUlvE0_clEvEUlfE_St5arrayIPcLm2EEEEviT0_T1_.has_dyn_sized_stack, or(0, .L_ZN2at6native25elementwise_kernel_helperILb0EZZZNS0_12_GLOBAL__N_121bessel_j0_kernel_cudaERNS_18TensorIteratorBaseEENKUlvE_clEvENKUlvE0_clEvEUlfE_NS0_6memory8policies10vectorizedILi4ESt5arrayIPcLm2EELi4EEEEEvT0_T1_.has_dyn_sized_stack, .L_ZN2at6native25elementwise_kernel_helperILb0EZZZNS0_12_GLOBAL__N_121bessel_j0_kernel_cudaERNS_18TensorIteratorBaseEENKUlvE_clEvENKUlvE0_clEvEUlfE_NS0_6memory8policies11unroll_baseILi256ESt5arrayIPcLm2EE23TrivialOffsetCalculatorILi1EjESF_NS8_15LoadWithoutCastENS8_16StoreWithoutCastELi4ELi1EEEEEvT0_T1_.has_dyn_sized_stack)
	.set _ZN2at6native29vectorized_elementwise_kernelILi16EZZZNS0_12_GLOBAL__N_121bessel_j0_kernel_cudaERNS_18TensorIteratorBaseEENKUlvE_clEvENKUlvE0_clEvEUlfE_St5arrayIPcLm2EEEEviT0_T1_.has_recursion, or(0, .L_ZN2at6native25elementwise_kernel_helperILb0EZZZNS0_12_GLOBAL__N_121bessel_j0_kernel_cudaERNS_18TensorIteratorBaseEENKUlvE_clEvENKUlvE0_clEvEUlfE_NS0_6memory8policies10vectorizedILi4ESt5arrayIPcLm2EELi4EEEEEvT0_T1_.has_recursion, .L_ZN2at6native25elementwise_kernel_helperILb0EZZZNS0_12_GLOBAL__N_121bessel_j0_kernel_cudaERNS_18TensorIteratorBaseEENKUlvE_clEvENKUlvE0_clEvEUlfE_NS0_6memory8policies11unroll_baseILi256ESt5arrayIPcLm2EE23TrivialOffsetCalculatorILi1EjESF_NS8_15LoadWithoutCastENS8_16StoreWithoutCastELi4ELi1EEEEEvT0_T1_.has_recursion)
	.set _ZN2at6native29vectorized_elementwise_kernelILi16EZZZNS0_12_GLOBAL__N_121bessel_j0_kernel_cudaERNS_18TensorIteratorBaseEENKUlvE_clEvENKUlvE0_clEvEUlfE_St5arrayIPcLm2EEEEviT0_T1_.has_indirect_call, or(0, .L_ZN2at6native25elementwise_kernel_helperILb0EZZZNS0_12_GLOBAL__N_121bessel_j0_kernel_cudaERNS_18TensorIteratorBaseEENKUlvE_clEvENKUlvE0_clEvEUlfE_NS0_6memory8policies10vectorizedILi4ESt5arrayIPcLm2EELi4EEEEEvT0_T1_.has_indirect_call, .L_ZN2at6native25elementwise_kernel_helperILb0EZZZNS0_12_GLOBAL__N_121bessel_j0_kernel_cudaERNS_18TensorIteratorBaseEENKUlvE_clEvENKUlvE0_clEvEUlfE_NS0_6memory8policies11unroll_baseILi256ESt5arrayIPcLm2EE23TrivialOffsetCalculatorILi1EjESF_NS8_15LoadWithoutCastENS8_16StoreWithoutCastELi4ELi1EEEEEvT0_T1_.has_indirect_call)
	.section	.AMDGPU.csdata,"",@progbits
; Kernel info:
; codeLenInByte = 172
; TotalNumSgprs: 37
; NumVgprs: 32
; ScratchSize: 0
; MemoryBound: 0
; FloatMode: 240
; IeeeMode: 1
; LDSByteSize: 0 bytes/workgroup (compile time only)
; SGPRBlocks: 4
; VGPRBlocks: 7
; NumSGPRsForWavesPerEU: 37
; NumVGPRsForWavesPerEU: 32
; Occupancy: 8
; WaveLimiterHint : 0
; COMPUTE_PGM_RSRC2:SCRATCH_EN: 0
; COMPUTE_PGM_RSRC2:USER_SGPR: 6
; COMPUTE_PGM_RSRC2:TRAP_HANDLER: 0
; COMPUTE_PGM_RSRC2:TGID_X_EN: 1
; COMPUTE_PGM_RSRC2:TGID_Y_EN: 0
; COMPUTE_PGM_RSRC2:TGID_Z_EN: 0
; COMPUTE_PGM_RSRC2:TIDIG_COMP_CNT: 0
	.section	.text._ZN2at6native29vectorized_elementwise_kernelILi8EZZZNS0_12_GLOBAL__N_121bessel_j0_kernel_cudaERNS_18TensorIteratorBaseEENKUlvE_clEvENKUlvE0_clEvEUlfE_St5arrayIPcLm2EEEEviT0_T1_,"axG",@progbits,_ZN2at6native29vectorized_elementwise_kernelILi8EZZZNS0_12_GLOBAL__N_121bessel_j0_kernel_cudaERNS_18TensorIteratorBaseEENKUlvE_clEvENKUlvE0_clEvEUlfE_St5arrayIPcLm2EEEEviT0_T1_,comdat
	.globl	_ZN2at6native29vectorized_elementwise_kernelILi8EZZZNS0_12_GLOBAL__N_121bessel_j0_kernel_cudaERNS_18TensorIteratorBaseEENKUlvE_clEvENKUlvE0_clEvEUlfE_St5arrayIPcLm2EEEEviT0_T1_ ; -- Begin function _ZN2at6native29vectorized_elementwise_kernelILi8EZZZNS0_12_GLOBAL__N_121bessel_j0_kernel_cudaERNS_18TensorIteratorBaseEENKUlvE_clEvENKUlvE0_clEvEUlfE_St5arrayIPcLm2EEEEviT0_T1_
	.p2align	8
	.type	_ZN2at6native29vectorized_elementwise_kernelILi8EZZZNS0_12_GLOBAL__N_121bessel_j0_kernel_cudaERNS_18TensorIteratorBaseEENKUlvE_clEvENKUlvE0_clEvEUlfE_St5arrayIPcLm2EEEEviT0_T1_,@function
_ZN2at6native29vectorized_elementwise_kernelILi8EZZZNS0_12_GLOBAL__N_121bessel_j0_kernel_cudaERNS_18TensorIteratorBaseEENKUlvE_clEvENKUlvE0_clEvEUlfE_St5arrayIPcLm2EEEEviT0_T1_: ; @_ZN2at6native29vectorized_elementwise_kernelILi8EZZZNS0_12_GLOBAL__N_121bessel_j0_kernel_cudaERNS_18TensorIteratorBaseEENKUlvE_clEvENKUlvE0_clEvEUlfE_St5arrayIPcLm2EEEEviT0_T1_
; %bb.0:
	s_mov_b32 s18, s6
	s_load_dword s6, s[4:5], 0x0
	s_load_dwordx4 s[20:23], s[4:5], 0x8
	s_add_u32 s0, s0, s7
	s_addc_u32 s1, s1, 0
	s_lshl_b32 s4, s18, 10
	s_waitcnt lgkmcnt(0)
	s_sub_i32 s19, s6, s4
	v_mov_b32_e32 v31, v0
	s_cmpk_gt_i32 s19, 0x3ff
	s_mov_b64 s[4:5], -1
	s_mov_b32 s32, 0
	s_cbranch_scc1 .LBB15_3
; %bb.1:
	s_andn2_b64 vcc, exec, s[4:5]
	s_cbranch_vccz .LBB15_4
.LBB15_2:
	s_endpgm
.LBB15_3:
	s_getpc_b64 s[4:5]
	s_add_u32 s4, s4, _ZN2at6native25elementwise_kernel_helperILb0EZZZNS0_12_GLOBAL__N_121bessel_j0_kernel_cudaERNS_18TensorIteratorBaseEENKUlvE_clEvENKUlvE0_clEvEUlfE_NS0_6memory8policies10vectorizedILi4ESt5arrayIPcLm2EELi4EEEEEvT0_T1_@rel32@lo+4
	s_addc_u32 s5, s5, _ZN2at6native25elementwise_kernel_helperILb0EZZZNS0_12_GLOBAL__N_121bessel_j0_kernel_cudaERNS_18TensorIteratorBaseEENKUlvE_clEvENKUlvE0_clEvEUlfE_NS0_6memory8policies10vectorizedILi4ESt5arrayIPcLm2EELi4EEEEEvT0_T1_@rel32@hi+12
	s_mov_b32 s12, s18
	v_mov_b32_e32 v0, s20
	v_mov_b32_e32 v1, s21
	;; [unrolled: 1-line block ×4, first 2 shown]
	s_swappc_b64 s[30:31], s[4:5]
	s_cbranch_execnz .LBB15_2
.LBB15_4:
	s_getpc_b64 s[4:5]
	s_add_u32 s4, s4, _ZN2at6native25elementwise_kernel_helperILb0EZZZNS0_12_GLOBAL__N_121bessel_j0_kernel_cudaERNS_18TensorIteratorBaseEENKUlvE_clEvENKUlvE0_clEvEUlfE_NS0_6memory8policies11unroll_baseILi256ESt5arrayIPcLm2EE23TrivialOffsetCalculatorILi1EjESF_NS8_15LoadWithoutCastENS8_16StoreWithoutCastELi4ELi1EEEEEvT0_T1_@rel32@lo+4
	s_addc_u32 s5, s5, _ZN2at6native25elementwise_kernel_helperILb0EZZZNS0_12_GLOBAL__N_121bessel_j0_kernel_cudaERNS_18TensorIteratorBaseEENKUlvE_clEvENKUlvE0_clEvEUlfE_NS0_6memory8policies11unroll_baseILi256ESt5arrayIPcLm2EE23TrivialOffsetCalculatorILi1EjESF_NS8_15LoadWithoutCastENS8_16StoreWithoutCastELi4ELi1EEEEEvT0_T1_@rel32@hi+12
	s_mov_b32 s12, s18
	v_mov_b32_e32 v0, s20
	v_mov_b32_e32 v1, s21
	;; [unrolled: 1-line block ×5, first 2 shown]
	s_swappc_b64 s[30:31], s[4:5]
	s_endpgm
	.section	.rodata,"a",@progbits
	.p2align	6, 0x0
	.amdhsa_kernel _ZN2at6native29vectorized_elementwise_kernelILi8EZZZNS0_12_GLOBAL__N_121bessel_j0_kernel_cudaERNS_18TensorIteratorBaseEENKUlvE_clEvENKUlvE0_clEvEUlfE_St5arrayIPcLm2EEEEviT0_T1_
		.amdhsa_group_segment_fixed_size 0
		.amdhsa_private_segment_fixed_size 0
		.amdhsa_kernarg_size 24
		.amdhsa_user_sgpr_count 6
		.amdhsa_user_sgpr_private_segment_buffer 1
		.amdhsa_user_sgpr_dispatch_ptr 0
		.amdhsa_user_sgpr_queue_ptr 0
		.amdhsa_user_sgpr_kernarg_segment_ptr 1
		.amdhsa_user_sgpr_dispatch_id 0
		.amdhsa_user_sgpr_flat_scratch_init 0
		.amdhsa_user_sgpr_private_segment_size 0
		.amdhsa_uses_dynamic_stack 0
		.amdhsa_system_sgpr_private_segment_wavefront_offset 0
		.amdhsa_system_sgpr_workgroup_id_x 1
		.amdhsa_system_sgpr_workgroup_id_y 0
		.amdhsa_system_sgpr_workgroup_id_z 0
		.amdhsa_system_sgpr_workgroup_info 0
		.amdhsa_system_vgpr_workitem_id 0
		.amdhsa_next_free_vgpr 32
		.amdhsa_next_free_sgpr 33
		.amdhsa_reserve_vcc 1
		.amdhsa_reserve_flat_scratch 0
		.amdhsa_float_round_mode_32 0
		.amdhsa_float_round_mode_16_64 0
		.amdhsa_float_denorm_mode_32 3
		.amdhsa_float_denorm_mode_16_64 3
		.amdhsa_dx10_clamp 1
		.amdhsa_ieee_mode 1
		.amdhsa_fp16_overflow 0
		.amdhsa_exception_fp_ieee_invalid_op 0
		.amdhsa_exception_fp_denorm_src 0
		.amdhsa_exception_fp_ieee_div_zero 0
		.amdhsa_exception_fp_ieee_overflow 0
		.amdhsa_exception_fp_ieee_underflow 0
		.amdhsa_exception_fp_ieee_inexact 0
		.amdhsa_exception_int_div_zero 0
	.end_amdhsa_kernel
	.section	.text._ZN2at6native29vectorized_elementwise_kernelILi8EZZZNS0_12_GLOBAL__N_121bessel_j0_kernel_cudaERNS_18TensorIteratorBaseEENKUlvE_clEvENKUlvE0_clEvEUlfE_St5arrayIPcLm2EEEEviT0_T1_,"axG",@progbits,_ZN2at6native29vectorized_elementwise_kernelILi8EZZZNS0_12_GLOBAL__N_121bessel_j0_kernel_cudaERNS_18TensorIteratorBaseEENKUlvE_clEvENKUlvE0_clEvEUlfE_St5arrayIPcLm2EEEEviT0_T1_,comdat
.Lfunc_end15:
	.size	_ZN2at6native29vectorized_elementwise_kernelILi8EZZZNS0_12_GLOBAL__N_121bessel_j0_kernel_cudaERNS_18TensorIteratorBaseEENKUlvE_clEvENKUlvE0_clEvEUlfE_St5arrayIPcLm2EEEEviT0_T1_, .Lfunc_end15-_ZN2at6native29vectorized_elementwise_kernelILi8EZZZNS0_12_GLOBAL__N_121bessel_j0_kernel_cudaERNS_18TensorIteratorBaseEENKUlvE_clEvENKUlvE0_clEvEUlfE_St5arrayIPcLm2EEEEviT0_T1_
                                        ; -- End function
	.set _ZN2at6native29vectorized_elementwise_kernelILi8EZZZNS0_12_GLOBAL__N_121bessel_j0_kernel_cudaERNS_18TensorIteratorBaseEENKUlvE_clEvENKUlvE0_clEvEUlfE_St5arrayIPcLm2EEEEviT0_T1_.num_vgpr, max(32, .L_ZN2at6native25elementwise_kernel_helperILb0EZZZNS0_12_GLOBAL__N_121bessel_j0_kernel_cudaERNS_18TensorIteratorBaseEENKUlvE_clEvENKUlvE0_clEvEUlfE_NS0_6memory8policies10vectorizedILi4ESt5arrayIPcLm2EELi4EEEEEvT0_T1_.num_vgpr, .L_ZN2at6native25elementwise_kernel_helperILb0EZZZNS0_12_GLOBAL__N_121bessel_j0_kernel_cudaERNS_18TensorIteratorBaseEENKUlvE_clEvENKUlvE0_clEvEUlfE_NS0_6memory8policies11unroll_baseILi256ESt5arrayIPcLm2EE23TrivialOffsetCalculatorILi1EjESF_NS8_15LoadWithoutCastENS8_16StoreWithoutCastELi4ELi1EEEEEvT0_T1_.num_vgpr)
	.set _ZN2at6native29vectorized_elementwise_kernelILi8EZZZNS0_12_GLOBAL__N_121bessel_j0_kernel_cudaERNS_18TensorIteratorBaseEENKUlvE_clEvENKUlvE0_clEvEUlfE_St5arrayIPcLm2EEEEviT0_T1_.num_agpr, max(0, .L_ZN2at6native25elementwise_kernel_helperILb0EZZZNS0_12_GLOBAL__N_121bessel_j0_kernel_cudaERNS_18TensorIteratorBaseEENKUlvE_clEvENKUlvE0_clEvEUlfE_NS0_6memory8policies10vectorizedILi4ESt5arrayIPcLm2EELi4EEEEEvT0_T1_.num_agpr, .L_ZN2at6native25elementwise_kernel_helperILb0EZZZNS0_12_GLOBAL__N_121bessel_j0_kernel_cudaERNS_18TensorIteratorBaseEENKUlvE_clEvENKUlvE0_clEvEUlfE_NS0_6memory8policies11unroll_baseILi256ESt5arrayIPcLm2EE23TrivialOffsetCalculatorILi1EjESF_NS8_15LoadWithoutCastENS8_16StoreWithoutCastELi4ELi1EEEEEvT0_T1_.num_agpr)
	.set _ZN2at6native29vectorized_elementwise_kernelILi8EZZZNS0_12_GLOBAL__N_121bessel_j0_kernel_cudaERNS_18TensorIteratorBaseEENKUlvE_clEvENKUlvE0_clEvEUlfE_St5arrayIPcLm2EEEEviT0_T1_.numbered_sgpr, max(33, .L_ZN2at6native25elementwise_kernel_helperILb0EZZZNS0_12_GLOBAL__N_121bessel_j0_kernel_cudaERNS_18TensorIteratorBaseEENKUlvE_clEvENKUlvE0_clEvEUlfE_NS0_6memory8policies10vectorizedILi4ESt5arrayIPcLm2EELi4EEEEEvT0_T1_.numbered_sgpr, .L_ZN2at6native25elementwise_kernel_helperILb0EZZZNS0_12_GLOBAL__N_121bessel_j0_kernel_cudaERNS_18TensorIteratorBaseEENKUlvE_clEvENKUlvE0_clEvEUlfE_NS0_6memory8policies11unroll_baseILi256ESt5arrayIPcLm2EE23TrivialOffsetCalculatorILi1EjESF_NS8_15LoadWithoutCastENS8_16StoreWithoutCastELi4ELi1EEEEEvT0_T1_.numbered_sgpr)
	.set _ZN2at6native29vectorized_elementwise_kernelILi8EZZZNS0_12_GLOBAL__N_121bessel_j0_kernel_cudaERNS_18TensorIteratorBaseEENKUlvE_clEvENKUlvE0_clEvEUlfE_St5arrayIPcLm2EEEEviT0_T1_.num_named_barrier, max(0, .L_ZN2at6native25elementwise_kernel_helperILb0EZZZNS0_12_GLOBAL__N_121bessel_j0_kernel_cudaERNS_18TensorIteratorBaseEENKUlvE_clEvENKUlvE0_clEvEUlfE_NS0_6memory8policies10vectorizedILi4ESt5arrayIPcLm2EELi4EEEEEvT0_T1_.num_named_barrier, .L_ZN2at6native25elementwise_kernel_helperILb0EZZZNS0_12_GLOBAL__N_121bessel_j0_kernel_cudaERNS_18TensorIteratorBaseEENKUlvE_clEvENKUlvE0_clEvEUlfE_NS0_6memory8policies11unroll_baseILi256ESt5arrayIPcLm2EE23TrivialOffsetCalculatorILi1EjESF_NS8_15LoadWithoutCastENS8_16StoreWithoutCastELi4ELi1EEEEEvT0_T1_.num_named_barrier)
	.set _ZN2at6native29vectorized_elementwise_kernelILi8EZZZNS0_12_GLOBAL__N_121bessel_j0_kernel_cudaERNS_18TensorIteratorBaseEENKUlvE_clEvENKUlvE0_clEvEUlfE_St5arrayIPcLm2EEEEviT0_T1_.private_seg_size, 0+max(.L_ZN2at6native25elementwise_kernel_helperILb0EZZZNS0_12_GLOBAL__N_121bessel_j0_kernel_cudaERNS_18TensorIteratorBaseEENKUlvE_clEvENKUlvE0_clEvEUlfE_NS0_6memory8policies10vectorizedILi4ESt5arrayIPcLm2EELi4EEEEEvT0_T1_.private_seg_size, .L_ZN2at6native25elementwise_kernel_helperILb0EZZZNS0_12_GLOBAL__N_121bessel_j0_kernel_cudaERNS_18TensorIteratorBaseEENKUlvE_clEvENKUlvE0_clEvEUlfE_NS0_6memory8policies11unroll_baseILi256ESt5arrayIPcLm2EE23TrivialOffsetCalculatorILi1EjESF_NS8_15LoadWithoutCastENS8_16StoreWithoutCastELi4ELi1EEEEEvT0_T1_.private_seg_size)
	.set _ZN2at6native29vectorized_elementwise_kernelILi8EZZZNS0_12_GLOBAL__N_121bessel_j0_kernel_cudaERNS_18TensorIteratorBaseEENKUlvE_clEvENKUlvE0_clEvEUlfE_St5arrayIPcLm2EEEEviT0_T1_.uses_vcc, or(1, .L_ZN2at6native25elementwise_kernel_helperILb0EZZZNS0_12_GLOBAL__N_121bessel_j0_kernel_cudaERNS_18TensorIteratorBaseEENKUlvE_clEvENKUlvE0_clEvEUlfE_NS0_6memory8policies10vectorizedILi4ESt5arrayIPcLm2EELi4EEEEEvT0_T1_.uses_vcc, .L_ZN2at6native25elementwise_kernel_helperILb0EZZZNS0_12_GLOBAL__N_121bessel_j0_kernel_cudaERNS_18TensorIteratorBaseEENKUlvE_clEvENKUlvE0_clEvEUlfE_NS0_6memory8policies11unroll_baseILi256ESt5arrayIPcLm2EE23TrivialOffsetCalculatorILi1EjESF_NS8_15LoadWithoutCastENS8_16StoreWithoutCastELi4ELi1EEEEEvT0_T1_.uses_vcc)
	.set _ZN2at6native29vectorized_elementwise_kernelILi8EZZZNS0_12_GLOBAL__N_121bessel_j0_kernel_cudaERNS_18TensorIteratorBaseEENKUlvE_clEvENKUlvE0_clEvEUlfE_St5arrayIPcLm2EEEEviT0_T1_.uses_flat_scratch, or(0, .L_ZN2at6native25elementwise_kernel_helperILb0EZZZNS0_12_GLOBAL__N_121bessel_j0_kernel_cudaERNS_18TensorIteratorBaseEENKUlvE_clEvENKUlvE0_clEvEUlfE_NS0_6memory8policies10vectorizedILi4ESt5arrayIPcLm2EELi4EEEEEvT0_T1_.uses_flat_scratch, .L_ZN2at6native25elementwise_kernel_helperILb0EZZZNS0_12_GLOBAL__N_121bessel_j0_kernel_cudaERNS_18TensorIteratorBaseEENKUlvE_clEvENKUlvE0_clEvEUlfE_NS0_6memory8policies11unroll_baseILi256ESt5arrayIPcLm2EE23TrivialOffsetCalculatorILi1EjESF_NS8_15LoadWithoutCastENS8_16StoreWithoutCastELi4ELi1EEEEEvT0_T1_.uses_flat_scratch)
	.set _ZN2at6native29vectorized_elementwise_kernelILi8EZZZNS0_12_GLOBAL__N_121bessel_j0_kernel_cudaERNS_18TensorIteratorBaseEENKUlvE_clEvENKUlvE0_clEvEUlfE_St5arrayIPcLm2EEEEviT0_T1_.has_dyn_sized_stack, or(0, .L_ZN2at6native25elementwise_kernel_helperILb0EZZZNS0_12_GLOBAL__N_121bessel_j0_kernel_cudaERNS_18TensorIteratorBaseEENKUlvE_clEvENKUlvE0_clEvEUlfE_NS0_6memory8policies10vectorizedILi4ESt5arrayIPcLm2EELi4EEEEEvT0_T1_.has_dyn_sized_stack, .L_ZN2at6native25elementwise_kernel_helperILb0EZZZNS0_12_GLOBAL__N_121bessel_j0_kernel_cudaERNS_18TensorIteratorBaseEENKUlvE_clEvENKUlvE0_clEvEUlfE_NS0_6memory8policies11unroll_baseILi256ESt5arrayIPcLm2EE23TrivialOffsetCalculatorILi1EjESF_NS8_15LoadWithoutCastENS8_16StoreWithoutCastELi4ELi1EEEEEvT0_T1_.has_dyn_sized_stack)
	.set _ZN2at6native29vectorized_elementwise_kernelILi8EZZZNS0_12_GLOBAL__N_121bessel_j0_kernel_cudaERNS_18TensorIteratorBaseEENKUlvE_clEvENKUlvE0_clEvEUlfE_St5arrayIPcLm2EEEEviT0_T1_.has_recursion, or(0, .L_ZN2at6native25elementwise_kernel_helperILb0EZZZNS0_12_GLOBAL__N_121bessel_j0_kernel_cudaERNS_18TensorIteratorBaseEENKUlvE_clEvENKUlvE0_clEvEUlfE_NS0_6memory8policies10vectorizedILi4ESt5arrayIPcLm2EELi4EEEEEvT0_T1_.has_recursion, .L_ZN2at6native25elementwise_kernel_helperILb0EZZZNS0_12_GLOBAL__N_121bessel_j0_kernel_cudaERNS_18TensorIteratorBaseEENKUlvE_clEvENKUlvE0_clEvEUlfE_NS0_6memory8policies11unroll_baseILi256ESt5arrayIPcLm2EE23TrivialOffsetCalculatorILi1EjESF_NS8_15LoadWithoutCastENS8_16StoreWithoutCastELi4ELi1EEEEEvT0_T1_.has_recursion)
	.set _ZN2at6native29vectorized_elementwise_kernelILi8EZZZNS0_12_GLOBAL__N_121bessel_j0_kernel_cudaERNS_18TensorIteratorBaseEENKUlvE_clEvENKUlvE0_clEvEUlfE_St5arrayIPcLm2EEEEviT0_T1_.has_indirect_call, or(0, .L_ZN2at6native25elementwise_kernel_helperILb0EZZZNS0_12_GLOBAL__N_121bessel_j0_kernel_cudaERNS_18TensorIteratorBaseEENKUlvE_clEvENKUlvE0_clEvEUlfE_NS0_6memory8policies10vectorizedILi4ESt5arrayIPcLm2EELi4EEEEEvT0_T1_.has_indirect_call, .L_ZN2at6native25elementwise_kernel_helperILb0EZZZNS0_12_GLOBAL__N_121bessel_j0_kernel_cudaERNS_18TensorIteratorBaseEENKUlvE_clEvENKUlvE0_clEvEUlfE_NS0_6memory8policies11unroll_baseILi256ESt5arrayIPcLm2EE23TrivialOffsetCalculatorILi1EjESF_NS8_15LoadWithoutCastENS8_16StoreWithoutCastELi4ELi1EEEEEvT0_T1_.has_indirect_call)
	.section	.AMDGPU.csdata,"",@progbits
; Kernel info:
; codeLenInByte = 172
; TotalNumSgprs: 37
; NumVgprs: 32
; ScratchSize: 0
; MemoryBound: 0
; FloatMode: 240
; IeeeMode: 1
; LDSByteSize: 0 bytes/workgroup (compile time only)
; SGPRBlocks: 4
; VGPRBlocks: 7
; NumSGPRsForWavesPerEU: 37
; NumVGPRsForWavesPerEU: 32
; Occupancy: 8
; WaveLimiterHint : 0
; COMPUTE_PGM_RSRC2:SCRATCH_EN: 0
; COMPUTE_PGM_RSRC2:USER_SGPR: 6
; COMPUTE_PGM_RSRC2:TRAP_HANDLER: 0
; COMPUTE_PGM_RSRC2:TGID_X_EN: 1
; COMPUTE_PGM_RSRC2:TGID_Y_EN: 0
; COMPUTE_PGM_RSRC2:TGID_Z_EN: 0
; COMPUTE_PGM_RSRC2:TIDIG_COMP_CNT: 0
	.section	.text._ZN2at6native29vectorized_elementwise_kernelILi4EZZZNS0_12_GLOBAL__N_121bessel_j0_kernel_cudaERNS_18TensorIteratorBaseEENKUlvE_clEvENKUlvE0_clEvEUlfE_St5arrayIPcLm2EEEEviT0_T1_,"axG",@progbits,_ZN2at6native29vectorized_elementwise_kernelILi4EZZZNS0_12_GLOBAL__N_121bessel_j0_kernel_cudaERNS_18TensorIteratorBaseEENKUlvE_clEvENKUlvE0_clEvEUlfE_St5arrayIPcLm2EEEEviT0_T1_,comdat
	.globl	_ZN2at6native29vectorized_elementwise_kernelILi4EZZZNS0_12_GLOBAL__N_121bessel_j0_kernel_cudaERNS_18TensorIteratorBaseEENKUlvE_clEvENKUlvE0_clEvEUlfE_St5arrayIPcLm2EEEEviT0_T1_ ; -- Begin function _ZN2at6native29vectorized_elementwise_kernelILi4EZZZNS0_12_GLOBAL__N_121bessel_j0_kernel_cudaERNS_18TensorIteratorBaseEENKUlvE_clEvENKUlvE0_clEvEUlfE_St5arrayIPcLm2EEEEviT0_T1_
	.p2align	8
	.type	_ZN2at6native29vectorized_elementwise_kernelILi4EZZZNS0_12_GLOBAL__N_121bessel_j0_kernel_cudaERNS_18TensorIteratorBaseEENKUlvE_clEvENKUlvE0_clEvEUlfE_St5arrayIPcLm2EEEEviT0_T1_,@function
_ZN2at6native29vectorized_elementwise_kernelILi4EZZZNS0_12_GLOBAL__N_121bessel_j0_kernel_cudaERNS_18TensorIteratorBaseEENKUlvE_clEvENKUlvE0_clEvEUlfE_St5arrayIPcLm2EEEEviT0_T1_: ; @_ZN2at6native29vectorized_elementwise_kernelILi4EZZZNS0_12_GLOBAL__N_121bessel_j0_kernel_cudaERNS_18TensorIteratorBaseEENKUlvE_clEvENKUlvE0_clEvEUlfE_St5arrayIPcLm2EEEEviT0_T1_
; %bb.0:
	s_mov_b32 s18, s6
	s_load_dword s6, s[4:5], 0x0
	s_load_dwordx4 s[20:23], s[4:5], 0x8
	s_add_u32 s0, s0, s7
	s_addc_u32 s1, s1, 0
	s_lshl_b32 s4, s18, 10
	s_waitcnt lgkmcnt(0)
	s_sub_i32 s19, s6, s4
	v_mov_b32_e32 v31, v0
	s_cmpk_gt_i32 s19, 0x3ff
	s_mov_b64 s[4:5], -1
	s_mov_b32 s32, 0
	s_cbranch_scc1 .LBB16_3
; %bb.1:
	s_andn2_b64 vcc, exec, s[4:5]
	s_cbranch_vccz .LBB16_4
.LBB16_2:
	s_endpgm
.LBB16_3:
	s_getpc_b64 s[4:5]
	s_add_u32 s4, s4, _ZN2at6native25elementwise_kernel_helperILb0EZZZNS0_12_GLOBAL__N_121bessel_j0_kernel_cudaERNS_18TensorIteratorBaseEENKUlvE_clEvENKUlvE0_clEvEUlfE_NS0_6memory8policies10vectorizedILi4ESt5arrayIPcLm2EELi4EEEEEvT0_T1_@rel32@lo+4
	s_addc_u32 s5, s5, _ZN2at6native25elementwise_kernel_helperILb0EZZZNS0_12_GLOBAL__N_121bessel_j0_kernel_cudaERNS_18TensorIteratorBaseEENKUlvE_clEvENKUlvE0_clEvEUlfE_NS0_6memory8policies10vectorizedILi4ESt5arrayIPcLm2EELi4EEEEEvT0_T1_@rel32@hi+12
	s_mov_b32 s12, s18
	v_mov_b32_e32 v0, s20
	v_mov_b32_e32 v1, s21
	;; [unrolled: 1-line block ×4, first 2 shown]
	s_swappc_b64 s[30:31], s[4:5]
	s_cbranch_execnz .LBB16_2
.LBB16_4:
	s_getpc_b64 s[4:5]
	s_add_u32 s4, s4, _ZN2at6native25elementwise_kernel_helperILb0EZZZNS0_12_GLOBAL__N_121bessel_j0_kernel_cudaERNS_18TensorIteratorBaseEENKUlvE_clEvENKUlvE0_clEvEUlfE_NS0_6memory8policies11unroll_baseILi256ESt5arrayIPcLm2EE23TrivialOffsetCalculatorILi1EjESF_NS8_15LoadWithoutCastENS8_16StoreWithoutCastELi4ELi1EEEEEvT0_T1_@rel32@lo+4
	s_addc_u32 s5, s5, _ZN2at6native25elementwise_kernel_helperILb0EZZZNS0_12_GLOBAL__N_121bessel_j0_kernel_cudaERNS_18TensorIteratorBaseEENKUlvE_clEvENKUlvE0_clEvEUlfE_NS0_6memory8policies11unroll_baseILi256ESt5arrayIPcLm2EE23TrivialOffsetCalculatorILi1EjESF_NS8_15LoadWithoutCastENS8_16StoreWithoutCastELi4ELi1EEEEEvT0_T1_@rel32@hi+12
	s_mov_b32 s12, s18
	v_mov_b32_e32 v0, s20
	v_mov_b32_e32 v1, s21
	;; [unrolled: 1-line block ×5, first 2 shown]
	s_swappc_b64 s[30:31], s[4:5]
	s_endpgm
	.section	.rodata,"a",@progbits
	.p2align	6, 0x0
	.amdhsa_kernel _ZN2at6native29vectorized_elementwise_kernelILi4EZZZNS0_12_GLOBAL__N_121bessel_j0_kernel_cudaERNS_18TensorIteratorBaseEENKUlvE_clEvENKUlvE0_clEvEUlfE_St5arrayIPcLm2EEEEviT0_T1_
		.amdhsa_group_segment_fixed_size 0
		.amdhsa_private_segment_fixed_size 0
		.amdhsa_kernarg_size 24
		.amdhsa_user_sgpr_count 6
		.amdhsa_user_sgpr_private_segment_buffer 1
		.amdhsa_user_sgpr_dispatch_ptr 0
		.amdhsa_user_sgpr_queue_ptr 0
		.amdhsa_user_sgpr_kernarg_segment_ptr 1
		.amdhsa_user_sgpr_dispatch_id 0
		.amdhsa_user_sgpr_flat_scratch_init 0
		.amdhsa_user_sgpr_private_segment_size 0
		.amdhsa_uses_dynamic_stack 0
		.amdhsa_system_sgpr_private_segment_wavefront_offset 0
		.amdhsa_system_sgpr_workgroup_id_x 1
		.amdhsa_system_sgpr_workgroup_id_y 0
		.amdhsa_system_sgpr_workgroup_id_z 0
		.amdhsa_system_sgpr_workgroup_info 0
		.amdhsa_system_vgpr_workitem_id 0
		.amdhsa_next_free_vgpr 32
		.amdhsa_next_free_sgpr 33
		.amdhsa_reserve_vcc 1
		.amdhsa_reserve_flat_scratch 0
		.amdhsa_float_round_mode_32 0
		.amdhsa_float_round_mode_16_64 0
		.amdhsa_float_denorm_mode_32 3
		.amdhsa_float_denorm_mode_16_64 3
		.amdhsa_dx10_clamp 1
		.amdhsa_ieee_mode 1
		.amdhsa_fp16_overflow 0
		.amdhsa_exception_fp_ieee_invalid_op 0
		.amdhsa_exception_fp_denorm_src 0
		.amdhsa_exception_fp_ieee_div_zero 0
		.amdhsa_exception_fp_ieee_overflow 0
		.amdhsa_exception_fp_ieee_underflow 0
		.amdhsa_exception_fp_ieee_inexact 0
		.amdhsa_exception_int_div_zero 0
	.end_amdhsa_kernel
	.section	.text._ZN2at6native29vectorized_elementwise_kernelILi4EZZZNS0_12_GLOBAL__N_121bessel_j0_kernel_cudaERNS_18TensorIteratorBaseEENKUlvE_clEvENKUlvE0_clEvEUlfE_St5arrayIPcLm2EEEEviT0_T1_,"axG",@progbits,_ZN2at6native29vectorized_elementwise_kernelILi4EZZZNS0_12_GLOBAL__N_121bessel_j0_kernel_cudaERNS_18TensorIteratorBaseEENKUlvE_clEvENKUlvE0_clEvEUlfE_St5arrayIPcLm2EEEEviT0_T1_,comdat
.Lfunc_end16:
	.size	_ZN2at6native29vectorized_elementwise_kernelILi4EZZZNS0_12_GLOBAL__N_121bessel_j0_kernel_cudaERNS_18TensorIteratorBaseEENKUlvE_clEvENKUlvE0_clEvEUlfE_St5arrayIPcLm2EEEEviT0_T1_, .Lfunc_end16-_ZN2at6native29vectorized_elementwise_kernelILi4EZZZNS0_12_GLOBAL__N_121bessel_j0_kernel_cudaERNS_18TensorIteratorBaseEENKUlvE_clEvENKUlvE0_clEvEUlfE_St5arrayIPcLm2EEEEviT0_T1_
                                        ; -- End function
	.set _ZN2at6native29vectorized_elementwise_kernelILi4EZZZNS0_12_GLOBAL__N_121bessel_j0_kernel_cudaERNS_18TensorIteratorBaseEENKUlvE_clEvENKUlvE0_clEvEUlfE_St5arrayIPcLm2EEEEviT0_T1_.num_vgpr, max(32, .L_ZN2at6native25elementwise_kernel_helperILb0EZZZNS0_12_GLOBAL__N_121bessel_j0_kernel_cudaERNS_18TensorIteratorBaseEENKUlvE_clEvENKUlvE0_clEvEUlfE_NS0_6memory8policies10vectorizedILi4ESt5arrayIPcLm2EELi4EEEEEvT0_T1_.num_vgpr, .L_ZN2at6native25elementwise_kernel_helperILb0EZZZNS0_12_GLOBAL__N_121bessel_j0_kernel_cudaERNS_18TensorIteratorBaseEENKUlvE_clEvENKUlvE0_clEvEUlfE_NS0_6memory8policies11unroll_baseILi256ESt5arrayIPcLm2EE23TrivialOffsetCalculatorILi1EjESF_NS8_15LoadWithoutCastENS8_16StoreWithoutCastELi4ELi1EEEEEvT0_T1_.num_vgpr)
	.set _ZN2at6native29vectorized_elementwise_kernelILi4EZZZNS0_12_GLOBAL__N_121bessel_j0_kernel_cudaERNS_18TensorIteratorBaseEENKUlvE_clEvENKUlvE0_clEvEUlfE_St5arrayIPcLm2EEEEviT0_T1_.num_agpr, max(0, .L_ZN2at6native25elementwise_kernel_helperILb0EZZZNS0_12_GLOBAL__N_121bessel_j0_kernel_cudaERNS_18TensorIteratorBaseEENKUlvE_clEvENKUlvE0_clEvEUlfE_NS0_6memory8policies10vectorizedILi4ESt5arrayIPcLm2EELi4EEEEEvT0_T1_.num_agpr, .L_ZN2at6native25elementwise_kernel_helperILb0EZZZNS0_12_GLOBAL__N_121bessel_j0_kernel_cudaERNS_18TensorIteratorBaseEENKUlvE_clEvENKUlvE0_clEvEUlfE_NS0_6memory8policies11unroll_baseILi256ESt5arrayIPcLm2EE23TrivialOffsetCalculatorILi1EjESF_NS8_15LoadWithoutCastENS8_16StoreWithoutCastELi4ELi1EEEEEvT0_T1_.num_agpr)
	.set _ZN2at6native29vectorized_elementwise_kernelILi4EZZZNS0_12_GLOBAL__N_121bessel_j0_kernel_cudaERNS_18TensorIteratorBaseEENKUlvE_clEvENKUlvE0_clEvEUlfE_St5arrayIPcLm2EEEEviT0_T1_.numbered_sgpr, max(33, .L_ZN2at6native25elementwise_kernel_helperILb0EZZZNS0_12_GLOBAL__N_121bessel_j0_kernel_cudaERNS_18TensorIteratorBaseEENKUlvE_clEvENKUlvE0_clEvEUlfE_NS0_6memory8policies10vectorizedILi4ESt5arrayIPcLm2EELi4EEEEEvT0_T1_.numbered_sgpr, .L_ZN2at6native25elementwise_kernel_helperILb0EZZZNS0_12_GLOBAL__N_121bessel_j0_kernel_cudaERNS_18TensorIteratorBaseEENKUlvE_clEvENKUlvE0_clEvEUlfE_NS0_6memory8policies11unroll_baseILi256ESt5arrayIPcLm2EE23TrivialOffsetCalculatorILi1EjESF_NS8_15LoadWithoutCastENS8_16StoreWithoutCastELi4ELi1EEEEEvT0_T1_.numbered_sgpr)
	.set _ZN2at6native29vectorized_elementwise_kernelILi4EZZZNS0_12_GLOBAL__N_121bessel_j0_kernel_cudaERNS_18TensorIteratorBaseEENKUlvE_clEvENKUlvE0_clEvEUlfE_St5arrayIPcLm2EEEEviT0_T1_.num_named_barrier, max(0, .L_ZN2at6native25elementwise_kernel_helperILb0EZZZNS0_12_GLOBAL__N_121bessel_j0_kernel_cudaERNS_18TensorIteratorBaseEENKUlvE_clEvENKUlvE0_clEvEUlfE_NS0_6memory8policies10vectorizedILi4ESt5arrayIPcLm2EELi4EEEEEvT0_T1_.num_named_barrier, .L_ZN2at6native25elementwise_kernel_helperILb0EZZZNS0_12_GLOBAL__N_121bessel_j0_kernel_cudaERNS_18TensorIteratorBaseEENKUlvE_clEvENKUlvE0_clEvEUlfE_NS0_6memory8policies11unroll_baseILi256ESt5arrayIPcLm2EE23TrivialOffsetCalculatorILi1EjESF_NS8_15LoadWithoutCastENS8_16StoreWithoutCastELi4ELi1EEEEEvT0_T1_.num_named_barrier)
	.set _ZN2at6native29vectorized_elementwise_kernelILi4EZZZNS0_12_GLOBAL__N_121bessel_j0_kernel_cudaERNS_18TensorIteratorBaseEENKUlvE_clEvENKUlvE0_clEvEUlfE_St5arrayIPcLm2EEEEviT0_T1_.private_seg_size, 0+max(.L_ZN2at6native25elementwise_kernel_helperILb0EZZZNS0_12_GLOBAL__N_121bessel_j0_kernel_cudaERNS_18TensorIteratorBaseEENKUlvE_clEvENKUlvE0_clEvEUlfE_NS0_6memory8policies10vectorizedILi4ESt5arrayIPcLm2EELi4EEEEEvT0_T1_.private_seg_size, .L_ZN2at6native25elementwise_kernel_helperILb0EZZZNS0_12_GLOBAL__N_121bessel_j0_kernel_cudaERNS_18TensorIteratorBaseEENKUlvE_clEvENKUlvE0_clEvEUlfE_NS0_6memory8policies11unroll_baseILi256ESt5arrayIPcLm2EE23TrivialOffsetCalculatorILi1EjESF_NS8_15LoadWithoutCastENS8_16StoreWithoutCastELi4ELi1EEEEEvT0_T1_.private_seg_size)
	.set _ZN2at6native29vectorized_elementwise_kernelILi4EZZZNS0_12_GLOBAL__N_121bessel_j0_kernel_cudaERNS_18TensorIteratorBaseEENKUlvE_clEvENKUlvE0_clEvEUlfE_St5arrayIPcLm2EEEEviT0_T1_.uses_vcc, or(1, .L_ZN2at6native25elementwise_kernel_helperILb0EZZZNS0_12_GLOBAL__N_121bessel_j0_kernel_cudaERNS_18TensorIteratorBaseEENKUlvE_clEvENKUlvE0_clEvEUlfE_NS0_6memory8policies10vectorizedILi4ESt5arrayIPcLm2EELi4EEEEEvT0_T1_.uses_vcc, .L_ZN2at6native25elementwise_kernel_helperILb0EZZZNS0_12_GLOBAL__N_121bessel_j0_kernel_cudaERNS_18TensorIteratorBaseEENKUlvE_clEvENKUlvE0_clEvEUlfE_NS0_6memory8policies11unroll_baseILi256ESt5arrayIPcLm2EE23TrivialOffsetCalculatorILi1EjESF_NS8_15LoadWithoutCastENS8_16StoreWithoutCastELi4ELi1EEEEEvT0_T1_.uses_vcc)
	.set _ZN2at6native29vectorized_elementwise_kernelILi4EZZZNS0_12_GLOBAL__N_121bessel_j0_kernel_cudaERNS_18TensorIteratorBaseEENKUlvE_clEvENKUlvE0_clEvEUlfE_St5arrayIPcLm2EEEEviT0_T1_.uses_flat_scratch, or(0, .L_ZN2at6native25elementwise_kernel_helperILb0EZZZNS0_12_GLOBAL__N_121bessel_j0_kernel_cudaERNS_18TensorIteratorBaseEENKUlvE_clEvENKUlvE0_clEvEUlfE_NS0_6memory8policies10vectorizedILi4ESt5arrayIPcLm2EELi4EEEEEvT0_T1_.uses_flat_scratch, .L_ZN2at6native25elementwise_kernel_helperILb0EZZZNS0_12_GLOBAL__N_121bessel_j0_kernel_cudaERNS_18TensorIteratorBaseEENKUlvE_clEvENKUlvE0_clEvEUlfE_NS0_6memory8policies11unroll_baseILi256ESt5arrayIPcLm2EE23TrivialOffsetCalculatorILi1EjESF_NS8_15LoadWithoutCastENS8_16StoreWithoutCastELi4ELi1EEEEEvT0_T1_.uses_flat_scratch)
	.set _ZN2at6native29vectorized_elementwise_kernelILi4EZZZNS0_12_GLOBAL__N_121bessel_j0_kernel_cudaERNS_18TensorIteratorBaseEENKUlvE_clEvENKUlvE0_clEvEUlfE_St5arrayIPcLm2EEEEviT0_T1_.has_dyn_sized_stack, or(0, .L_ZN2at6native25elementwise_kernel_helperILb0EZZZNS0_12_GLOBAL__N_121bessel_j0_kernel_cudaERNS_18TensorIteratorBaseEENKUlvE_clEvENKUlvE0_clEvEUlfE_NS0_6memory8policies10vectorizedILi4ESt5arrayIPcLm2EELi4EEEEEvT0_T1_.has_dyn_sized_stack, .L_ZN2at6native25elementwise_kernel_helperILb0EZZZNS0_12_GLOBAL__N_121bessel_j0_kernel_cudaERNS_18TensorIteratorBaseEENKUlvE_clEvENKUlvE0_clEvEUlfE_NS0_6memory8policies11unroll_baseILi256ESt5arrayIPcLm2EE23TrivialOffsetCalculatorILi1EjESF_NS8_15LoadWithoutCastENS8_16StoreWithoutCastELi4ELi1EEEEEvT0_T1_.has_dyn_sized_stack)
	.set _ZN2at6native29vectorized_elementwise_kernelILi4EZZZNS0_12_GLOBAL__N_121bessel_j0_kernel_cudaERNS_18TensorIteratorBaseEENKUlvE_clEvENKUlvE0_clEvEUlfE_St5arrayIPcLm2EEEEviT0_T1_.has_recursion, or(0, .L_ZN2at6native25elementwise_kernel_helperILb0EZZZNS0_12_GLOBAL__N_121bessel_j0_kernel_cudaERNS_18TensorIteratorBaseEENKUlvE_clEvENKUlvE0_clEvEUlfE_NS0_6memory8policies10vectorizedILi4ESt5arrayIPcLm2EELi4EEEEEvT0_T1_.has_recursion, .L_ZN2at6native25elementwise_kernel_helperILb0EZZZNS0_12_GLOBAL__N_121bessel_j0_kernel_cudaERNS_18TensorIteratorBaseEENKUlvE_clEvENKUlvE0_clEvEUlfE_NS0_6memory8policies11unroll_baseILi256ESt5arrayIPcLm2EE23TrivialOffsetCalculatorILi1EjESF_NS8_15LoadWithoutCastENS8_16StoreWithoutCastELi4ELi1EEEEEvT0_T1_.has_recursion)
	.set _ZN2at6native29vectorized_elementwise_kernelILi4EZZZNS0_12_GLOBAL__N_121bessel_j0_kernel_cudaERNS_18TensorIteratorBaseEENKUlvE_clEvENKUlvE0_clEvEUlfE_St5arrayIPcLm2EEEEviT0_T1_.has_indirect_call, or(0, .L_ZN2at6native25elementwise_kernel_helperILb0EZZZNS0_12_GLOBAL__N_121bessel_j0_kernel_cudaERNS_18TensorIteratorBaseEENKUlvE_clEvENKUlvE0_clEvEUlfE_NS0_6memory8policies10vectorizedILi4ESt5arrayIPcLm2EELi4EEEEEvT0_T1_.has_indirect_call, .L_ZN2at6native25elementwise_kernel_helperILb0EZZZNS0_12_GLOBAL__N_121bessel_j0_kernel_cudaERNS_18TensorIteratorBaseEENKUlvE_clEvENKUlvE0_clEvEUlfE_NS0_6memory8policies11unroll_baseILi256ESt5arrayIPcLm2EE23TrivialOffsetCalculatorILi1EjESF_NS8_15LoadWithoutCastENS8_16StoreWithoutCastELi4ELi1EEEEEvT0_T1_.has_indirect_call)
	.section	.AMDGPU.csdata,"",@progbits
; Kernel info:
; codeLenInByte = 172
; TotalNumSgprs: 37
; NumVgprs: 32
; ScratchSize: 0
; MemoryBound: 0
; FloatMode: 240
; IeeeMode: 1
; LDSByteSize: 0 bytes/workgroup (compile time only)
; SGPRBlocks: 4
; VGPRBlocks: 7
; NumSGPRsForWavesPerEU: 37
; NumVGPRsForWavesPerEU: 32
; Occupancy: 8
; WaveLimiterHint : 0
; COMPUTE_PGM_RSRC2:SCRATCH_EN: 0
; COMPUTE_PGM_RSRC2:USER_SGPR: 6
; COMPUTE_PGM_RSRC2:TRAP_HANDLER: 0
; COMPUTE_PGM_RSRC2:TGID_X_EN: 1
; COMPUTE_PGM_RSRC2:TGID_Y_EN: 0
; COMPUTE_PGM_RSRC2:TGID_Z_EN: 0
; COMPUTE_PGM_RSRC2:TIDIG_COMP_CNT: 0
	.section	.text._ZN2at6native29vectorized_elementwise_kernelILi2EZZZNS0_12_GLOBAL__N_121bessel_j0_kernel_cudaERNS_18TensorIteratorBaseEENKUlvE_clEvENKUlvE0_clEvEUlfE_St5arrayIPcLm2EEEEviT0_T1_,"axG",@progbits,_ZN2at6native29vectorized_elementwise_kernelILi2EZZZNS0_12_GLOBAL__N_121bessel_j0_kernel_cudaERNS_18TensorIteratorBaseEENKUlvE_clEvENKUlvE0_clEvEUlfE_St5arrayIPcLm2EEEEviT0_T1_,comdat
	.globl	_ZN2at6native29vectorized_elementwise_kernelILi2EZZZNS0_12_GLOBAL__N_121bessel_j0_kernel_cudaERNS_18TensorIteratorBaseEENKUlvE_clEvENKUlvE0_clEvEUlfE_St5arrayIPcLm2EEEEviT0_T1_ ; -- Begin function _ZN2at6native29vectorized_elementwise_kernelILi2EZZZNS0_12_GLOBAL__N_121bessel_j0_kernel_cudaERNS_18TensorIteratorBaseEENKUlvE_clEvENKUlvE0_clEvEUlfE_St5arrayIPcLm2EEEEviT0_T1_
	.p2align	8
	.type	_ZN2at6native29vectorized_elementwise_kernelILi2EZZZNS0_12_GLOBAL__N_121bessel_j0_kernel_cudaERNS_18TensorIteratorBaseEENKUlvE_clEvENKUlvE0_clEvEUlfE_St5arrayIPcLm2EEEEviT0_T1_,@function
_ZN2at6native29vectorized_elementwise_kernelILi2EZZZNS0_12_GLOBAL__N_121bessel_j0_kernel_cudaERNS_18TensorIteratorBaseEENKUlvE_clEvENKUlvE0_clEvEUlfE_St5arrayIPcLm2EEEEviT0_T1_: ; @_ZN2at6native29vectorized_elementwise_kernelILi2EZZZNS0_12_GLOBAL__N_121bessel_j0_kernel_cudaERNS_18TensorIteratorBaseEENKUlvE_clEvENKUlvE0_clEvEUlfE_St5arrayIPcLm2EEEEviT0_T1_
; %bb.0:
	s_add_u32 s0, s0, s7
	s_load_dword s7, s[4:5], 0x0
	s_load_dwordx4 s[16:19], s[4:5], 0x8
	s_addc_u32 s1, s1, 0
	s_lshl_b32 s4, s6, 10
	s_mov_b64 s[8:9], -1
	s_waitcnt lgkmcnt(0)
	s_sub_i32 s7, s7, s4
	s_cmpk_gt_i32 s7, 0x3ff
	s_mov_b32 s32, 0
	s_cbranch_scc0 .LBB17_10
; %bb.1:
	s_ashr_i32 s5, s4, 31
	s_lshl_b64 s[12:13], s[4:5], 2
	s_add_u32 s4, s18, s12
	s_addc_u32 s5, s19, s13
	v_lshlrev_b32_e32 v5, 3, v0
	global_load_dwordx2 v[1:2], v5, s[4:5]
	global_load_dwordx2 v[3:4], v5, s[4:5] offset:2048
	s_mov_b32 s4, 0x40a00000
	s_waitcnt vmcnt(1)
	v_cmp_gt_f32_e32 vcc, 0, v1
	v_cndmask_b32_e64 v6, v1, -v1, vcc
	v_cmp_ge_f32_e32 vcc, s4, v6
	v_mul_f32_e32 v8, v6, v6
                                        ; implicit-def: $vgpr1
	s_and_saveexec_b64 s[4:5], vcc
	s_xor_b64 s[4:5], exec, s[4:5]
	s_cbranch_execz .LBB17_7
; %bb.2:
	s_mov_b32 s8, 0x3727c5ac
	v_cmp_ngt_f32_e32 vcc, s8, v6
                                        ; implicit-def: $vgpr1
	s_and_saveexec_b64 s[8:9], vcc
	s_xor_b64 s[8:9], exec, s[8:9]
	s_cbranch_execz .LBB17_4
; %bb.3:
	v_mov_b32_e32 v1, 0xcf8ee29d
	v_fmac_f32_e32 v1, 0, v8
	v_mov_b32_e32 v6, 0x53e3ba8e
	v_fmac_f32_e32 v6, v8, v1
	;; [unrolled: 2-line block ×12, first 2 shown]
	v_add_f32_e32 v1, 0xc0b90fdc, v8
	v_add_f32_e32 v8, 0xc1f3c525, v8
	v_mul_f32_e32 v1, v1, v8
	v_mul_f32_e32 v1, v1, v6
	v_div_scale_f32 v6, s[10:11], v7, v7, v1
	v_div_scale_f32 v8, vcc, v1, v7, v1
	v_rcp_f32_e32 v9, v6
	v_fma_f32 v10, -v6, v9, 1.0
	v_fmac_f32_e32 v9, v10, v9
	v_mul_f32_e32 v10, v8, v9
	v_fma_f32 v11, -v6, v10, v8
	v_fmac_f32_e32 v10, v11, v9
	v_fma_f32 v6, -v6, v10, v8
	v_div_fmas_f32 v6, v6, v9, v10
                                        ; implicit-def: $vgpr8
	v_div_fixup_f32 v1, v6, v7, v1
.LBB17_4:
	s_andn2_saveexec_b64 s[8:9], s[8:9]
; %bb.5:
	s_mov_b32 s10, 0xbe800000
	v_fma_f32 v1, v8, s10, 1.0
; %bb.6:
	s_or_b64 exec, exec, s[8:9]
                                        ; implicit-def: $vgpr8
                                        ; implicit-def: $vgpr6
.LBB17_7:
	s_andn2_saveexec_b64 s[14:15], s[4:5]
	s_cbranch_execz .LBB17_19
; %bb.8:
	v_add_f32_e32 v1, 0xbf490fdb, v6
	v_and_b32_e32 v7, 0x7fffffff, v1
	s_brev_b32 s4, 18
	v_cmp_nlt_f32_e64 s[20:21], |v1|, s4
	v_lshrrev_b32_e32 v13, 23, v7
                                        ; implicit-def: $vgpr9
                                        ; implicit-def: $vgpr10
	s_and_saveexec_b64 s[4:5], s[20:21]
	s_xor_b64 s[22:23], exec, s[4:5]
	s_cbranch_execz .LBB17_12
; %bb.9:
	v_and_b32_e32 v9, 0x7fffff, v7
	v_or_b32_e32 v12, 0x800000, v9
	s_mov_b32 s4, 0xfe5163ab
	v_mad_u64_u32 v[9:10], s[4:5], v12, s4, 0
	v_mov_b32_e32 v11, 0
	s_mov_b32 s4, 0x3c439041
	v_mad_u64_u32 v[14:15], s[4:5], v12, s4, v[10:11]
	s_mov_b32 s4, 0xdb629599
	v_add_u32_e32 v19, 0xffffff88, v13
	v_mov_b32_e32 v10, v15
	v_mad_u64_u32 v[15:16], s[4:5], v12, s4, v[10:11]
	s_mov_b32 s4, 0xf534ddc0
	v_not_b32_e32 v20, 63
	v_mov_b32_e32 v10, v16
	v_mad_u64_u32 v[16:17], s[4:5], v12, s4, v[10:11]
	s_mov_b32 s4, 0xfc2757d1
	v_cmp_lt_u32_e32 vcc, 63, v19
	v_mov_b32_e32 v10, v17
	v_mad_u64_u32 v[17:18], s[4:5], v12, s4, v[10:11]
	v_cndmask_b32_e32 v10, 0, v20, vcc
	v_add_u32_e32 v20, v10, v19
	v_mov_b32_e32 v10, v18
	s_mov_b32 s4, 0x4e441529
	v_mad_u64_u32 v[18:19], s[4:5], v12, s4, v[10:11]
	v_not_b32_e32 v21, 31
	v_cmp_lt_u32_e64 s[4:5], 31, v20
	v_cndmask_b32_e64 v10, 0, v21, s[4:5]
	v_add_u32_e32 v20, v10, v20
	v_mov_b32_e32 v10, v19
	s_mov_b32 s8, 0xa2f9836e
	v_mad_u64_u32 v[10:11], s[8:9], v12, s8, v[10:11]
	v_cmp_lt_u32_e64 s[8:9], 31, v20
	v_cndmask_b32_e64 v12, 0, v21, s[8:9]
	v_cndmask_b32_e32 v19, v18, v16, vcc
	v_cndmask_b32_e32 v10, v10, v17, vcc
	v_cndmask_b32_e32 v11, v11, v18, vcc
	v_add_u32_e32 v12, v12, v20
	v_cndmask_b32_e64 v20, v10, v19, s[4:5]
	v_cndmask_b32_e64 v10, v11, v10, s[4:5]
	v_cndmask_b32_e32 v11, v17, v15, vcc
	v_cndmask_b32_e64 v17, v19, v11, s[4:5]
	v_cndmask_b32_e64 v10, v10, v20, s[8:9]
	;; [unrolled: 1-line block ×3, first 2 shown]
	v_sub_u32_e32 v19, 32, v12
	v_alignbit_b32 v20, v10, v18, v19
	v_cmp_eq_u32_e64 s[10:11], 0, v12
	v_cndmask_b32_e64 v12, v20, v10, s[10:11]
	v_cndmask_b32_e32 v10, v16, v14, vcc
	v_cndmask_b32_e64 v11, v11, v10, s[4:5]
	v_cndmask_b32_e64 v14, v17, v11, s[8:9]
	v_alignbit_b32 v16, v18, v14, v19
	v_cndmask_b32_e32 v9, v15, v9, vcc
	v_cndmask_b32_e64 v16, v16, v18, s[10:11]
	v_bfe_u32 v20, v12, 29, 1
	v_cndmask_b32_e64 v9, v10, v9, s[4:5]
	v_alignbit_b32 v17, v12, v16, 30
	v_sub_u32_e32 v21, 0, v20
	v_cndmask_b32_e64 v9, v11, v9, s[8:9]
	v_xor_b32_e32 v17, v17, v21
	v_alignbit_b32 v10, v14, v9, v19
	v_cndmask_b32_e64 v10, v10, v14, s[10:11]
	v_ffbh_u32_e32 v14, v17
	v_alignbit_b32 v11, v16, v10, 30
	v_min_u32_e32 v14, 32, v14
	v_alignbit_b32 v9, v10, v9, 30
	v_xor_b32_e32 v11, v11, v21
	v_sub_u32_e32 v15, 31, v14
	v_xor_b32_e32 v9, v9, v21
	v_alignbit_b32 v16, v17, v11, v15
	v_alignbit_b32 v9, v11, v9, v15
	v_alignbit_b32 v10, v16, v9, 9
	v_ffbh_u32_e32 v11, v10
	v_min_u32_e32 v11, 32, v11
	v_lshrrev_b32_e32 v18, 29, v12
	v_not_b32_e32 v15, v11
	v_alignbit_b32 v9, v10, v9, v15
	v_lshlrev_b32_e32 v10, 31, v18
	v_or_b32_e32 v15, 0x33000000, v10
	v_add_lshl_u32 v11, v11, v14, 23
	v_lshrrev_b32_e32 v9, 9, v9
	v_sub_u32_e32 v11, v15, v11
	v_or_b32_e32 v10, 0.5, v10
	v_lshlrev_b32_e32 v14, 23, v14
	v_or_b32_e32 v9, v11, v9
	v_lshrrev_b32_e32 v11, 9, v16
	v_sub_u32_e32 v10, v10, v14
	v_or_b32_e32 v10, v11, v10
	s_mov_b32 s4, 0x3fc90fda
	v_mul_f32_e32 v11, 0x3fc90fda, v10
	v_fma_f32 v14, v10, s4, -v11
	v_fmac_f32_e32 v14, 0x33a22168, v10
	v_fmac_f32_e32 v14, 0x3fc90fda, v9
	v_lshrrev_b32_e32 v9, 30, v12
	v_add_f32_e32 v10, v11, v14
	v_add_u32_e32 v9, v20, v9
	s_andn2_saveexec_b64 s[4:5], s[22:23]
	s_cbranch_execz .LBB17_14
	s_branch .LBB17_13
.LBB17_10:
	s_and_b64 vcc, exec, s[8:9]
	s_cbranch_vccz .LBB17_68
; %bb.11:
	s_getpc_b64 s[4:5]
	s_add_u32 s4, s4, _ZN2at6native25elementwise_kernel_helperILb0EZZZNS0_12_GLOBAL__N_121bessel_j0_kernel_cudaERNS_18TensorIteratorBaseEENKUlvE_clEvENKUlvE0_clEvEUlfE_NS0_6memory8policies11unroll_baseILi256ESt5arrayIPcLm2EE23TrivialOffsetCalculatorILi1EjESF_NS8_15LoadWithoutCastENS8_16StoreWithoutCastELi4ELi1EEEEEvT0_T1_@rel32@lo+4
	s_addc_u32 s5, s5, _ZN2at6native25elementwise_kernel_helperILb0EZZZNS0_12_GLOBAL__N_121bessel_j0_kernel_cudaERNS_18TensorIteratorBaseEENKUlvE_clEvENKUlvE0_clEvEUlfE_NS0_6memory8policies11unroll_baseILi256ESt5arrayIPcLm2EE23TrivialOffsetCalculatorILi1EjESF_NS8_15LoadWithoutCastENS8_16StoreWithoutCastELi4ELi1EEEEEvT0_T1_@rel32@hi+12
	s_mov_b32 s12, s6
	v_mov_b32_e32 v31, v0
	v_mov_b32_e32 v0, s16
	;; [unrolled: 1-line block ×6, first 2 shown]
	s_swappc_b64 s[30:31], s[4:5]
	s_endpgm
.LBB17_12:
	s_andn2_saveexec_b64 s[4:5], s[22:23]
	s_cbranch_execz .LBB17_14
.LBB17_13:
	s_mov_b32 s8, 0x3f22f983
	v_mul_f32_e64 v9, |v1|, s8
	v_rndne_f32_e32 v11, v9
	s_mov_b32 s8, 0xbfc90fda
	v_cvt_i32_f32_e32 v9, v11
	v_fma_f32 v10, v11, s8, |v1|
	v_fmac_f32_e32 v10, 0xb3a22168, v11
	v_fmac_f32_e32 v10, 0xa7c234c4, v11
.LBB17_14:
	s_or_b64 exec, exec, s[4:5]
                                        ; implicit-def: $vgpr11
                                        ; implicit-def: $vgpr12
	s_and_saveexec_b64 s[4:5], s[20:21]
	s_xor_b64 s[20:21], exec, s[4:5]
	s_cbranch_execz .LBB17_16
; %bb.15:
	v_and_b32_e32 v11, 0x7fffff, v7
	v_or_b32_e32 v20, 0x800000, v11
	s_mov_b32 s4, 0xfe5163ab
	v_mad_u64_u32 v[11:12], s[4:5], v20, s4, 0
	v_mov_b32_e32 v15, 0
	s_mov_b32 s4, 0x3c439041
	v_mov_b32_e32 v14, v12
	v_mad_u64_u32 v[16:17], s[4:5], v20, s4, v[14:15]
	s_mov_b32 s4, 0xdb629599
	v_add_u32_e32 v21, 0xffffff88, v13
	v_mov_b32_e32 v14, v17
	v_mad_u64_u32 v[17:18], s[4:5], v20, s4, v[14:15]
	s_mov_b32 s4, 0xf534ddc0
	v_not_b32_e32 v22, 63
	v_mov_b32_e32 v14, v18
	v_mad_u64_u32 v[18:19], s[4:5], v20, s4, v[14:15]
	s_mov_b32 s4, 0xfc2757d1
	v_cmp_lt_u32_e32 vcc, 63, v21
	v_mov_b32_e32 v14, v19
	v_mad_u64_u32 v[12:13], s[4:5], v20, s4, v[14:15]
	v_cndmask_b32_e32 v14, 0, v22, vcc
	v_add_u32_e32 v19, v14, v21
	v_mov_b32_e32 v14, v13
	s_mov_b32 s4, 0x4e441529
	v_mad_u64_u32 v[13:14], s[4:5], v20, s4, v[14:15]
	v_not_b32_e32 v21, 31
	v_cmp_lt_u32_e64 s[4:5], 31, v19
	s_mov_b32 s8, 0xa2f9836e
	v_cndmask_b32_e64 v22, 0, v21, s[4:5]
	v_mad_u64_u32 v[14:15], s[8:9], v20, s8, v[14:15]
	v_add_u32_e32 v19, v22, v19
	v_cmp_lt_u32_e64 s[8:9], 31, v19
	v_cndmask_b32_e64 v20, 0, v21, s[8:9]
	v_add_u32_e32 v19, v20, v19
	v_cndmask_b32_e32 v20, v13, v18, vcc
	v_cndmask_b32_e32 v14, v14, v12, vcc
	;; [unrolled: 1-line block ×4, first 2 shown]
	v_cndmask_b32_e64 v21, v14, v20, s[4:5]
	v_cndmask_b32_e64 v13, v13, v14, s[4:5]
	;; [unrolled: 1-line block ×3, first 2 shown]
	v_cndmask_b32_e32 v16, v18, v16, vcc
	v_cndmask_b32_e64 v13, v13, v21, s[8:9]
	v_cndmask_b32_e64 v15, v21, v14, s[8:9]
	v_sub_u32_e32 v20, 32, v19
	v_cndmask_b32_e64 v12, v12, v16, s[4:5]
	v_alignbit_b32 v21, v13, v15, v20
	v_cmp_eq_u32_e64 s[10:11], 0, v19
	v_cndmask_b32_e64 v14, v14, v12, s[8:9]
	v_cndmask_b32_e32 v11, v17, v11, vcc
	v_cndmask_b32_e64 v13, v21, v13, s[10:11]
	v_alignbit_b32 v18, v15, v14, v20
	v_cndmask_b32_e64 v11, v16, v11, s[4:5]
	v_cndmask_b32_e64 v15, v18, v15, s[10:11]
	v_bfe_u32 v21, v13, 29, 1
	v_cndmask_b32_e64 v11, v12, v11, s[8:9]
	v_alignbit_b32 v18, v13, v15, 30
	v_sub_u32_e32 v22, 0, v21
	v_alignbit_b32 v12, v14, v11, v20
	v_xor_b32_e32 v18, v18, v22
	v_cndmask_b32_e64 v12, v12, v14, s[10:11]
	v_alignbit_b32 v14, v15, v12, 30
	v_ffbh_u32_e32 v15, v18
	v_min_u32_e32 v15, 32, v15
	v_alignbit_b32 v11, v12, v11, 30
	v_xor_b32_e32 v14, v14, v22
	v_sub_u32_e32 v16, 31, v15
	v_xor_b32_e32 v11, v11, v22
	v_alignbit_b32 v17, v18, v14, v16
	v_alignbit_b32 v11, v14, v11, v16
	;; [unrolled: 1-line block ×3, first 2 shown]
	v_ffbh_u32_e32 v14, v12
	v_min_u32_e32 v14, 32, v14
	v_lshrrev_b32_e32 v19, 29, v13
	v_not_b32_e32 v16, v14
	v_alignbit_b32 v11, v12, v11, v16
	v_lshlrev_b32_e32 v12, 31, v19
	v_or_b32_e32 v16, 0x33000000, v12
	v_add_lshl_u32 v14, v14, v15, 23
	v_lshrrev_b32_e32 v11, 9, v11
	v_sub_u32_e32 v14, v16, v14
	v_or_b32_e32 v12, 0.5, v12
	v_lshlrev_b32_e32 v15, 23, v15
	v_or_b32_e32 v11, v14, v11
	v_lshrrev_b32_e32 v14, 9, v17
	v_sub_u32_e32 v12, v12, v15
	v_or_b32_e32 v12, v14, v12
	s_mov_b32 s4, 0x3fc90fda
	v_mul_f32_e32 v14, 0x3fc90fda, v12
	v_fma_f32 v15, v12, s4, -v14
	v_fmac_f32_e32 v15, 0x33a22168, v12
	v_fmac_f32_e32 v15, 0x3fc90fda, v11
	v_lshrrev_b32_e32 v11, 30, v13
	v_add_f32_e32 v12, v14, v15
	v_add_u32_e32 v11, v21, v11
	s_andn2_saveexec_b64 s[4:5], s[20:21]
	s_cbranch_execnz .LBB17_17
	s_branch .LBB17_18
.LBB17_16:
	s_andn2_saveexec_b64 s[4:5], s[20:21]
	s_cbranch_execz .LBB17_18
.LBB17_17:
	s_mov_b32 s8, 0x3f22f983
	v_mul_f32_e64 v11, |v1|, s8
	v_rndne_f32_e32 v13, v11
	s_mov_b32 s8, 0xbfc90fda
	v_cvt_i32_f32_e32 v11, v13
	v_fma_f32 v12, v13, s8, |v1|
	v_fmac_f32_e32 v12, 0xb3a22168, v13
	v_fmac_f32_e32 v12, 0xa7c234c4, v13
.LBB17_18:
	s_or_b64 exec, exec, s[4:5]
	s_mov_b32 s8, 0x41c80000
	v_div_scale_f32 v13, s[4:5], v8, v8, s8
	v_div_scale_f32 v14, vcc, s8, v8, s8
	v_mov_b32_e32 v20, 0x3a725406
	v_mov_b32_e32 v21, 0x3daf5e2d
	;; [unrolled: 1-line block ×10, first 2 shown]
	s_mov_b32 s10, 0xc0a00000
	v_mov_b32_e32 v28, 0x45e243be
	v_rcp_f32_e32 v15, v13
	v_mov_b32_e32 v29, 0x45b955d1
	v_mov_b32_e32 v30, 0x4500e17e
	v_mov_b32_e32 v31, 0x43720178
	v_fma_f32 v16, -v13, v15, 1.0
	v_fmac_f32_e32 v15, v16, v15
	v_mul_f32_e32 v16, v14, v15
	v_fma_f32 v17, -v13, v16, v14
	v_fmac_f32_e32 v16, v17, v15
	v_fma_f32 v13, -v13, v16, v14
	v_div_fmas_f32 v13, v13, v15, v16
	v_mov_b32_e32 v14, 0x3a50e985
	v_mov_b32_e32 v15, 0x3da9a586
	;; [unrolled: 1-line block ×4, first 2 shown]
	v_mul_f32_e32 v33, v10, v10
	v_mov_b32_e32 v34, 0x3c0881c4
	v_div_fixup_f32 v8, v13, v8, s8
	v_fmac_f32_e32 v14, 0, v8
	v_fmac_f32_e32 v20, 0, v8
	;; [unrolled: 1-line block ×12, first 2 shown]
	v_fma_f32 v13, v8, v25, 1.0
	v_fma_f32 v14, v8, v19, 1.0
	v_div_scale_f32 v15, s[4:5], v13, v13, v14
	v_div_scale_f32 v20, vcc, v14, v13, v14
	v_mov_b32_e32 v23, 0x4280a2ba
	v_fmac_f32_e32 v26, 0, v8
	v_mov_b32_e32 v16, 0xc19c6e80
	v_mov_b32_e32 v24, 0x44561b86
	v_fmac_f32_e32 v23, 0, v8
	v_fmac_f32_e32 v27, v8, v26
	v_mov_b32_e32 v17, 0xc2ba697b
	v_mov_b32_e32 v25, 0x4572a66e
	v_fmac_f32_e32 v24, v8, v23
	v_fmac_f32_e32 v16, v8, v27
	v_mov_b32_e32 v18, 0xc331ae61
	v_fmac_f32_e32 v25, v8, v24
	v_rcp_f32_e32 v32, v15
	v_fmac_f32_e32 v17, v8, v16
	v_mov_b32_e32 v19, 0xc31313d7
	v_fmac_f32_e32 v28, v8, v25
	v_fma_f32 v35, -v15, v32, 1.0
	v_fmac_f32_e32 v32, v35, v32
	v_mul_f32_e32 v35, v20, v32
	v_fma_f32 v36, -v15, v35, v20
	v_fmac_f32_e32 v35, v36, v32
	v_fma_f32 v15, -v15, v35, v20
	v_div_scale_f32 v36, s[4:5], v6, v6, s10
	v_div_fmas_f32 v15, v15, v32, v35
	v_fmac_f32_e32 v18, v8, v17
	v_mov_b32_e32 v21, 0xc24da463
	v_fmac_f32_e32 v29, v8, v28
	v_fmac_f32_e32 v19, v8, v18
	v_mov_b32_e32 v22, 0xc0c19ac7
	v_fmac_f32_e32 v30, v8, v29
	v_fmac_f32_e32 v21, v8, v19
	;; [unrolled: 1-line block ×4, first 2 shown]
	v_div_scale_f32 v20, s[4:5], s10, v6, s10
	v_div_scale_f32 v8, s[8:9], v31, v31, v22
	v_div_scale_f32 v17, s[8:9], v22, v31, v22
	v_div_fixup_f32 v13, v15, v13, v14
	v_mov_b32_e32 v14, 0x3c0881c4
	v_rcp_f32_e32 v16, v36
	v_fmac_f32_e32 v14, 0xb94c1982, v33
	v_mov_b32_e32 v15, 0xbe2aaa9d
	v_fma_f32 v14, v33, v14, v15
	v_mul_f32_e32 v14, v33, v14
	v_fmac_f32_e32 v10, v10, v14
	v_fma_f32 v14, -v36, v16, 1.0
	v_fmac_f32_e32 v16, v14, v16
	v_mul_f32_e32 v14, v20, v16
	v_fma_f32 v18, -v36, v14, v20
	v_rcp_f32_e32 v19, v8
	v_fmac_f32_e32 v14, v18, v16
	v_fma_f32 v18, -v36, v14, v20
	s_mov_b64 vcc, s[4:5]
	v_div_fmas_f32 v14, v18, v16, v14
	v_fma_f32 v16, -v8, v19, 1.0
	v_fmac_f32_e32 v19, v16, v19
	v_mul_f32_e32 v16, v17, v19
	v_fma_f32 v18, -v8, v16, v17
	v_fmac_f32_e32 v16, v18, v19
	v_fma_f32 v8, -v8, v16, v17
	s_mov_b64 vcc, s[8:9]
	v_div_fmas_f32 v8, v8, v19, v16
	v_mov_b32_e32 v18, 0xbab64f3b
	v_mov_b32_e32 v20, 0xbab64f3b
	v_fmac_f32_e32 v18, 0x37d75334, v33
	v_mov_b32_e32 v17, 0x3d2aabf7
	v_fma_f32 v16, v33, v18, v17
	v_mov_b32_e32 v18, 0xbf000004
	v_fma_f32 v16, v33, v16, v18
	v_div_fixup_f32 v14, v14, v6, s10
	v_and_b32_e32 v19, 1, v9
	v_fma_f32 v16, v33, v16, 1.0
	v_cmp_eq_u32_e32 vcc, 0, v19
	s_movk_i32 s4, 0x1f8
	v_cndmask_b32_e64 v10, -v10, v16, vcc
	v_lshlrev_b32_e32 v9, 30, v9
	v_cmp_class_f32_e64 vcc, v1, s4
	v_div_fixup_f32 v8, v8, v31, v22
	v_mul_f32_e32 v8, v14, v8
	v_mul_f32_e32 v14, v12, v12
	v_fmac_f32_e32 v34, 0xb94c1982, v14
	v_fmac_f32_e32 v15, v14, v34
	;; [unrolled: 1-line block ×3, first 2 shown]
	v_mul_f32_e32 v15, v14, v15
	v_fmac_f32_e32 v17, v14, v20
	v_fmac_f32_e32 v12, v12, v15
	;; [unrolled: 1-line block ×3, first 2 shown]
	v_and_b32_e32 v15, 1, v11
	v_lshlrev_b32_e32 v11, 30, v11
	v_fma_f32 v14, v14, v18, 1.0
	v_cmp_eq_u32_e64 s[4:5], 0, v15
	v_and_b32_e32 v11, 0x80000000, v11
	v_xor_b32_e32 v1, v7, v1
	v_and_b32_e32 v9, 0x80000000, v9
	v_cndmask_b32_e64 v12, v14, v12, s[4:5]
	v_xor_b32_e32 v1, v1, v11
	v_xor_b32_e32 v9, v9, v10
	v_mov_b32_e32 v10, 0x7fc00000
	v_xor_b32_e32 v1, v1, v12
	s_mov_b32 s4, 0xf800000
	v_cndmask_b32_e32 v9, v10, v9, vcc
	v_cndmask_b32_e32 v1, v10, v1, vcc
	v_mul_f32_e32 v7, 0x4f800000, v6
	v_cmp_gt_f32_e32 vcc, s4, v6
	v_cndmask_b32_e32 v6, v6, v7, vcc
	v_sqrt_f32_e32 v7, v6
	v_mul_f32_e32 v1, v8, v1
	v_fmac_f32_e32 v1, v13, v9
	v_mul_f32_e32 v1, 0x3f4c422a, v1
	v_add_u32_e32 v8, -1, v7
	v_fma_f32 v9, -v8, v7, v6
	v_cmp_ge_f32_e64 s[4:5], 0, v9
	v_add_u32_e32 v9, 1, v7
	v_cndmask_b32_e64 v8, v7, v8, s[4:5]
	v_fma_f32 v7, -v9, v7, v6
	v_cmp_lt_f32_e64 s[4:5], 0, v7
	v_cndmask_b32_e64 v7, v8, v9, s[4:5]
	v_mul_f32_e32 v8, 0x37800000, v7
	v_cndmask_b32_e32 v7, v7, v8, vcc
	v_mov_b32_e32 v8, 0x260
	v_cmp_class_f32_e32 vcc, v6, v8
	v_cndmask_b32_e32 v6, v7, v6, vcc
	v_div_scale_f32 v7, s[4:5], v6, v6, v1
	v_div_scale_f32 v8, vcc, v1, v6, v1
	v_rcp_f32_e32 v9, v7
	v_fma_f32 v10, -v7, v9, 1.0
	v_fmac_f32_e32 v9, v10, v9
	v_mul_f32_e32 v10, v8, v9
	v_fma_f32 v11, -v7, v10, v8
	v_fmac_f32_e32 v10, v11, v9
	v_fma_f32 v7, -v7, v10, v8
	v_div_fmas_f32 v7, v7, v9, v10
	v_div_fixup_f32 v1, v7, v6, v1
.LBB17_19:
	s_or_b64 exec, exec, s[14:15]
	v_cmp_gt_f32_e32 vcc, 0, v2
	v_cndmask_b32_e64 v6, v2, -v2, vcc
	s_mov_b32 s4, 0x40a00000
	v_cmp_ge_f32_e32 vcc, s4, v6
	v_mul_f32_e32 v8, v6, v6
	s_and_saveexec_b64 s[4:5], vcc
	s_xor_b64 s[4:5], exec, s[4:5]
	s_cbranch_execz .LBB17_25
; %bb.20:
	s_mov_b32 s8, 0x3727c5ac
	v_cmp_ngt_f32_e32 vcc, s8, v6
	s_and_saveexec_b64 s[8:9], vcc
	s_xor_b64 s[8:9], exec, s[8:9]
	s_cbranch_execz .LBB17_22
; %bb.21:
	v_mov_b32_e32 v2, 0xcf8ee29d
	v_fmac_f32_e32 v2, 0, v8
	v_mov_b32_e32 v6, 0x53e3ba8e
	v_fmac_f32_e32 v6, v8, v2
	;; [unrolled: 2-line block ×12, first 2 shown]
	v_add_f32_e32 v2, 0xc0b90fdc, v8
	v_add_f32_e32 v8, 0xc1f3c525, v8
	v_mul_f32_e32 v2, v2, v8
	v_mul_f32_e32 v2, v2, v6
	v_div_scale_f32 v6, s[10:11], v7, v7, v2
	v_div_scale_f32 v8, vcc, v2, v7, v2
	v_rcp_f32_e32 v9, v6
	v_fma_f32 v10, -v6, v9, 1.0
	v_fmac_f32_e32 v9, v10, v9
	v_mul_f32_e32 v10, v8, v9
	v_fma_f32 v11, -v6, v10, v8
	v_fmac_f32_e32 v10, v11, v9
	v_fma_f32 v6, -v6, v10, v8
	v_div_fmas_f32 v6, v6, v9, v10
                                        ; implicit-def: $vgpr8
	v_div_fixup_f32 v2, v6, v7, v2
.LBB17_22:
	s_andn2_saveexec_b64 s[8:9], s[8:9]
; %bb.23:
	s_mov_b32 s10, 0xbe800000
	v_fma_f32 v2, v8, s10, 1.0
; %bb.24:
	s_or_b64 exec, exec, s[8:9]
                                        ; implicit-def: $vgpr8
                                        ; implicit-def: $vgpr6
.LBB17_25:
	s_andn2_saveexec_b64 s[14:15], s[4:5]
	s_cbranch_execz .LBB17_35
; %bb.26:
	v_add_f32_e32 v2, 0xbf490fdb, v6
	v_and_b32_e32 v7, 0x7fffffff, v2
	s_brev_b32 s4, 18
	v_cmp_nlt_f32_e64 s[20:21], |v2|, s4
	v_lshrrev_b32_e32 v13, 23, v7
                                        ; implicit-def: $vgpr9
                                        ; implicit-def: $vgpr10
	s_and_saveexec_b64 s[4:5], s[20:21]
	s_xor_b64 s[22:23], exec, s[4:5]
	s_cbranch_execz .LBB17_28
; %bb.27:
	v_and_b32_e32 v9, 0x7fffff, v7
	v_or_b32_e32 v12, 0x800000, v9
	s_mov_b32 s4, 0xfe5163ab
	v_mad_u64_u32 v[9:10], s[4:5], v12, s4, 0
	v_mov_b32_e32 v11, 0
	s_mov_b32 s4, 0x3c439041
	v_mad_u64_u32 v[14:15], s[4:5], v12, s4, v[10:11]
	s_mov_b32 s4, 0xdb629599
	v_add_u32_e32 v19, 0xffffff88, v13
	v_mov_b32_e32 v10, v15
	v_mad_u64_u32 v[15:16], s[4:5], v12, s4, v[10:11]
	s_mov_b32 s4, 0xf534ddc0
	v_not_b32_e32 v20, 63
	v_mov_b32_e32 v10, v16
	v_mad_u64_u32 v[16:17], s[4:5], v12, s4, v[10:11]
	s_mov_b32 s4, 0xfc2757d1
	v_cmp_lt_u32_e32 vcc, 63, v19
	v_mov_b32_e32 v10, v17
	v_mad_u64_u32 v[17:18], s[4:5], v12, s4, v[10:11]
	v_cndmask_b32_e32 v10, 0, v20, vcc
	v_add_u32_e32 v20, v10, v19
	v_mov_b32_e32 v10, v18
	s_mov_b32 s4, 0x4e441529
	v_mad_u64_u32 v[18:19], s[4:5], v12, s4, v[10:11]
	v_not_b32_e32 v21, 31
	v_cmp_lt_u32_e64 s[4:5], 31, v20
	v_cndmask_b32_e64 v10, 0, v21, s[4:5]
	v_add_u32_e32 v20, v10, v20
	v_mov_b32_e32 v10, v19
	s_mov_b32 s8, 0xa2f9836e
	v_mad_u64_u32 v[10:11], s[8:9], v12, s8, v[10:11]
	v_cmp_lt_u32_e64 s[8:9], 31, v20
	v_cndmask_b32_e64 v12, 0, v21, s[8:9]
	v_cndmask_b32_e32 v19, v18, v16, vcc
	v_cndmask_b32_e32 v10, v10, v17, vcc
	;; [unrolled: 1-line block ×3, first 2 shown]
	v_add_u32_e32 v12, v12, v20
	v_cndmask_b32_e64 v20, v10, v19, s[4:5]
	v_cndmask_b32_e64 v10, v11, v10, s[4:5]
	v_cndmask_b32_e32 v11, v17, v15, vcc
	v_cndmask_b32_e64 v17, v19, v11, s[4:5]
	v_cndmask_b32_e64 v10, v10, v20, s[8:9]
	;; [unrolled: 1-line block ×3, first 2 shown]
	v_sub_u32_e32 v19, 32, v12
	v_alignbit_b32 v20, v10, v18, v19
	v_cmp_eq_u32_e64 s[10:11], 0, v12
	v_cndmask_b32_e64 v12, v20, v10, s[10:11]
	v_cndmask_b32_e32 v10, v16, v14, vcc
	v_cndmask_b32_e64 v11, v11, v10, s[4:5]
	v_cndmask_b32_e64 v14, v17, v11, s[8:9]
	v_alignbit_b32 v16, v18, v14, v19
	v_cndmask_b32_e32 v9, v15, v9, vcc
	v_cndmask_b32_e64 v16, v16, v18, s[10:11]
	v_bfe_u32 v20, v12, 29, 1
	v_cndmask_b32_e64 v9, v10, v9, s[4:5]
	v_alignbit_b32 v17, v12, v16, 30
	v_sub_u32_e32 v21, 0, v20
	v_cndmask_b32_e64 v9, v11, v9, s[8:9]
	v_xor_b32_e32 v17, v17, v21
	v_alignbit_b32 v10, v14, v9, v19
	v_cndmask_b32_e64 v10, v10, v14, s[10:11]
	v_ffbh_u32_e32 v14, v17
	v_alignbit_b32 v11, v16, v10, 30
	v_min_u32_e32 v14, 32, v14
	v_alignbit_b32 v9, v10, v9, 30
	v_xor_b32_e32 v11, v11, v21
	v_sub_u32_e32 v15, 31, v14
	v_xor_b32_e32 v9, v9, v21
	v_alignbit_b32 v16, v17, v11, v15
	v_alignbit_b32 v9, v11, v9, v15
	;; [unrolled: 1-line block ×3, first 2 shown]
	v_ffbh_u32_e32 v11, v10
	v_min_u32_e32 v11, 32, v11
	v_lshrrev_b32_e32 v18, 29, v12
	v_not_b32_e32 v15, v11
	v_alignbit_b32 v9, v10, v9, v15
	v_lshlrev_b32_e32 v10, 31, v18
	v_or_b32_e32 v15, 0x33000000, v10
	v_add_lshl_u32 v11, v11, v14, 23
	v_lshrrev_b32_e32 v9, 9, v9
	v_sub_u32_e32 v11, v15, v11
	v_or_b32_e32 v10, 0.5, v10
	v_lshlrev_b32_e32 v14, 23, v14
	v_or_b32_e32 v9, v11, v9
	v_lshrrev_b32_e32 v11, 9, v16
	v_sub_u32_e32 v10, v10, v14
	v_or_b32_e32 v10, v11, v10
	s_mov_b32 s4, 0x3fc90fda
	v_mul_f32_e32 v11, 0x3fc90fda, v10
	v_fma_f32 v14, v10, s4, -v11
	v_fmac_f32_e32 v14, 0x33a22168, v10
	v_fmac_f32_e32 v14, 0x3fc90fda, v9
	v_lshrrev_b32_e32 v9, 30, v12
	v_add_f32_e32 v10, v11, v14
	v_add_u32_e32 v9, v20, v9
	s_andn2_saveexec_b64 s[4:5], s[22:23]
	s_cbranch_execz .LBB17_30
	s_branch .LBB17_29
.LBB17_28:
	s_andn2_saveexec_b64 s[4:5], s[22:23]
	s_cbranch_execz .LBB17_30
.LBB17_29:
	s_mov_b32 s8, 0x3f22f983
	v_mul_f32_e64 v9, |v2|, s8
	v_rndne_f32_e32 v11, v9
	s_mov_b32 s8, 0xbfc90fda
	v_cvt_i32_f32_e32 v9, v11
	v_fma_f32 v10, v11, s8, |v2|
	v_fmac_f32_e32 v10, 0xb3a22168, v11
	v_fmac_f32_e32 v10, 0xa7c234c4, v11
.LBB17_30:
	s_or_b64 exec, exec, s[4:5]
                                        ; implicit-def: $vgpr11
                                        ; implicit-def: $vgpr12
	s_and_saveexec_b64 s[4:5], s[20:21]
	s_xor_b64 s[20:21], exec, s[4:5]
	s_cbranch_execz .LBB17_32
; %bb.31:
	v_and_b32_e32 v11, 0x7fffff, v7
	v_or_b32_e32 v20, 0x800000, v11
	s_mov_b32 s4, 0xfe5163ab
	v_mad_u64_u32 v[11:12], s[4:5], v20, s4, 0
	v_mov_b32_e32 v15, 0
	s_mov_b32 s4, 0x3c439041
	v_mov_b32_e32 v14, v12
	v_mad_u64_u32 v[16:17], s[4:5], v20, s4, v[14:15]
	s_mov_b32 s4, 0xdb629599
	v_add_u32_e32 v21, 0xffffff88, v13
	v_mov_b32_e32 v14, v17
	v_mad_u64_u32 v[17:18], s[4:5], v20, s4, v[14:15]
	s_mov_b32 s4, 0xf534ddc0
	v_not_b32_e32 v22, 63
	v_mov_b32_e32 v14, v18
	v_mad_u64_u32 v[18:19], s[4:5], v20, s4, v[14:15]
	s_mov_b32 s4, 0xfc2757d1
	v_cmp_lt_u32_e32 vcc, 63, v21
	v_mov_b32_e32 v14, v19
	v_mad_u64_u32 v[12:13], s[4:5], v20, s4, v[14:15]
	v_cndmask_b32_e32 v14, 0, v22, vcc
	v_add_u32_e32 v19, v14, v21
	v_mov_b32_e32 v14, v13
	s_mov_b32 s4, 0x4e441529
	v_mad_u64_u32 v[13:14], s[4:5], v20, s4, v[14:15]
	v_not_b32_e32 v21, 31
	v_cmp_lt_u32_e64 s[4:5], 31, v19
	s_mov_b32 s8, 0xa2f9836e
	v_cndmask_b32_e64 v22, 0, v21, s[4:5]
	v_mad_u64_u32 v[14:15], s[8:9], v20, s8, v[14:15]
	v_add_u32_e32 v19, v22, v19
	v_cmp_lt_u32_e64 s[8:9], 31, v19
	v_cndmask_b32_e64 v20, 0, v21, s[8:9]
	v_add_u32_e32 v19, v20, v19
	v_cndmask_b32_e32 v20, v13, v18, vcc
	v_cndmask_b32_e32 v14, v14, v12, vcc
	v_cndmask_b32_e32 v13, v15, v13, vcc
	v_cndmask_b32_e32 v12, v12, v17, vcc
	v_cndmask_b32_e64 v21, v14, v20, s[4:5]
	v_cndmask_b32_e64 v13, v13, v14, s[4:5]
	;; [unrolled: 1-line block ×3, first 2 shown]
	v_cndmask_b32_e32 v16, v18, v16, vcc
	v_cndmask_b32_e64 v13, v13, v21, s[8:9]
	v_cndmask_b32_e64 v15, v21, v14, s[8:9]
	v_sub_u32_e32 v20, 32, v19
	v_cndmask_b32_e64 v12, v12, v16, s[4:5]
	v_alignbit_b32 v21, v13, v15, v20
	v_cmp_eq_u32_e64 s[10:11], 0, v19
	v_cndmask_b32_e64 v14, v14, v12, s[8:9]
	v_cndmask_b32_e32 v11, v17, v11, vcc
	v_cndmask_b32_e64 v13, v21, v13, s[10:11]
	v_alignbit_b32 v18, v15, v14, v20
	v_cndmask_b32_e64 v11, v16, v11, s[4:5]
	v_cndmask_b32_e64 v15, v18, v15, s[10:11]
	v_bfe_u32 v21, v13, 29, 1
	v_cndmask_b32_e64 v11, v12, v11, s[8:9]
	v_alignbit_b32 v18, v13, v15, 30
	v_sub_u32_e32 v22, 0, v21
	v_alignbit_b32 v12, v14, v11, v20
	v_xor_b32_e32 v18, v18, v22
	v_cndmask_b32_e64 v12, v12, v14, s[10:11]
	v_alignbit_b32 v14, v15, v12, 30
	v_ffbh_u32_e32 v15, v18
	v_min_u32_e32 v15, 32, v15
	v_alignbit_b32 v11, v12, v11, 30
	v_xor_b32_e32 v14, v14, v22
	v_sub_u32_e32 v16, 31, v15
	v_xor_b32_e32 v11, v11, v22
	v_alignbit_b32 v17, v18, v14, v16
	v_alignbit_b32 v11, v14, v11, v16
	;; [unrolled: 1-line block ×3, first 2 shown]
	v_ffbh_u32_e32 v14, v12
	v_min_u32_e32 v14, 32, v14
	v_lshrrev_b32_e32 v19, 29, v13
	v_not_b32_e32 v16, v14
	v_alignbit_b32 v11, v12, v11, v16
	v_lshlrev_b32_e32 v12, 31, v19
	v_or_b32_e32 v16, 0x33000000, v12
	v_add_lshl_u32 v14, v14, v15, 23
	v_lshrrev_b32_e32 v11, 9, v11
	v_sub_u32_e32 v14, v16, v14
	v_or_b32_e32 v12, 0.5, v12
	v_lshlrev_b32_e32 v15, 23, v15
	v_or_b32_e32 v11, v14, v11
	v_lshrrev_b32_e32 v14, 9, v17
	v_sub_u32_e32 v12, v12, v15
	v_or_b32_e32 v12, v14, v12
	s_mov_b32 s4, 0x3fc90fda
	v_mul_f32_e32 v14, 0x3fc90fda, v12
	v_fma_f32 v15, v12, s4, -v14
	v_fmac_f32_e32 v15, 0x33a22168, v12
	v_fmac_f32_e32 v15, 0x3fc90fda, v11
	v_lshrrev_b32_e32 v11, 30, v13
	v_add_f32_e32 v12, v14, v15
	v_add_u32_e32 v11, v21, v11
	s_andn2_saveexec_b64 s[4:5], s[20:21]
	s_cbranch_execnz .LBB17_33
	s_branch .LBB17_34
.LBB17_32:
	s_andn2_saveexec_b64 s[4:5], s[20:21]
	s_cbranch_execz .LBB17_34
.LBB17_33:
	s_mov_b32 s8, 0x3f22f983
	v_mul_f32_e64 v11, |v2|, s8
	v_rndne_f32_e32 v13, v11
	s_mov_b32 s8, 0xbfc90fda
	v_cvt_i32_f32_e32 v11, v13
	v_fma_f32 v12, v13, s8, |v2|
	v_fmac_f32_e32 v12, 0xb3a22168, v13
	v_fmac_f32_e32 v12, 0xa7c234c4, v13
.LBB17_34:
	s_or_b64 exec, exec, s[4:5]
	s_mov_b32 s8, 0x41c80000
	v_div_scale_f32 v13, s[4:5], v8, v8, s8
	v_div_scale_f32 v14, vcc, s8, v8, s8
	v_mov_b32_e32 v15, 0x3a50e985
	v_mov_b32_e32 v17, 0x3da9a586
	;; [unrolled: 1-line block ×9, first 2 shown]
	s_mov_b32 s10, 0xc0a00000
	v_mov_b32_e32 v27, 0xbfa429da
	v_div_scale_f32 v36, s[4:5], v6, v6, s10
	v_rcp_f32_e32 v16, v13
	v_mov_b32_e32 v28, 0xc19c6e80
	v_mov_b32_e32 v29, 0xc2ba697b
	;; [unrolled: 1-line block ×3, first 2 shown]
	v_fma_f32 v20, -v13, v16, 1.0
	v_fmac_f32_e32 v16, v20, v16
	v_mul_f32_e32 v20, v14, v16
	v_fma_f32 v21, -v13, v20, v14
	v_fmac_f32_e32 v20, v21, v16
	v_fma_f32 v13, -v13, v20, v14
	v_div_fmas_f32 v13, v13, v16, v20
	v_mov_b32_e32 v20, 0x3a725406
	v_mov_b32_e32 v21, 0x3daf5e2d
	;; [unrolled: 1-line block ×8, first 2 shown]
	v_div_fixup_f32 v8, v13, v8, s8
	v_fmac_f32_e32 v15, 0, v8
	v_fmac_f32_e32 v20, 0, v8
	;; [unrolled: 1-line block ×12, first 2 shown]
	v_fma_f32 v13, v8, v25, 1.0
	v_fma_f32 v14, v8, v16, 1.0
	v_div_scale_f32 v15, s[4:5], v13, v13, v14
	v_div_scale_f32 v21, vcc, v14, v13, v14
	v_mov_b32_e32 v17, 0x4280a2ba
	v_fmac_f32_e32 v26, 0, v8
	v_mov_b32_e32 v18, 0x44561b86
	v_fmac_f32_e32 v17, 0, v8
	v_fmac_f32_e32 v27, v8, v26
	v_mov_b32_e32 v19, 0x4572a66e
	v_fmac_f32_e32 v18, v8, v17
	;; [unrolled: 3-line block ×3, first 2 shown]
	v_fmac_f32_e32 v29, v8, v28
	v_mov_b32_e32 v22, 0x45b955d1
	v_rcp_f32_e32 v35, v15
	v_fmac_f32_e32 v20, v8, v19
	v_fmac_f32_e32 v30, v8, v29
	v_mov_b32_e32 v23, 0x4500e17e
	v_fma_f32 v38, -v15, v35, 1.0
	v_fmac_f32_e32 v35, v38, v35
	v_mul_f32_e32 v38, v21, v35
	v_fma_f32 v39, -v15, v38, v21
	v_fmac_f32_e32 v38, v39, v35
	v_fma_f32 v15, -v15, v38, v21
	v_div_fmas_f32 v15, v15, v35, v38
	v_fmac_f32_e32 v22, v8, v20
	v_fmac_f32_e32 v31, v8, v30
	v_mov_b32_e32 v16, 0xc0c19ac7
	v_mov_b32_e32 v24, 0x43720178
	v_div_scale_f32 v37, s[4:5], s10, v6, s10
	v_fmac_f32_e32 v23, v8, v22
	v_fmac_f32_e32 v32, v8, v31
	;; [unrolled: 1-line block ×4, first 2 shown]
	v_rcp_f32_e32 v18, v36
	s_mov_b64 vcc, s[4:5]
	v_mul_f32_e32 v25, v10, v10
	v_fmac_f32_e32 v34, 0xb94c1982, v25
	v_fma_f32 v21, -v36, v18, 1.0
	v_div_fixup_f32 v8, v15, v13, v14
	v_div_scale_f32 v14, s[8:9], v24, v24, v16
	v_div_scale_f32 v17, s[8:9], v16, v24, v16
	v_fmac_f32_e32 v18, v21, v18
	v_mul_f32_e32 v21, v37, v18
	v_fma_f32 v22, -v36, v21, v37
	v_fmac_f32_e32 v21, v22, v18
	v_fma_f32 v23, -v36, v21, v37
	v_div_fmas_f32 v18, v23, v18, v21
	s_mov_b64 vcc, s[8:9]
	v_mov_b32_e32 v13, 0xbe2aaa9d
	v_fma_f32 v15, v25, v34, v13
	v_mul_f32_e32 v15, v25, v15
	v_mov_b32_e32 v19, 0xbab64f3b
	v_fmac_f32_e32 v10, v10, v15
	v_rcp_f32_e32 v22, v14
	v_mov_b32_e32 v15, 0xbab64f3b
	v_fmac_f32_e32 v19, 0x37d75334, v25
	v_mov_b32_e32 v20, 0x3d2aabf7
	v_fma_f32 v21, -v14, v22, 1.0
	v_fmac_f32_e32 v22, v21, v22
	v_mul_f32_e32 v21, v17, v22
	v_fma_f32 v23, -v14, v21, v17
	v_fmac_f32_e32 v21, v23, v22
	v_fma_f32 v14, -v14, v21, v17
	v_div_fmas_f32 v14, v14, v22, v21
	v_fma_f32 v17, v25, v19, v20
	v_mov_b32_e32 v19, 0xbf000004
	v_fma_f32 v17, v25, v17, v19
	v_and_b32_e32 v21, 1, v9
	v_fma_f32 v17, v25, v17, 1.0
	v_cmp_eq_u32_e32 vcc, 0, v21
	s_movk_i32 s4, 0x1f8
	v_cndmask_b32_e64 v10, -v10, v17, vcc
	v_lshlrev_b32_e32 v9, 30, v9
	v_cmp_class_f32_e64 vcc, v2, s4
	v_xor_b32_e32 v2, v7, v2
	v_and_b32_e32 v9, 0x80000000, v9
	v_xor_b32_e32 v9, v9, v10
	v_mov_b32_e32 v10, 0x7fc00000
	v_cndmask_b32_e32 v9, v10, v9, vcc
	v_div_fixup_f32 v14, v14, v24, v16
	v_mul_f32_e32 v16, v12, v12
	v_fmac_f32_e32 v33, 0xb94c1982, v16
	v_fmac_f32_e32 v15, 0x37d75334, v16
	;; [unrolled: 1-line block ×4, first 2 shown]
	v_mul_f32_e32 v13, v16, v13
	v_fmac_f32_e32 v19, v16, v20
	v_and_b32_e32 v15, 1, v11
	v_lshlrev_b32_e32 v11, 30, v11
	v_fmac_f32_e32 v12, v12, v13
	v_fma_f32 v13, v16, v19, 1.0
	v_cmp_eq_u32_e64 s[4:5], 0, v15
	v_and_b32_e32 v11, 0x80000000, v11
	v_cndmask_b32_e64 v12, v13, v12, s[4:5]
	v_xor_b32_e32 v2, v2, v11
	v_xor_b32_e32 v2, v2, v12
	s_mov_b32 s4, 0xf800000
	v_cndmask_b32_e32 v2, v10, v2, vcc
	v_mul_f32_e32 v7, 0x4f800000, v6
	v_cmp_gt_f32_e32 vcc, s4, v6
	v_div_fixup_f32 v17, v18, v6, s10
	v_cndmask_b32_e32 v6, v6, v7, vcc
	v_sqrt_f32_e32 v7, v6
	v_mul_f32_e32 v14, v17, v14
	v_mul_f32_e32 v2, v14, v2
	v_fmac_f32_e32 v2, v8, v9
	v_add_u32_e32 v8, -1, v7
	v_fma_f32 v9, -v8, v7, v6
	v_cmp_ge_f32_e64 s[4:5], 0, v9
	v_add_u32_e32 v9, 1, v7
	v_cndmask_b32_e64 v8, v7, v8, s[4:5]
	v_fma_f32 v7, -v9, v7, v6
	v_cmp_lt_f32_e64 s[4:5], 0, v7
	v_cndmask_b32_e64 v7, v8, v9, s[4:5]
	v_mul_f32_e32 v8, 0x37800000, v7
	v_cndmask_b32_e32 v7, v7, v8, vcc
	v_mov_b32_e32 v8, 0x260
	v_cmp_class_f32_e32 vcc, v6, v8
	v_mul_f32_e32 v2, 0x3f4c422a, v2
	v_cndmask_b32_e32 v6, v7, v6, vcc
	v_div_scale_f32 v7, s[4:5], v6, v6, v2
	v_div_scale_f32 v8, vcc, v2, v6, v2
	v_rcp_f32_e32 v9, v7
	v_fma_f32 v10, -v7, v9, 1.0
	v_fmac_f32_e32 v9, v10, v9
	v_mul_f32_e32 v10, v8, v9
	v_fma_f32 v11, -v7, v10, v8
	v_fmac_f32_e32 v10, v11, v9
	v_fma_f32 v7, -v7, v10, v8
	v_div_fmas_f32 v7, v7, v9, v10
	v_div_fixup_f32 v2, v7, v6, v2
.LBB17_35:
	s_or_b64 exec, exec, s[14:15]
	s_waitcnt vmcnt(0)
	v_cmp_gt_f32_e32 vcc, 0, v3
	v_cndmask_b32_e64 v6, v3, -v3, vcc
	s_mov_b32 s4, 0x40a00000
	v_cmp_ge_f32_e32 vcc, s4, v6
	v_mul_f32_e32 v8, v6, v6
                                        ; implicit-def: $vgpr3
	s_and_saveexec_b64 s[4:5], vcc
	s_xor_b64 s[4:5], exec, s[4:5]
	s_cbranch_execz .LBB17_41
; %bb.36:
	s_mov_b32 s8, 0x3727c5ac
	v_cmp_ngt_f32_e32 vcc, s8, v6
                                        ; implicit-def: $vgpr3
	s_and_saveexec_b64 s[8:9], vcc
	s_xor_b64 s[8:9], exec, s[8:9]
	s_cbranch_execz .LBB17_38
; %bb.37:
	v_mov_b32_e32 v3, 0xcf8ee29d
	v_fmac_f32_e32 v3, 0, v8
	v_mov_b32_e32 v6, 0x53e3ba8e
	v_fmac_f32_e32 v6, v8, v3
	;; [unrolled: 2-line block ×12, first 2 shown]
	v_add_f32_e32 v3, 0xc0b90fdc, v8
	v_add_f32_e32 v8, 0xc1f3c525, v8
	v_mul_f32_e32 v3, v3, v8
	v_mul_f32_e32 v3, v3, v6
	v_div_scale_f32 v6, s[10:11], v7, v7, v3
	v_div_scale_f32 v8, vcc, v3, v7, v3
	v_rcp_f32_e32 v9, v6
	v_fma_f32 v10, -v6, v9, 1.0
	v_fmac_f32_e32 v9, v10, v9
	v_mul_f32_e32 v10, v8, v9
	v_fma_f32 v11, -v6, v10, v8
	v_fmac_f32_e32 v10, v11, v9
	v_fma_f32 v6, -v6, v10, v8
	v_div_fmas_f32 v6, v6, v9, v10
                                        ; implicit-def: $vgpr8
	v_div_fixup_f32 v3, v6, v7, v3
.LBB17_38:
	s_andn2_saveexec_b64 s[8:9], s[8:9]
; %bb.39:
	s_mov_b32 s10, 0xbe800000
	v_fma_f32 v3, v8, s10, 1.0
; %bb.40:
	s_or_b64 exec, exec, s[8:9]
                                        ; implicit-def: $vgpr8
                                        ; implicit-def: $vgpr6
.LBB17_41:
	s_andn2_saveexec_b64 s[14:15], s[4:5]
	s_cbranch_execz .LBB17_51
; %bb.42:
	v_add_f32_e32 v3, 0xbf490fdb, v6
	v_and_b32_e32 v7, 0x7fffffff, v3
	s_brev_b32 s4, 18
	v_cmp_nlt_f32_e64 s[20:21], |v3|, s4
	v_lshrrev_b32_e32 v13, 23, v7
                                        ; implicit-def: $vgpr9
                                        ; implicit-def: $vgpr10
	s_and_saveexec_b64 s[4:5], s[20:21]
	s_xor_b64 s[22:23], exec, s[4:5]
	s_cbranch_execz .LBB17_44
; %bb.43:
	v_and_b32_e32 v9, 0x7fffff, v7
	v_or_b32_e32 v12, 0x800000, v9
	s_mov_b32 s4, 0xfe5163ab
	v_mad_u64_u32 v[9:10], s[4:5], v12, s4, 0
	v_mov_b32_e32 v11, 0
	s_mov_b32 s4, 0x3c439041
	v_mad_u64_u32 v[14:15], s[4:5], v12, s4, v[10:11]
	s_mov_b32 s4, 0xdb629599
	v_add_u32_e32 v19, 0xffffff88, v13
	v_mov_b32_e32 v10, v15
	v_mad_u64_u32 v[15:16], s[4:5], v12, s4, v[10:11]
	s_mov_b32 s4, 0xf534ddc0
	v_not_b32_e32 v20, 63
	v_mov_b32_e32 v10, v16
	v_mad_u64_u32 v[16:17], s[4:5], v12, s4, v[10:11]
	s_mov_b32 s4, 0xfc2757d1
	v_cmp_lt_u32_e32 vcc, 63, v19
	v_mov_b32_e32 v10, v17
	v_mad_u64_u32 v[17:18], s[4:5], v12, s4, v[10:11]
	v_cndmask_b32_e32 v10, 0, v20, vcc
	v_add_u32_e32 v20, v10, v19
	v_mov_b32_e32 v10, v18
	s_mov_b32 s4, 0x4e441529
	v_mad_u64_u32 v[18:19], s[4:5], v12, s4, v[10:11]
	v_not_b32_e32 v21, 31
	v_cmp_lt_u32_e64 s[4:5], 31, v20
	v_cndmask_b32_e64 v10, 0, v21, s[4:5]
	v_add_u32_e32 v20, v10, v20
	v_mov_b32_e32 v10, v19
	s_mov_b32 s8, 0xa2f9836e
	v_mad_u64_u32 v[10:11], s[8:9], v12, s8, v[10:11]
	v_cmp_lt_u32_e64 s[8:9], 31, v20
	v_cndmask_b32_e64 v12, 0, v21, s[8:9]
	v_cndmask_b32_e32 v19, v18, v16, vcc
	v_cndmask_b32_e32 v10, v10, v17, vcc
	;; [unrolled: 1-line block ×3, first 2 shown]
	v_add_u32_e32 v12, v12, v20
	v_cndmask_b32_e64 v20, v10, v19, s[4:5]
	v_cndmask_b32_e64 v10, v11, v10, s[4:5]
	v_cndmask_b32_e32 v11, v17, v15, vcc
	v_cndmask_b32_e64 v17, v19, v11, s[4:5]
	v_cndmask_b32_e64 v10, v10, v20, s[8:9]
	;; [unrolled: 1-line block ×3, first 2 shown]
	v_sub_u32_e32 v19, 32, v12
	v_alignbit_b32 v20, v10, v18, v19
	v_cmp_eq_u32_e64 s[10:11], 0, v12
	v_cndmask_b32_e64 v12, v20, v10, s[10:11]
	v_cndmask_b32_e32 v10, v16, v14, vcc
	v_cndmask_b32_e64 v11, v11, v10, s[4:5]
	v_cndmask_b32_e64 v14, v17, v11, s[8:9]
	v_alignbit_b32 v16, v18, v14, v19
	v_cndmask_b32_e32 v9, v15, v9, vcc
	v_cndmask_b32_e64 v16, v16, v18, s[10:11]
	v_bfe_u32 v20, v12, 29, 1
	v_cndmask_b32_e64 v9, v10, v9, s[4:5]
	v_alignbit_b32 v17, v12, v16, 30
	v_sub_u32_e32 v21, 0, v20
	v_cndmask_b32_e64 v9, v11, v9, s[8:9]
	v_xor_b32_e32 v17, v17, v21
	v_alignbit_b32 v10, v14, v9, v19
	v_cndmask_b32_e64 v10, v10, v14, s[10:11]
	v_ffbh_u32_e32 v14, v17
	v_alignbit_b32 v11, v16, v10, 30
	v_min_u32_e32 v14, 32, v14
	v_alignbit_b32 v9, v10, v9, 30
	v_xor_b32_e32 v11, v11, v21
	v_sub_u32_e32 v15, 31, v14
	v_xor_b32_e32 v9, v9, v21
	v_alignbit_b32 v16, v17, v11, v15
	v_alignbit_b32 v9, v11, v9, v15
	;; [unrolled: 1-line block ×3, first 2 shown]
	v_ffbh_u32_e32 v11, v10
	v_min_u32_e32 v11, 32, v11
	v_lshrrev_b32_e32 v18, 29, v12
	v_not_b32_e32 v15, v11
	v_alignbit_b32 v9, v10, v9, v15
	v_lshlrev_b32_e32 v10, 31, v18
	v_or_b32_e32 v15, 0x33000000, v10
	v_add_lshl_u32 v11, v11, v14, 23
	v_lshrrev_b32_e32 v9, 9, v9
	v_sub_u32_e32 v11, v15, v11
	v_or_b32_e32 v10, 0.5, v10
	v_lshlrev_b32_e32 v14, 23, v14
	v_or_b32_e32 v9, v11, v9
	v_lshrrev_b32_e32 v11, 9, v16
	v_sub_u32_e32 v10, v10, v14
	v_or_b32_e32 v10, v11, v10
	s_mov_b32 s4, 0x3fc90fda
	v_mul_f32_e32 v11, 0x3fc90fda, v10
	v_fma_f32 v14, v10, s4, -v11
	v_fmac_f32_e32 v14, 0x33a22168, v10
	v_fmac_f32_e32 v14, 0x3fc90fda, v9
	v_lshrrev_b32_e32 v9, 30, v12
	v_add_f32_e32 v10, v11, v14
	v_add_u32_e32 v9, v20, v9
	s_andn2_saveexec_b64 s[4:5], s[22:23]
	s_cbranch_execz .LBB17_46
	s_branch .LBB17_45
.LBB17_44:
	s_andn2_saveexec_b64 s[4:5], s[22:23]
	s_cbranch_execz .LBB17_46
.LBB17_45:
	s_mov_b32 s8, 0x3f22f983
	v_mul_f32_e64 v9, |v3|, s8
	v_rndne_f32_e32 v11, v9
	s_mov_b32 s8, 0xbfc90fda
	v_cvt_i32_f32_e32 v9, v11
	v_fma_f32 v10, v11, s8, |v3|
	v_fmac_f32_e32 v10, 0xb3a22168, v11
	v_fmac_f32_e32 v10, 0xa7c234c4, v11
.LBB17_46:
	s_or_b64 exec, exec, s[4:5]
                                        ; implicit-def: $vgpr11
                                        ; implicit-def: $vgpr12
	s_and_saveexec_b64 s[4:5], s[20:21]
	s_xor_b64 s[20:21], exec, s[4:5]
	s_cbranch_execz .LBB17_48
; %bb.47:
	v_and_b32_e32 v11, 0x7fffff, v7
	v_or_b32_e32 v20, 0x800000, v11
	s_mov_b32 s4, 0xfe5163ab
	v_mad_u64_u32 v[11:12], s[4:5], v20, s4, 0
	v_mov_b32_e32 v15, 0
	s_mov_b32 s4, 0x3c439041
	v_mov_b32_e32 v14, v12
	v_mad_u64_u32 v[16:17], s[4:5], v20, s4, v[14:15]
	s_mov_b32 s4, 0xdb629599
	v_add_u32_e32 v21, 0xffffff88, v13
	v_mov_b32_e32 v14, v17
	v_mad_u64_u32 v[17:18], s[4:5], v20, s4, v[14:15]
	s_mov_b32 s4, 0xf534ddc0
	v_not_b32_e32 v22, 63
	v_mov_b32_e32 v14, v18
	v_mad_u64_u32 v[18:19], s[4:5], v20, s4, v[14:15]
	s_mov_b32 s4, 0xfc2757d1
	v_cmp_lt_u32_e32 vcc, 63, v21
	v_mov_b32_e32 v14, v19
	v_mad_u64_u32 v[12:13], s[4:5], v20, s4, v[14:15]
	v_cndmask_b32_e32 v14, 0, v22, vcc
	v_add_u32_e32 v19, v14, v21
	v_mov_b32_e32 v14, v13
	s_mov_b32 s4, 0x4e441529
	v_mad_u64_u32 v[13:14], s[4:5], v20, s4, v[14:15]
	v_not_b32_e32 v21, 31
	v_cmp_lt_u32_e64 s[4:5], 31, v19
	s_mov_b32 s8, 0xa2f9836e
	v_cndmask_b32_e64 v22, 0, v21, s[4:5]
	v_mad_u64_u32 v[14:15], s[8:9], v20, s8, v[14:15]
	v_add_u32_e32 v19, v22, v19
	v_cmp_lt_u32_e64 s[8:9], 31, v19
	v_cndmask_b32_e64 v20, 0, v21, s[8:9]
	v_add_u32_e32 v19, v20, v19
	v_cndmask_b32_e32 v20, v13, v18, vcc
	v_cndmask_b32_e32 v14, v14, v12, vcc
	;; [unrolled: 1-line block ×4, first 2 shown]
	v_cndmask_b32_e64 v21, v14, v20, s[4:5]
	v_cndmask_b32_e64 v13, v13, v14, s[4:5]
	;; [unrolled: 1-line block ×3, first 2 shown]
	v_cndmask_b32_e32 v16, v18, v16, vcc
	v_cndmask_b32_e64 v13, v13, v21, s[8:9]
	v_cndmask_b32_e64 v15, v21, v14, s[8:9]
	v_sub_u32_e32 v20, 32, v19
	v_cndmask_b32_e64 v12, v12, v16, s[4:5]
	v_alignbit_b32 v21, v13, v15, v20
	v_cmp_eq_u32_e64 s[10:11], 0, v19
	v_cndmask_b32_e64 v14, v14, v12, s[8:9]
	v_cndmask_b32_e32 v11, v17, v11, vcc
	v_cndmask_b32_e64 v13, v21, v13, s[10:11]
	v_alignbit_b32 v18, v15, v14, v20
	v_cndmask_b32_e64 v11, v16, v11, s[4:5]
	v_cndmask_b32_e64 v15, v18, v15, s[10:11]
	v_bfe_u32 v21, v13, 29, 1
	v_cndmask_b32_e64 v11, v12, v11, s[8:9]
	v_alignbit_b32 v18, v13, v15, 30
	v_sub_u32_e32 v22, 0, v21
	v_alignbit_b32 v12, v14, v11, v20
	v_xor_b32_e32 v18, v18, v22
	v_cndmask_b32_e64 v12, v12, v14, s[10:11]
	v_alignbit_b32 v14, v15, v12, 30
	v_ffbh_u32_e32 v15, v18
	v_min_u32_e32 v15, 32, v15
	v_alignbit_b32 v11, v12, v11, 30
	v_xor_b32_e32 v14, v14, v22
	v_sub_u32_e32 v16, 31, v15
	v_xor_b32_e32 v11, v11, v22
	v_alignbit_b32 v17, v18, v14, v16
	v_alignbit_b32 v11, v14, v11, v16
	;; [unrolled: 1-line block ×3, first 2 shown]
	v_ffbh_u32_e32 v14, v12
	v_min_u32_e32 v14, 32, v14
	v_lshrrev_b32_e32 v19, 29, v13
	v_not_b32_e32 v16, v14
	v_alignbit_b32 v11, v12, v11, v16
	v_lshlrev_b32_e32 v12, 31, v19
	v_or_b32_e32 v16, 0x33000000, v12
	v_add_lshl_u32 v14, v14, v15, 23
	v_lshrrev_b32_e32 v11, 9, v11
	v_sub_u32_e32 v14, v16, v14
	v_or_b32_e32 v12, 0.5, v12
	v_lshlrev_b32_e32 v15, 23, v15
	v_or_b32_e32 v11, v14, v11
	v_lshrrev_b32_e32 v14, 9, v17
	v_sub_u32_e32 v12, v12, v15
	v_or_b32_e32 v12, v14, v12
	s_mov_b32 s4, 0x3fc90fda
	v_mul_f32_e32 v14, 0x3fc90fda, v12
	v_fma_f32 v15, v12, s4, -v14
	v_fmac_f32_e32 v15, 0x33a22168, v12
	v_fmac_f32_e32 v15, 0x3fc90fda, v11
	v_lshrrev_b32_e32 v11, 30, v13
	v_add_f32_e32 v12, v14, v15
	v_add_u32_e32 v11, v21, v11
	s_andn2_saveexec_b64 s[4:5], s[20:21]
	s_cbranch_execnz .LBB17_49
	s_branch .LBB17_50
.LBB17_48:
	s_andn2_saveexec_b64 s[4:5], s[20:21]
	s_cbranch_execz .LBB17_50
.LBB17_49:
	s_mov_b32 s8, 0x3f22f983
	v_mul_f32_e64 v11, |v3|, s8
	v_rndne_f32_e32 v13, v11
	s_mov_b32 s8, 0xbfc90fda
	v_cvt_i32_f32_e32 v11, v13
	v_fma_f32 v12, v13, s8, |v3|
	v_fmac_f32_e32 v12, 0xb3a22168, v13
	v_fmac_f32_e32 v12, 0xa7c234c4, v13
.LBB17_50:
	s_or_b64 exec, exec, s[4:5]
	s_mov_b32 s8, 0x41c80000
	v_div_scale_f32 v13, s[4:5], v8, v8, s8
	v_div_scale_f32 v14, vcc, s8, v8, s8
	v_mov_b32_e32 v15, 0x3a50e985
	v_mov_b32_e32 v17, 0x3da9a586
	;; [unrolled: 1-line block ×9, first 2 shown]
	s_mov_b32 s10, 0xc0a00000
	v_mov_b32_e32 v27, 0xbfa429da
	v_div_scale_f32 v36, s[4:5], v6, v6, s10
	v_rcp_f32_e32 v16, v13
	v_mov_b32_e32 v28, 0xc19c6e80
	v_mov_b32_e32 v29, 0xc2ba697b
	;; [unrolled: 1-line block ×3, first 2 shown]
	v_fma_f32 v20, -v13, v16, 1.0
	v_fmac_f32_e32 v16, v20, v16
	v_mul_f32_e32 v20, v14, v16
	v_fma_f32 v21, -v13, v20, v14
	v_fmac_f32_e32 v20, v21, v16
	v_fma_f32 v13, -v13, v20, v14
	v_div_fmas_f32 v13, v13, v16, v20
	v_mov_b32_e32 v20, 0x3a725406
	v_mov_b32_e32 v21, 0x3daf5e2d
	;; [unrolled: 1-line block ×8, first 2 shown]
	v_div_fixup_f32 v8, v13, v8, s8
	v_fmac_f32_e32 v15, 0, v8
	v_fmac_f32_e32 v20, 0, v8
	;; [unrolled: 1-line block ×12, first 2 shown]
	v_fma_f32 v13, v8, v25, 1.0
	v_fma_f32 v14, v8, v16, 1.0
	v_div_scale_f32 v15, s[4:5], v13, v13, v14
	v_div_scale_f32 v21, vcc, v14, v13, v14
	v_mov_b32_e32 v17, 0x4280a2ba
	v_fmac_f32_e32 v26, 0, v8
	v_mov_b32_e32 v18, 0x44561b86
	v_fmac_f32_e32 v17, 0, v8
	v_fmac_f32_e32 v27, v8, v26
	v_mov_b32_e32 v19, 0x4572a66e
	v_fmac_f32_e32 v18, v8, v17
	;; [unrolled: 3-line block ×3, first 2 shown]
	v_fmac_f32_e32 v29, v8, v28
	v_mov_b32_e32 v22, 0x45b955d1
	v_rcp_f32_e32 v35, v15
	v_fmac_f32_e32 v20, v8, v19
	v_fmac_f32_e32 v30, v8, v29
	v_mov_b32_e32 v23, 0x4500e17e
	v_fma_f32 v38, -v15, v35, 1.0
	v_fmac_f32_e32 v35, v38, v35
	v_mul_f32_e32 v38, v21, v35
	v_fma_f32 v39, -v15, v38, v21
	v_fmac_f32_e32 v38, v39, v35
	v_fma_f32 v15, -v15, v38, v21
	v_div_fmas_f32 v15, v15, v35, v38
	v_fmac_f32_e32 v22, v8, v20
	v_fmac_f32_e32 v31, v8, v30
	v_mov_b32_e32 v16, 0xc0c19ac7
	v_mov_b32_e32 v24, 0x43720178
	v_div_scale_f32 v37, s[4:5], s10, v6, s10
	v_fmac_f32_e32 v23, v8, v22
	v_fmac_f32_e32 v32, v8, v31
	;; [unrolled: 1-line block ×4, first 2 shown]
	v_rcp_f32_e32 v18, v36
	s_mov_b64 vcc, s[4:5]
	v_mul_f32_e32 v25, v10, v10
	v_fmac_f32_e32 v34, 0xb94c1982, v25
	v_fma_f32 v21, -v36, v18, 1.0
	v_div_fixup_f32 v8, v15, v13, v14
	v_div_scale_f32 v14, s[8:9], v24, v24, v16
	v_div_scale_f32 v17, s[8:9], v16, v24, v16
	v_fmac_f32_e32 v18, v21, v18
	v_mul_f32_e32 v21, v37, v18
	v_fma_f32 v22, -v36, v21, v37
	v_fmac_f32_e32 v21, v22, v18
	v_fma_f32 v23, -v36, v21, v37
	v_div_fmas_f32 v18, v23, v18, v21
	s_mov_b64 vcc, s[8:9]
	v_mov_b32_e32 v13, 0xbe2aaa9d
	v_fma_f32 v15, v25, v34, v13
	v_mul_f32_e32 v15, v25, v15
	v_mov_b32_e32 v19, 0xbab64f3b
	v_fmac_f32_e32 v10, v10, v15
	v_rcp_f32_e32 v22, v14
	v_mov_b32_e32 v15, 0xbab64f3b
	v_fmac_f32_e32 v19, 0x37d75334, v25
	v_mov_b32_e32 v20, 0x3d2aabf7
	v_fma_f32 v21, -v14, v22, 1.0
	v_fmac_f32_e32 v22, v21, v22
	v_mul_f32_e32 v21, v17, v22
	v_fma_f32 v23, -v14, v21, v17
	v_fmac_f32_e32 v21, v23, v22
	v_fma_f32 v14, -v14, v21, v17
	v_div_fmas_f32 v14, v14, v22, v21
	v_fma_f32 v17, v25, v19, v20
	v_mov_b32_e32 v19, 0xbf000004
	v_fma_f32 v17, v25, v17, v19
	v_and_b32_e32 v21, 1, v9
	v_fma_f32 v17, v25, v17, 1.0
	v_cmp_eq_u32_e32 vcc, 0, v21
	s_movk_i32 s4, 0x1f8
	v_cndmask_b32_e64 v10, -v10, v17, vcc
	v_lshlrev_b32_e32 v9, 30, v9
	v_cmp_class_f32_e64 vcc, v3, s4
	v_xor_b32_e32 v3, v7, v3
	v_and_b32_e32 v9, 0x80000000, v9
	v_xor_b32_e32 v9, v9, v10
	v_mov_b32_e32 v10, 0x7fc00000
	v_cndmask_b32_e32 v9, v10, v9, vcc
	v_div_fixup_f32 v14, v14, v24, v16
	v_mul_f32_e32 v16, v12, v12
	v_fmac_f32_e32 v33, 0xb94c1982, v16
	v_fmac_f32_e32 v15, 0x37d75334, v16
	;; [unrolled: 1-line block ×4, first 2 shown]
	v_mul_f32_e32 v13, v16, v13
	v_fmac_f32_e32 v19, v16, v20
	v_and_b32_e32 v15, 1, v11
	v_lshlrev_b32_e32 v11, 30, v11
	v_fmac_f32_e32 v12, v12, v13
	v_fma_f32 v13, v16, v19, 1.0
	v_cmp_eq_u32_e64 s[4:5], 0, v15
	v_and_b32_e32 v11, 0x80000000, v11
	v_cndmask_b32_e64 v12, v13, v12, s[4:5]
	v_xor_b32_e32 v3, v3, v11
	v_xor_b32_e32 v3, v3, v12
	s_mov_b32 s4, 0xf800000
	v_cndmask_b32_e32 v3, v10, v3, vcc
	v_mul_f32_e32 v7, 0x4f800000, v6
	v_cmp_gt_f32_e32 vcc, s4, v6
	v_div_fixup_f32 v17, v18, v6, s10
	v_cndmask_b32_e32 v6, v6, v7, vcc
	v_sqrt_f32_e32 v7, v6
	v_mul_f32_e32 v14, v17, v14
	v_mul_f32_e32 v3, v14, v3
	v_fmac_f32_e32 v3, v8, v9
	v_add_u32_e32 v8, -1, v7
	v_fma_f32 v9, -v8, v7, v6
	v_cmp_ge_f32_e64 s[4:5], 0, v9
	v_add_u32_e32 v9, 1, v7
	v_cndmask_b32_e64 v8, v7, v8, s[4:5]
	v_fma_f32 v7, -v9, v7, v6
	v_cmp_lt_f32_e64 s[4:5], 0, v7
	v_cndmask_b32_e64 v7, v8, v9, s[4:5]
	v_mul_f32_e32 v8, 0x37800000, v7
	v_cndmask_b32_e32 v7, v7, v8, vcc
	v_mov_b32_e32 v8, 0x260
	v_cmp_class_f32_e32 vcc, v6, v8
	v_mul_f32_e32 v3, 0x3f4c422a, v3
	v_cndmask_b32_e32 v6, v7, v6, vcc
	v_div_scale_f32 v7, s[4:5], v6, v6, v3
	v_div_scale_f32 v8, vcc, v3, v6, v3
	v_rcp_f32_e32 v9, v7
	v_fma_f32 v10, -v7, v9, 1.0
	v_fmac_f32_e32 v9, v10, v9
	v_mul_f32_e32 v10, v8, v9
	v_fma_f32 v11, -v7, v10, v8
	v_fmac_f32_e32 v10, v11, v9
	v_fma_f32 v7, -v7, v10, v8
	v_div_fmas_f32 v7, v7, v9, v10
	v_div_fixup_f32 v3, v7, v6, v3
.LBB17_51:
	s_or_b64 exec, exec, s[14:15]
	v_cmp_gt_f32_e32 vcc, 0, v4
	v_cndmask_b32_e64 v6, v4, -v4, vcc
	s_mov_b32 s4, 0x40a00000
	v_cmp_ge_f32_e32 vcc, s4, v6
	v_mul_f32_e32 v8, v6, v6
	s_and_saveexec_b64 s[4:5], vcc
	s_xor_b64 s[4:5], exec, s[4:5]
	s_cbranch_execz .LBB17_57
; %bb.52:
	s_mov_b32 s8, 0x3727c5ac
	v_cmp_ngt_f32_e32 vcc, s8, v6
	s_and_saveexec_b64 s[8:9], vcc
	s_xor_b64 s[8:9], exec, s[8:9]
	s_cbranch_execz .LBB17_54
; %bb.53:
	v_mov_b32_e32 v4, 0xcf8ee29d
	v_fmac_f32_e32 v4, 0, v8
	v_mov_b32_e32 v6, 0x53e3ba8e
	v_fmac_f32_e32 v6, v8, v4
	;; [unrolled: 2-line block ×12, first 2 shown]
	v_add_f32_e32 v4, 0xc0b90fdc, v8
	v_add_f32_e32 v8, 0xc1f3c525, v8
	v_mul_f32_e32 v4, v4, v8
	v_mul_f32_e32 v4, v4, v6
	v_div_scale_f32 v6, s[10:11], v7, v7, v4
	v_div_scale_f32 v8, vcc, v4, v7, v4
	v_rcp_f32_e32 v9, v6
	v_fma_f32 v10, -v6, v9, 1.0
	v_fmac_f32_e32 v9, v10, v9
	v_mul_f32_e32 v10, v8, v9
	v_fma_f32 v11, -v6, v10, v8
	v_fmac_f32_e32 v10, v11, v9
	v_fma_f32 v6, -v6, v10, v8
	v_div_fmas_f32 v6, v6, v9, v10
                                        ; implicit-def: $vgpr8
	v_div_fixup_f32 v4, v6, v7, v4
.LBB17_54:
	s_andn2_saveexec_b64 s[8:9], s[8:9]
; %bb.55:
	s_mov_b32 s10, 0xbe800000
	v_fma_f32 v4, v8, s10, 1.0
; %bb.56:
	s_or_b64 exec, exec, s[8:9]
                                        ; implicit-def: $vgpr8
                                        ; implicit-def: $vgpr6
.LBB17_57:
	s_andn2_saveexec_b64 s[14:15], s[4:5]
	s_cbranch_execz .LBB17_67
; %bb.58:
	v_add_f32_e32 v4, 0xbf490fdb, v6
	v_and_b32_e32 v7, 0x7fffffff, v4
	s_brev_b32 s4, 18
	v_cmp_nlt_f32_e64 s[20:21], |v4|, s4
	v_lshrrev_b32_e32 v13, 23, v7
                                        ; implicit-def: $vgpr9
                                        ; implicit-def: $vgpr10
	s_and_saveexec_b64 s[4:5], s[20:21]
	s_xor_b64 s[22:23], exec, s[4:5]
	s_cbranch_execz .LBB17_60
; %bb.59:
	v_and_b32_e32 v9, 0x7fffff, v7
	v_or_b32_e32 v12, 0x800000, v9
	s_mov_b32 s4, 0xfe5163ab
	v_mad_u64_u32 v[9:10], s[4:5], v12, s4, 0
	v_mov_b32_e32 v11, 0
	s_mov_b32 s4, 0x3c439041
	v_mad_u64_u32 v[14:15], s[4:5], v12, s4, v[10:11]
	s_mov_b32 s4, 0xdb629599
	v_add_u32_e32 v19, 0xffffff88, v13
	v_mov_b32_e32 v10, v15
	v_mad_u64_u32 v[15:16], s[4:5], v12, s4, v[10:11]
	s_mov_b32 s4, 0xf534ddc0
	v_not_b32_e32 v20, 63
	v_mov_b32_e32 v10, v16
	v_mad_u64_u32 v[16:17], s[4:5], v12, s4, v[10:11]
	s_mov_b32 s4, 0xfc2757d1
	v_cmp_lt_u32_e32 vcc, 63, v19
	v_mov_b32_e32 v10, v17
	v_mad_u64_u32 v[17:18], s[4:5], v12, s4, v[10:11]
	v_cndmask_b32_e32 v10, 0, v20, vcc
	v_add_u32_e32 v20, v10, v19
	v_mov_b32_e32 v10, v18
	s_mov_b32 s4, 0x4e441529
	v_mad_u64_u32 v[18:19], s[4:5], v12, s4, v[10:11]
	v_not_b32_e32 v21, 31
	v_cmp_lt_u32_e64 s[4:5], 31, v20
	v_cndmask_b32_e64 v10, 0, v21, s[4:5]
	v_add_u32_e32 v20, v10, v20
	v_mov_b32_e32 v10, v19
	s_mov_b32 s8, 0xa2f9836e
	v_mad_u64_u32 v[10:11], s[8:9], v12, s8, v[10:11]
	v_cmp_lt_u32_e64 s[8:9], 31, v20
	v_cndmask_b32_e64 v12, 0, v21, s[8:9]
	v_cndmask_b32_e32 v19, v18, v16, vcc
	v_cndmask_b32_e32 v10, v10, v17, vcc
	;; [unrolled: 1-line block ×3, first 2 shown]
	v_add_u32_e32 v12, v12, v20
	v_cndmask_b32_e64 v20, v10, v19, s[4:5]
	v_cndmask_b32_e64 v10, v11, v10, s[4:5]
	v_cndmask_b32_e32 v11, v17, v15, vcc
	v_cndmask_b32_e64 v17, v19, v11, s[4:5]
	v_cndmask_b32_e64 v10, v10, v20, s[8:9]
	;; [unrolled: 1-line block ×3, first 2 shown]
	v_sub_u32_e32 v19, 32, v12
	v_alignbit_b32 v20, v10, v18, v19
	v_cmp_eq_u32_e64 s[10:11], 0, v12
	v_cndmask_b32_e64 v12, v20, v10, s[10:11]
	v_cndmask_b32_e32 v10, v16, v14, vcc
	v_cndmask_b32_e64 v11, v11, v10, s[4:5]
	v_cndmask_b32_e64 v14, v17, v11, s[8:9]
	v_alignbit_b32 v16, v18, v14, v19
	v_cndmask_b32_e32 v9, v15, v9, vcc
	v_cndmask_b32_e64 v16, v16, v18, s[10:11]
	v_bfe_u32 v20, v12, 29, 1
	v_cndmask_b32_e64 v9, v10, v9, s[4:5]
	v_alignbit_b32 v17, v12, v16, 30
	v_sub_u32_e32 v21, 0, v20
	v_cndmask_b32_e64 v9, v11, v9, s[8:9]
	v_xor_b32_e32 v17, v17, v21
	v_alignbit_b32 v10, v14, v9, v19
	v_cndmask_b32_e64 v10, v10, v14, s[10:11]
	v_ffbh_u32_e32 v14, v17
	v_alignbit_b32 v11, v16, v10, 30
	v_min_u32_e32 v14, 32, v14
	v_alignbit_b32 v9, v10, v9, 30
	v_xor_b32_e32 v11, v11, v21
	v_sub_u32_e32 v15, 31, v14
	v_xor_b32_e32 v9, v9, v21
	v_alignbit_b32 v16, v17, v11, v15
	v_alignbit_b32 v9, v11, v9, v15
	v_alignbit_b32 v10, v16, v9, 9
	v_ffbh_u32_e32 v11, v10
	v_min_u32_e32 v11, 32, v11
	v_lshrrev_b32_e32 v18, 29, v12
	v_not_b32_e32 v15, v11
	v_alignbit_b32 v9, v10, v9, v15
	v_lshlrev_b32_e32 v10, 31, v18
	v_or_b32_e32 v15, 0x33000000, v10
	v_add_lshl_u32 v11, v11, v14, 23
	v_lshrrev_b32_e32 v9, 9, v9
	v_sub_u32_e32 v11, v15, v11
	v_or_b32_e32 v10, 0.5, v10
	v_lshlrev_b32_e32 v14, 23, v14
	v_or_b32_e32 v9, v11, v9
	v_lshrrev_b32_e32 v11, 9, v16
	v_sub_u32_e32 v10, v10, v14
	v_or_b32_e32 v10, v11, v10
	s_mov_b32 s4, 0x3fc90fda
	v_mul_f32_e32 v11, 0x3fc90fda, v10
	v_fma_f32 v14, v10, s4, -v11
	v_fmac_f32_e32 v14, 0x33a22168, v10
	v_fmac_f32_e32 v14, 0x3fc90fda, v9
	v_lshrrev_b32_e32 v9, 30, v12
	v_add_f32_e32 v10, v11, v14
	v_add_u32_e32 v9, v20, v9
	s_andn2_saveexec_b64 s[4:5], s[22:23]
	s_cbranch_execz .LBB17_62
	s_branch .LBB17_61
.LBB17_60:
	s_andn2_saveexec_b64 s[4:5], s[22:23]
	s_cbranch_execz .LBB17_62
.LBB17_61:
	s_mov_b32 s8, 0x3f22f983
	v_mul_f32_e64 v9, |v4|, s8
	v_rndne_f32_e32 v11, v9
	s_mov_b32 s8, 0xbfc90fda
	v_cvt_i32_f32_e32 v9, v11
	v_fma_f32 v10, v11, s8, |v4|
	v_fmac_f32_e32 v10, 0xb3a22168, v11
	v_fmac_f32_e32 v10, 0xa7c234c4, v11
.LBB17_62:
	s_or_b64 exec, exec, s[4:5]
                                        ; implicit-def: $vgpr11
                                        ; implicit-def: $vgpr12
	s_and_saveexec_b64 s[4:5], s[20:21]
	s_xor_b64 s[20:21], exec, s[4:5]
	s_cbranch_execz .LBB17_64
; %bb.63:
	v_and_b32_e32 v11, 0x7fffff, v7
	v_or_b32_e32 v20, 0x800000, v11
	s_mov_b32 s4, 0xfe5163ab
	v_mad_u64_u32 v[11:12], s[4:5], v20, s4, 0
	v_mov_b32_e32 v15, 0
	s_mov_b32 s4, 0x3c439041
	v_mov_b32_e32 v14, v12
	v_mad_u64_u32 v[16:17], s[4:5], v20, s4, v[14:15]
	s_mov_b32 s4, 0xdb629599
	v_add_u32_e32 v21, 0xffffff88, v13
	v_mov_b32_e32 v14, v17
	v_mad_u64_u32 v[17:18], s[4:5], v20, s4, v[14:15]
	s_mov_b32 s4, 0xf534ddc0
	v_not_b32_e32 v22, 63
	v_mov_b32_e32 v14, v18
	v_mad_u64_u32 v[18:19], s[4:5], v20, s4, v[14:15]
	s_mov_b32 s4, 0xfc2757d1
	v_cmp_lt_u32_e32 vcc, 63, v21
	v_mov_b32_e32 v14, v19
	v_mad_u64_u32 v[12:13], s[4:5], v20, s4, v[14:15]
	v_cndmask_b32_e32 v14, 0, v22, vcc
	v_add_u32_e32 v19, v14, v21
	v_mov_b32_e32 v14, v13
	s_mov_b32 s4, 0x4e441529
	v_mad_u64_u32 v[13:14], s[4:5], v20, s4, v[14:15]
	v_not_b32_e32 v21, 31
	v_cmp_lt_u32_e64 s[4:5], 31, v19
	s_mov_b32 s8, 0xa2f9836e
	v_cndmask_b32_e64 v22, 0, v21, s[4:5]
	v_mad_u64_u32 v[14:15], s[8:9], v20, s8, v[14:15]
	v_add_u32_e32 v19, v22, v19
	v_cmp_lt_u32_e64 s[8:9], 31, v19
	v_cndmask_b32_e64 v20, 0, v21, s[8:9]
	v_add_u32_e32 v19, v20, v19
	v_cndmask_b32_e32 v20, v13, v18, vcc
	v_cndmask_b32_e32 v14, v14, v12, vcc
	;; [unrolled: 1-line block ×4, first 2 shown]
	v_cndmask_b32_e64 v21, v14, v20, s[4:5]
	v_cndmask_b32_e64 v13, v13, v14, s[4:5]
	;; [unrolled: 1-line block ×3, first 2 shown]
	v_cndmask_b32_e32 v16, v18, v16, vcc
	v_cndmask_b32_e64 v13, v13, v21, s[8:9]
	v_cndmask_b32_e64 v15, v21, v14, s[8:9]
	v_sub_u32_e32 v20, 32, v19
	v_cndmask_b32_e64 v12, v12, v16, s[4:5]
	v_alignbit_b32 v21, v13, v15, v20
	v_cmp_eq_u32_e64 s[10:11], 0, v19
	v_cndmask_b32_e64 v14, v14, v12, s[8:9]
	v_cndmask_b32_e32 v11, v17, v11, vcc
	v_cndmask_b32_e64 v13, v21, v13, s[10:11]
	v_alignbit_b32 v18, v15, v14, v20
	v_cndmask_b32_e64 v11, v16, v11, s[4:5]
	v_cndmask_b32_e64 v15, v18, v15, s[10:11]
	v_bfe_u32 v21, v13, 29, 1
	v_cndmask_b32_e64 v11, v12, v11, s[8:9]
	v_alignbit_b32 v18, v13, v15, 30
	v_sub_u32_e32 v22, 0, v21
	v_alignbit_b32 v12, v14, v11, v20
	v_xor_b32_e32 v18, v18, v22
	v_cndmask_b32_e64 v12, v12, v14, s[10:11]
	v_alignbit_b32 v14, v15, v12, 30
	v_ffbh_u32_e32 v15, v18
	v_min_u32_e32 v15, 32, v15
	v_alignbit_b32 v11, v12, v11, 30
	v_xor_b32_e32 v14, v14, v22
	v_sub_u32_e32 v16, 31, v15
	v_xor_b32_e32 v11, v11, v22
	v_alignbit_b32 v17, v18, v14, v16
	v_alignbit_b32 v11, v14, v11, v16
	;; [unrolled: 1-line block ×3, first 2 shown]
	v_ffbh_u32_e32 v14, v12
	v_min_u32_e32 v14, 32, v14
	v_lshrrev_b32_e32 v19, 29, v13
	v_not_b32_e32 v16, v14
	v_alignbit_b32 v11, v12, v11, v16
	v_lshlrev_b32_e32 v12, 31, v19
	v_or_b32_e32 v16, 0x33000000, v12
	v_add_lshl_u32 v14, v14, v15, 23
	v_lshrrev_b32_e32 v11, 9, v11
	v_sub_u32_e32 v14, v16, v14
	v_or_b32_e32 v12, 0.5, v12
	v_lshlrev_b32_e32 v15, 23, v15
	v_or_b32_e32 v11, v14, v11
	v_lshrrev_b32_e32 v14, 9, v17
	v_sub_u32_e32 v12, v12, v15
	v_or_b32_e32 v12, v14, v12
	s_mov_b32 s4, 0x3fc90fda
	v_mul_f32_e32 v14, 0x3fc90fda, v12
	v_fma_f32 v15, v12, s4, -v14
	v_fmac_f32_e32 v15, 0x33a22168, v12
	v_fmac_f32_e32 v15, 0x3fc90fda, v11
	v_lshrrev_b32_e32 v11, 30, v13
	v_add_f32_e32 v12, v14, v15
	v_add_u32_e32 v11, v21, v11
	s_andn2_saveexec_b64 s[4:5], s[20:21]
	s_cbranch_execnz .LBB17_65
	s_branch .LBB17_66
.LBB17_64:
	s_andn2_saveexec_b64 s[4:5], s[20:21]
	s_cbranch_execz .LBB17_66
.LBB17_65:
	s_mov_b32 s8, 0x3f22f983
	v_mul_f32_e64 v11, |v4|, s8
	v_rndne_f32_e32 v13, v11
	s_mov_b32 s8, 0xbfc90fda
	v_cvt_i32_f32_e32 v11, v13
	v_fma_f32 v12, v13, s8, |v4|
	v_fmac_f32_e32 v12, 0xb3a22168, v13
	v_fmac_f32_e32 v12, 0xa7c234c4, v13
.LBB17_66:
	s_or_b64 exec, exec, s[4:5]
	s_mov_b32 s8, 0x41c80000
	v_div_scale_f32 v13, s[4:5], v8, v8, s8
	v_div_scale_f32 v14, vcc, s8, v8, s8
	v_mov_b32_e32 v15, 0x3a50e985
	v_mov_b32_e32 v17, 0x3da9a586
	;; [unrolled: 1-line block ×9, first 2 shown]
	s_mov_b32 s10, 0xc0a00000
	v_mov_b32_e32 v27, 0xbfa429da
	v_div_scale_f32 v36, s[4:5], v6, v6, s10
	v_rcp_f32_e32 v16, v13
	v_mov_b32_e32 v28, 0xc19c6e80
	v_mov_b32_e32 v29, 0xc2ba697b
	;; [unrolled: 1-line block ×3, first 2 shown]
	v_fma_f32 v20, -v13, v16, 1.0
	v_fmac_f32_e32 v16, v20, v16
	v_mul_f32_e32 v20, v14, v16
	v_fma_f32 v21, -v13, v20, v14
	v_fmac_f32_e32 v20, v21, v16
	v_fma_f32 v13, -v13, v20, v14
	v_div_fmas_f32 v13, v13, v16, v20
	v_mov_b32_e32 v20, 0x3a725406
	v_mov_b32_e32 v21, 0x3daf5e2d
	;; [unrolled: 1-line block ×8, first 2 shown]
	v_div_fixup_f32 v8, v13, v8, s8
	v_fmac_f32_e32 v15, 0, v8
	v_fmac_f32_e32 v20, 0, v8
	v_fmac_f32_e32 v17, v8, v15
	v_fmac_f32_e32 v21, v8, v20
	v_fmac_f32_e32 v18, v8, v17
	v_fmac_f32_e32 v22, v8, v21
	v_fmac_f32_e32 v19, v8, v18
	v_fmac_f32_e32 v23, v8, v22
	v_fmac_f32_e32 v14, v8, v19
	v_fmac_f32_e32 v24, v8, v23
	v_fmac_f32_e32 v16, v8, v14
	v_fmac_f32_e32 v25, v8, v24
	v_fma_f32 v13, v8, v25, 1.0
	v_fma_f32 v14, v8, v16, 1.0
	v_div_scale_f32 v15, s[4:5], v13, v13, v14
	v_div_scale_f32 v21, vcc, v14, v13, v14
	v_mov_b32_e32 v17, 0x4280a2ba
	v_fmac_f32_e32 v26, 0, v8
	v_mov_b32_e32 v18, 0x44561b86
	v_fmac_f32_e32 v17, 0, v8
	v_fmac_f32_e32 v27, v8, v26
	v_mov_b32_e32 v19, 0x4572a66e
	v_fmac_f32_e32 v18, v8, v17
	;; [unrolled: 3-line block ×3, first 2 shown]
	v_fmac_f32_e32 v29, v8, v28
	v_mov_b32_e32 v22, 0x45b955d1
	v_rcp_f32_e32 v35, v15
	v_fmac_f32_e32 v20, v8, v19
	v_fmac_f32_e32 v30, v8, v29
	v_mov_b32_e32 v23, 0x4500e17e
	v_fma_f32 v38, -v15, v35, 1.0
	v_fmac_f32_e32 v35, v38, v35
	v_mul_f32_e32 v38, v21, v35
	v_fma_f32 v39, -v15, v38, v21
	v_fmac_f32_e32 v38, v39, v35
	v_fma_f32 v15, -v15, v38, v21
	v_div_fmas_f32 v15, v15, v35, v38
	v_fmac_f32_e32 v22, v8, v20
	v_fmac_f32_e32 v31, v8, v30
	v_mov_b32_e32 v16, 0xc0c19ac7
	v_mov_b32_e32 v24, 0x43720178
	v_div_scale_f32 v37, s[4:5], s10, v6, s10
	v_fmac_f32_e32 v23, v8, v22
	v_fmac_f32_e32 v32, v8, v31
	;; [unrolled: 1-line block ×4, first 2 shown]
	v_rcp_f32_e32 v18, v36
	s_mov_b64 vcc, s[4:5]
	v_mul_f32_e32 v25, v10, v10
	v_fmac_f32_e32 v34, 0xb94c1982, v25
	v_fma_f32 v21, -v36, v18, 1.0
	v_div_fixup_f32 v8, v15, v13, v14
	v_div_scale_f32 v14, s[8:9], v24, v24, v16
	v_div_scale_f32 v17, s[8:9], v16, v24, v16
	v_fmac_f32_e32 v18, v21, v18
	v_mul_f32_e32 v21, v37, v18
	v_fma_f32 v22, -v36, v21, v37
	v_fmac_f32_e32 v21, v22, v18
	v_fma_f32 v23, -v36, v21, v37
	v_div_fmas_f32 v18, v23, v18, v21
	s_mov_b64 vcc, s[8:9]
	v_mov_b32_e32 v13, 0xbe2aaa9d
	v_fma_f32 v15, v25, v34, v13
	v_mul_f32_e32 v15, v25, v15
	v_mov_b32_e32 v19, 0xbab64f3b
	v_fmac_f32_e32 v10, v10, v15
	v_rcp_f32_e32 v22, v14
	v_mov_b32_e32 v15, 0xbab64f3b
	v_fmac_f32_e32 v19, 0x37d75334, v25
	v_mov_b32_e32 v20, 0x3d2aabf7
	v_fma_f32 v21, -v14, v22, 1.0
	v_fmac_f32_e32 v22, v21, v22
	v_mul_f32_e32 v21, v17, v22
	v_fma_f32 v23, -v14, v21, v17
	v_fmac_f32_e32 v21, v23, v22
	v_fma_f32 v14, -v14, v21, v17
	v_div_fmas_f32 v14, v14, v22, v21
	v_fma_f32 v17, v25, v19, v20
	v_mov_b32_e32 v19, 0xbf000004
	v_fma_f32 v17, v25, v17, v19
	v_and_b32_e32 v21, 1, v9
	v_fma_f32 v17, v25, v17, 1.0
	v_cmp_eq_u32_e32 vcc, 0, v21
	s_movk_i32 s4, 0x1f8
	v_cndmask_b32_e64 v10, -v10, v17, vcc
	v_lshlrev_b32_e32 v9, 30, v9
	v_cmp_class_f32_e64 vcc, v4, s4
	v_xor_b32_e32 v4, v7, v4
	v_and_b32_e32 v9, 0x80000000, v9
	v_xor_b32_e32 v9, v9, v10
	v_mov_b32_e32 v10, 0x7fc00000
	v_cndmask_b32_e32 v9, v10, v9, vcc
	v_div_fixup_f32 v14, v14, v24, v16
	v_mul_f32_e32 v16, v12, v12
	v_fmac_f32_e32 v33, 0xb94c1982, v16
	v_fmac_f32_e32 v15, 0x37d75334, v16
	;; [unrolled: 1-line block ×4, first 2 shown]
	v_mul_f32_e32 v13, v16, v13
	v_fmac_f32_e32 v19, v16, v20
	v_and_b32_e32 v15, 1, v11
	v_lshlrev_b32_e32 v11, 30, v11
	v_fmac_f32_e32 v12, v12, v13
	v_fma_f32 v13, v16, v19, 1.0
	v_cmp_eq_u32_e64 s[4:5], 0, v15
	v_and_b32_e32 v11, 0x80000000, v11
	v_cndmask_b32_e64 v12, v13, v12, s[4:5]
	v_xor_b32_e32 v4, v4, v11
	v_xor_b32_e32 v4, v4, v12
	s_mov_b32 s4, 0xf800000
	v_cndmask_b32_e32 v4, v10, v4, vcc
	v_mul_f32_e32 v7, 0x4f800000, v6
	v_cmp_gt_f32_e32 vcc, s4, v6
	v_div_fixup_f32 v17, v18, v6, s10
	v_cndmask_b32_e32 v6, v6, v7, vcc
	v_sqrt_f32_e32 v7, v6
	v_mul_f32_e32 v14, v17, v14
	v_mul_f32_e32 v4, v14, v4
	v_fmac_f32_e32 v4, v8, v9
	v_add_u32_e32 v8, -1, v7
	v_fma_f32 v9, -v8, v7, v6
	v_cmp_ge_f32_e64 s[4:5], 0, v9
	v_add_u32_e32 v9, 1, v7
	v_cndmask_b32_e64 v8, v7, v8, s[4:5]
	v_fma_f32 v7, -v9, v7, v6
	v_cmp_lt_f32_e64 s[4:5], 0, v7
	v_cndmask_b32_e64 v7, v8, v9, s[4:5]
	v_mul_f32_e32 v8, 0x37800000, v7
	v_cndmask_b32_e32 v7, v7, v8, vcc
	v_mov_b32_e32 v8, 0x260
	v_cmp_class_f32_e32 vcc, v6, v8
	v_mul_f32_e32 v4, 0x3f4c422a, v4
	v_cndmask_b32_e32 v6, v7, v6, vcc
	v_div_scale_f32 v7, s[4:5], v6, v6, v4
	v_div_scale_f32 v8, vcc, v4, v6, v4
	v_rcp_f32_e32 v9, v7
	v_fma_f32 v10, -v7, v9, 1.0
	v_fmac_f32_e32 v9, v10, v9
	v_mul_f32_e32 v10, v8, v9
	v_fma_f32 v11, -v7, v10, v8
	v_fmac_f32_e32 v10, v11, v9
	v_fma_f32 v7, -v7, v10, v8
	v_div_fmas_f32 v7, v7, v9, v10
	v_div_fixup_f32 v4, v7, v6, v4
.LBB17_67:
	s_or_b64 exec, exec, s[14:15]
	s_add_u32 s4, s16, s12
	s_addc_u32 s5, s17, s13
	global_store_dwordx2 v5, v[1:2], s[4:5]
	global_store_dwordx2 v5, v[3:4], s[4:5] offset:2048
.LBB17_68:
	s_endpgm
	.section	.rodata,"a",@progbits
	.p2align	6, 0x0
	.amdhsa_kernel _ZN2at6native29vectorized_elementwise_kernelILi2EZZZNS0_12_GLOBAL__N_121bessel_j0_kernel_cudaERNS_18TensorIteratorBaseEENKUlvE_clEvENKUlvE0_clEvEUlfE_St5arrayIPcLm2EEEEviT0_T1_
		.amdhsa_group_segment_fixed_size 0
		.amdhsa_private_segment_fixed_size 0
		.amdhsa_kernarg_size 24
		.amdhsa_user_sgpr_count 6
		.amdhsa_user_sgpr_private_segment_buffer 1
		.amdhsa_user_sgpr_dispatch_ptr 0
		.amdhsa_user_sgpr_queue_ptr 0
		.amdhsa_user_sgpr_kernarg_segment_ptr 1
		.amdhsa_user_sgpr_dispatch_id 0
		.amdhsa_user_sgpr_flat_scratch_init 0
		.amdhsa_user_sgpr_private_segment_size 0
		.amdhsa_uses_dynamic_stack 0
		.amdhsa_system_sgpr_private_segment_wavefront_offset 0
		.amdhsa_system_sgpr_workgroup_id_x 1
		.amdhsa_system_sgpr_workgroup_id_y 0
		.amdhsa_system_sgpr_workgroup_id_z 0
		.amdhsa_system_sgpr_workgroup_info 0
		.amdhsa_system_vgpr_workitem_id 0
		.amdhsa_next_free_vgpr 40
		.amdhsa_next_free_sgpr 33
		.amdhsa_reserve_vcc 1
		.amdhsa_reserve_flat_scratch 0
		.amdhsa_float_round_mode_32 0
		.amdhsa_float_round_mode_16_64 0
		.amdhsa_float_denorm_mode_32 3
		.amdhsa_float_denorm_mode_16_64 3
		.amdhsa_dx10_clamp 1
		.amdhsa_ieee_mode 1
		.amdhsa_fp16_overflow 0
		.amdhsa_exception_fp_ieee_invalid_op 0
		.amdhsa_exception_fp_denorm_src 0
		.amdhsa_exception_fp_ieee_div_zero 0
		.amdhsa_exception_fp_ieee_overflow 0
		.amdhsa_exception_fp_ieee_underflow 0
		.amdhsa_exception_fp_ieee_inexact 0
		.amdhsa_exception_int_div_zero 0
	.end_amdhsa_kernel
	.section	.text._ZN2at6native29vectorized_elementwise_kernelILi2EZZZNS0_12_GLOBAL__N_121bessel_j0_kernel_cudaERNS_18TensorIteratorBaseEENKUlvE_clEvENKUlvE0_clEvEUlfE_St5arrayIPcLm2EEEEviT0_T1_,"axG",@progbits,_ZN2at6native29vectorized_elementwise_kernelILi2EZZZNS0_12_GLOBAL__N_121bessel_j0_kernel_cudaERNS_18TensorIteratorBaseEENKUlvE_clEvENKUlvE0_clEvEUlfE_St5arrayIPcLm2EEEEviT0_T1_,comdat
.Lfunc_end17:
	.size	_ZN2at6native29vectorized_elementwise_kernelILi2EZZZNS0_12_GLOBAL__N_121bessel_j0_kernel_cudaERNS_18TensorIteratorBaseEENKUlvE_clEvENKUlvE0_clEvEUlfE_St5arrayIPcLm2EEEEviT0_T1_, .Lfunc_end17-_ZN2at6native29vectorized_elementwise_kernelILi2EZZZNS0_12_GLOBAL__N_121bessel_j0_kernel_cudaERNS_18TensorIteratorBaseEENKUlvE_clEvENKUlvE0_clEvEUlfE_St5arrayIPcLm2EEEEviT0_T1_
                                        ; -- End function
	.set _ZN2at6native29vectorized_elementwise_kernelILi2EZZZNS0_12_GLOBAL__N_121bessel_j0_kernel_cudaERNS_18TensorIteratorBaseEENKUlvE_clEvENKUlvE0_clEvEUlfE_St5arrayIPcLm2EEEEviT0_T1_.num_vgpr, max(40, .L_ZN2at6native25elementwise_kernel_helperILb0EZZZNS0_12_GLOBAL__N_121bessel_j0_kernel_cudaERNS_18TensorIteratorBaseEENKUlvE_clEvENKUlvE0_clEvEUlfE_NS0_6memory8policies11unroll_baseILi256ESt5arrayIPcLm2EE23TrivialOffsetCalculatorILi1EjESF_NS8_15LoadWithoutCastENS8_16StoreWithoutCastELi4ELi1EEEEEvT0_T1_.num_vgpr)
	.set _ZN2at6native29vectorized_elementwise_kernelILi2EZZZNS0_12_GLOBAL__N_121bessel_j0_kernel_cudaERNS_18TensorIteratorBaseEENKUlvE_clEvENKUlvE0_clEvEUlfE_St5arrayIPcLm2EEEEviT0_T1_.num_agpr, max(0, .L_ZN2at6native25elementwise_kernel_helperILb0EZZZNS0_12_GLOBAL__N_121bessel_j0_kernel_cudaERNS_18TensorIteratorBaseEENKUlvE_clEvENKUlvE0_clEvEUlfE_NS0_6memory8policies11unroll_baseILi256ESt5arrayIPcLm2EE23TrivialOffsetCalculatorILi1EjESF_NS8_15LoadWithoutCastENS8_16StoreWithoutCastELi4ELi1EEEEEvT0_T1_.num_agpr)
	.set _ZN2at6native29vectorized_elementwise_kernelILi2EZZZNS0_12_GLOBAL__N_121bessel_j0_kernel_cudaERNS_18TensorIteratorBaseEENKUlvE_clEvENKUlvE0_clEvEUlfE_St5arrayIPcLm2EEEEviT0_T1_.numbered_sgpr, max(33, .L_ZN2at6native25elementwise_kernel_helperILb0EZZZNS0_12_GLOBAL__N_121bessel_j0_kernel_cudaERNS_18TensorIteratorBaseEENKUlvE_clEvENKUlvE0_clEvEUlfE_NS0_6memory8policies11unroll_baseILi256ESt5arrayIPcLm2EE23TrivialOffsetCalculatorILi1EjESF_NS8_15LoadWithoutCastENS8_16StoreWithoutCastELi4ELi1EEEEEvT0_T1_.numbered_sgpr)
	.set _ZN2at6native29vectorized_elementwise_kernelILi2EZZZNS0_12_GLOBAL__N_121bessel_j0_kernel_cudaERNS_18TensorIteratorBaseEENKUlvE_clEvENKUlvE0_clEvEUlfE_St5arrayIPcLm2EEEEviT0_T1_.num_named_barrier, max(0, .L_ZN2at6native25elementwise_kernel_helperILb0EZZZNS0_12_GLOBAL__N_121bessel_j0_kernel_cudaERNS_18TensorIteratorBaseEENKUlvE_clEvENKUlvE0_clEvEUlfE_NS0_6memory8policies11unroll_baseILi256ESt5arrayIPcLm2EE23TrivialOffsetCalculatorILi1EjESF_NS8_15LoadWithoutCastENS8_16StoreWithoutCastELi4ELi1EEEEEvT0_T1_.num_named_barrier)
	.set _ZN2at6native29vectorized_elementwise_kernelILi2EZZZNS0_12_GLOBAL__N_121bessel_j0_kernel_cudaERNS_18TensorIteratorBaseEENKUlvE_clEvENKUlvE0_clEvEUlfE_St5arrayIPcLm2EEEEviT0_T1_.private_seg_size, 0+max(.L_ZN2at6native25elementwise_kernel_helperILb0EZZZNS0_12_GLOBAL__N_121bessel_j0_kernel_cudaERNS_18TensorIteratorBaseEENKUlvE_clEvENKUlvE0_clEvEUlfE_NS0_6memory8policies11unroll_baseILi256ESt5arrayIPcLm2EE23TrivialOffsetCalculatorILi1EjESF_NS8_15LoadWithoutCastENS8_16StoreWithoutCastELi4ELi1EEEEEvT0_T1_.private_seg_size)
	.set _ZN2at6native29vectorized_elementwise_kernelILi2EZZZNS0_12_GLOBAL__N_121bessel_j0_kernel_cudaERNS_18TensorIteratorBaseEENKUlvE_clEvENKUlvE0_clEvEUlfE_St5arrayIPcLm2EEEEviT0_T1_.uses_vcc, or(1, .L_ZN2at6native25elementwise_kernel_helperILb0EZZZNS0_12_GLOBAL__N_121bessel_j0_kernel_cudaERNS_18TensorIteratorBaseEENKUlvE_clEvENKUlvE0_clEvEUlfE_NS0_6memory8policies11unroll_baseILi256ESt5arrayIPcLm2EE23TrivialOffsetCalculatorILi1EjESF_NS8_15LoadWithoutCastENS8_16StoreWithoutCastELi4ELi1EEEEEvT0_T1_.uses_vcc)
	.set _ZN2at6native29vectorized_elementwise_kernelILi2EZZZNS0_12_GLOBAL__N_121bessel_j0_kernel_cudaERNS_18TensorIteratorBaseEENKUlvE_clEvENKUlvE0_clEvEUlfE_St5arrayIPcLm2EEEEviT0_T1_.uses_flat_scratch, or(0, .L_ZN2at6native25elementwise_kernel_helperILb0EZZZNS0_12_GLOBAL__N_121bessel_j0_kernel_cudaERNS_18TensorIteratorBaseEENKUlvE_clEvENKUlvE0_clEvEUlfE_NS0_6memory8policies11unroll_baseILi256ESt5arrayIPcLm2EE23TrivialOffsetCalculatorILi1EjESF_NS8_15LoadWithoutCastENS8_16StoreWithoutCastELi4ELi1EEEEEvT0_T1_.uses_flat_scratch)
	.set _ZN2at6native29vectorized_elementwise_kernelILi2EZZZNS0_12_GLOBAL__N_121bessel_j0_kernel_cudaERNS_18TensorIteratorBaseEENKUlvE_clEvENKUlvE0_clEvEUlfE_St5arrayIPcLm2EEEEviT0_T1_.has_dyn_sized_stack, or(0, .L_ZN2at6native25elementwise_kernel_helperILb0EZZZNS0_12_GLOBAL__N_121bessel_j0_kernel_cudaERNS_18TensorIteratorBaseEENKUlvE_clEvENKUlvE0_clEvEUlfE_NS0_6memory8policies11unroll_baseILi256ESt5arrayIPcLm2EE23TrivialOffsetCalculatorILi1EjESF_NS8_15LoadWithoutCastENS8_16StoreWithoutCastELi4ELi1EEEEEvT0_T1_.has_dyn_sized_stack)
	.set _ZN2at6native29vectorized_elementwise_kernelILi2EZZZNS0_12_GLOBAL__N_121bessel_j0_kernel_cudaERNS_18TensorIteratorBaseEENKUlvE_clEvENKUlvE0_clEvEUlfE_St5arrayIPcLm2EEEEviT0_T1_.has_recursion, or(0, .L_ZN2at6native25elementwise_kernel_helperILb0EZZZNS0_12_GLOBAL__N_121bessel_j0_kernel_cudaERNS_18TensorIteratorBaseEENKUlvE_clEvENKUlvE0_clEvEUlfE_NS0_6memory8policies11unroll_baseILi256ESt5arrayIPcLm2EE23TrivialOffsetCalculatorILi1EjESF_NS8_15LoadWithoutCastENS8_16StoreWithoutCastELi4ELi1EEEEEvT0_T1_.has_recursion)
	.set _ZN2at6native29vectorized_elementwise_kernelILi2EZZZNS0_12_GLOBAL__N_121bessel_j0_kernel_cudaERNS_18TensorIteratorBaseEENKUlvE_clEvENKUlvE0_clEvEUlfE_St5arrayIPcLm2EEEEviT0_T1_.has_indirect_call, or(0, .L_ZN2at6native25elementwise_kernel_helperILb0EZZZNS0_12_GLOBAL__N_121bessel_j0_kernel_cudaERNS_18TensorIteratorBaseEENKUlvE_clEvENKUlvE0_clEvEUlfE_NS0_6memory8policies11unroll_baseILi256ESt5arrayIPcLm2EE23TrivialOffsetCalculatorILi1EjESF_NS8_15LoadWithoutCastENS8_16StoreWithoutCastELi4ELi1EEEEEvT0_T1_.has_indirect_call)
	.section	.AMDGPU.csdata,"",@progbits
; Kernel info:
; codeLenInByte = 11612
; TotalNumSgprs: 37
; NumVgprs: 40
; ScratchSize: 0
; MemoryBound: 0
; FloatMode: 240
; IeeeMode: 1
; LDSByteSize: 0 bytes/workgroup (compile time only)
; SGPRBlocks: 4
; VGPRBlocks: 9
; NumSGPRsForWavesPerEU: 37
; NumVGPRsForWavesPerEU: 40
; Occupancy: 6
; WaveLimiterHint : 1
; COMPUTE_PGM_RSRC2:SCRATCH_EN: 0
; COMPUTE_PGM_RSRC2:USER_SGPR: 6
; COMPUTE_PGM_RSRC2:TRAP_HANDLER: 0
; COMPUTE_PGM_RSRC2:TGID_X_EN: 1
; COMPUTE_PGM_RSRC2:TGID_Y_EN: 0
; COMPUTE_PGM_RSRC2:TGID_Z_EN: 0
; COMPUTE_PGM_RSRC2:TIDIG_COMP_CNT: 0
	.section	.text._ZN2at6native27unrolled_elementwise_kernelIZZZNS0_12_GLOBAL__N_121bessel_j0_kernel_cudaERNS_18TensorIteratorBaseEENKUlvE_clEvENKUlvE0_clEvEUlfE_St5arrayIPcLm2EELi4E23TrivialOffsetCalculatorILi1EjESC_NS0_6memory15LoadWithoutCastENSD_16StoreWithoutCastEEEviT_T0_T2_T3_T4_T5_,"axG",@progbits,_ZN2at6native27unrolled_elementwise_kernelIZZZNS0_12_GLOBAL__N_121bessel_j0_kernel_cudaERNS_18TensorIteratorBaseEENKUlvE_clEvENKUlvE0_clEvEUlfE_St5arrayIPcLm2EELi4E23TrivialOffsetCalculatorILi1EjESC_NS0_6memory15LoadWithoutCastENSD_16StoreWithoutCastEEEviT_T0_T2_T3_T4_T5_,comdat
	.globl	_ZN2at6native27unrolled_elementwise_kernelIZZZNS0_12_GLOBAL__N_121bessel_j0_kernel_cudaERNS_18TensorIteratorBaseEENKUlvE_clEvENKUlvE0_clEvEUlfE_St5arrayIPcLm2EELi4E23TrivialOffsetCalculatorILi1EjESC_NS0_6memory15LoadWithoutCastENSD_16StoreWithoutCastEEEviT_T0_T2_T3_T4_T5_ ; -- Begin function _ZN2at6native27unrolled_elementwise_kernelIZZZNS0_12_GLOBAL__N_121bessel_j0_kernel_cudaERNS_18TensorIteratorBaseEENKUlvE_clEvENKUlvE0_clEvEUlfE_St5arrayIPcLm2EELi4E23TrivialOffsetCalculatorILi1EjESC_NS0_6memory15LoadWithoutCastENSD_16StoreWithoutCastEEEviT_T0_T2_T3_T4_T5_
	.p2align	8
	.type	_ZN2at6native27unrolled_elementwise_kernelIZZZNS0_12_GLOBAL__N_121bessel_j0_kernel_cudaERNS_18TensorIteratorBaseEENKUlvE_clEvENKUlvE0_clEvEUlfE_St5arrayIPcLm2EELi4E23TrivialOffsetCalculatorILi1EjESC_NS0_6memory15LoadWithoutCastENSD_16StoreWithoutCastEEEviT_T0_T2_T3_T4_T5_,@function
_ZN2at6native27unrolled_elementwise_kernelIZZZNS0_12_GLOBAL__N_121bessel_j0_kernel_cudaERNS_18TensorIteratorBaseEENKUlvE_clEvENKUlvE0_clEvEUlfE_St5arrayIPcLm2EELi4E23TrivialOffsetCalculatorILi1EjESC_NS0_6memory15LoadWithoutCastENSD_16StoreWithoutCastEEEviT_T0_T2_T3_T4_T5_: ; @_ZN2at6native27unrolled_elementwise_kernelIZZZNS0_12_GLOBAL__N_121bessel_j0_kernel_cudaERNS_18TensorIteratorBaseEENKUlvE_clEvENKUlvE0_clEvEUlfE_St5arrayIPcLm2EELi4E23TrivialOffsetCalculatorILi1EjESC_NS0_6memory15LoadWithoutCastENSD_16StoreWithoutCastEEEviT_T0_T2_T3_T4_T5_
; %bb.0:
	s_add_u32 s0, s0, s7
	s_load_dword s7, s[4:5], 0x0
	s_load_dwordx4 s[8:11], s[4:5], 0x8
	s_addc_u32 s1, s1, 0
	s_lshl_b32 s4, s6, 10
	s_mov_b32 s12, s6
	s_waitcnt lgkmcnt(0)
	s_sub_i32 s7, s7, s4
	s_getpc_b64 s[4:5]
	s_add_u32 s4, s4, _ZN2at6native25elementwise_kernel_helperILb0EZZZNS0_12_GLOBAL__N_121bessel_j0_kernel_cudaERNS_18TensorIteratorBaseEENKUlvE_clEvENKUlvE0_clEvEUlfE_NS0_6memory8policies11unroll_baseILi256ESt5arrayIPcLm2EE23TrivialOffsetCalculatorILi1EjESF_NS8_15LoadWithoutCastENS8_16StoreWithoutCastELi4ELi1EEEEEvT0_T1_@rel32@lo+4
	s_addc_u32 s5, s5, _ZN2at6native25elementwise_kernel_helperILb0EZZZNS0_12_GLOBAL__N_121bessel_j0_kernel_cudaERNS_18TensorIteratorBaseEENKUlvE_clEvENKUlvE0_clEvEUlfE_NS0_6memory8policies11unroll_baseILi256ESt5arrayIPcLm2EE23TrivialOffsetCalculatorILi1EjESF_NS8_15LoadWithoutCastENS8_16StoreWithoutCastELi4ELi1EEEEEvT0_T1_@rel32@hi+12
	v_mov_b32_e32 v31, v0
	v_mov_b32_e32 v0, s8
	v_mov_b32_e32 v1, s9
	v_mov_b32_e32 v2, s10
	v_mov_b32_e32 v3, s11
	v_mov_b32_e32 v4, s7
	s_mov_b32 s32, 0
	s_swappc_b64 s[30:31], s[4:5]
	s_endpgm
	.section	.rodata,"a",@progbits
	.p2align	6, 0x0
	.amdhsa_kernel _ZN2at6native27unrolled_elementwise_kernelIZZZNS0_12_GLOBAL__N_121bessel_j0_kernel_cudaERNS_18TensorIteratorBaseEENKUlvE_clEvENKUlvE0_clEvEUlfE_St5arrayIPcLm2EELi4E23TrivialOffsetCalculatorILi1EjESC_NS0_6memory15LoadWithoutCastENSD_16StoreWithoutCastEEEviT_T0_T2_T3_T4_T5_
		.amdhsa_group_segment_fixed_size 0
		.amdhsa_private_segment_fixed_size 0
		.amdhsa_kernarg_size 28
		.amdhsa_user_sgpr_count 6
		.amdhsa_user_sgpr_private_segment_buffer 1
		.amdhsa_user_sgpr_dispatch_ptr 0
		.amdhsa_user_sgpr_queue_ptr 0
		.amdhsa_user_sgpr_kernarg_segment_ptr 1
		.amdhsa_user_sgpr_dispatch_id 0
		.amdhsa_user_sgpr_flat_scratch_init 0
		.amdhsa_user_sgpr_private_segment_size 0
		.amdhsa_uses_dynamic_stack 0
		.amdhsa_system_sgpr_private_segment_wavefront_offset 0
		.amdhsa_system_sgpr_workgroup_id_x 1
		.amdhsa_system_sgpr_workgroup_id_y 0
		.amdhsa_system_sgpr_workgroup_id_z 0
		.amdhsa_system_sgpr_workgroup_info 0
		.amdhsa_system_vgpr_workitem_id 0
		.amdhsa_next_free_vgpr 32
		.amdhsa_next_free_sgpr 33
		.amdhsa_reserve_vcc 1
		.amdhsa_reserve_flat_scratch 0
		.amdhsa_float_round_mode_32 0
		.amdhsa_float_round_mode_16_64 0
		.amdhsa_float_denorm_mode_32 3
		.amdhsa_float_denorm_mode_16_64 3
		.amdhsa_dx10_clamp 1
		.amdhsa_ieee_mode 1
		.amdhsa_fp16_overflow 0
		.amdhsa_exception_fp_ieee_invalid_op 0
		.amdhsa_exception_fp_denorm_src 0
		.amdhsa_exception_fp_ieee_div_zero 0
		.amdhsa_exception_fp_ieee_overflow 0
		.amdhsa_exception_fp_ieee_underflow 0
		.amdhsa_exception_fp_ieee_inexact 0
		.amdhsa_exception_int_div_zero 0
	.end_amdhsa_kernel
	.section	.text._ZN2at6native27unrolled_elementwise_kernelIZZZNS0_12_GLOBAL__N_121bessel_j0_kernel_cudaERNS_18TensorIteratorBaseEENKUlvE_clEvENKUlvE0_clEvEUlfE_St5arrayIPcLm2EELi4E23TrivialOffsetCalculatorILi1EjESC_NS0_6memory15LoadWithoutCastENSD_16StoreWithoutCastEEEviT_T0_T2_T3_T4_T5_,"axG",@progbits,_ZN2at6native27unrolled_elementwise_kernelIZZZNS0_12_GLOBAL__N_121bessel_j0_kernel_cudaERNS_18TensorIteratorBaseEENKUlvE_clEvENKUlvE0_clEvEUlfE_St5arrayIPcLm2EELi4E23TrivialOffsetCalculatorILi1EjESC_NS0_6memory15LoadWithoutCastENSD_16StoreWithoutCastEEEviT_T0_T2_T3_T4_T5_,comdat
.Lfunc_end18:
	.size	_ZN2at6native27unrolled_elementwise_kernelIZZZNS0_12_GLOBAL__N_121bessel_j0_kernel_cudaERNS_18TensorIteratorBaseEENKUlvE_clEvENKUlvE0_clEvEUlfE_St5arrayIPcLm2EELi4E23TrivialOffsetCalculatorILi1EjESC_NS0_6memory15LoadWithoutCastENSD_16StoreWithoutCastEEEviT_T0_T2_T3_T4_T5_, .Lfunc_end18-_ZN2at6native27unrolled_elementwise_kernelIZZZNS0_12_GLOBAL__N_121bessel_j0_kernel_cudaERNS_18TensorIteratorBaseEENKUlvE_clEvENKUlvE0_clEvEUlfE_St5arrayIPcLm2EELi4E23TrivialOffsetCalculatorILi1EjESC_NS0_6memory15LoadWithoutCastENSD_16StoreWithoutCastEEEviT_T0_T2_T3_T4_T5_
                                        ; -- End function
	.set _ZN2at6native27unrolled_elementwise_kernelIZZZNS0_12_GLOBAL__N_121bessel_j0_kernel_cudaERNS_18TensorIteratorBaseEENKUlvE_clEvENKUlvE0_clEvEUlfE_St5arrayIPcLm2EELi4E23TrivialOffsetCalculatorILi1EjESC_NS0_6memory15LoadWithoutCastENSD_16StoreWithoutCastEEEviT_T0_T2_T3_T4_T5_.num_vgpr, max(32, .L_ZN2at6native25elementwise_kernel_helperILb0EZZZNS0_12_GLOBAL__N_121bessel_j0_kernel_cudaERNS_18TensorIteratorBaseEENKUlvE_clEvENKUlvE0_clEvEUlfE_NS0_6memory8policies11unroll_baseILi256ESt5arrayIPcLm2EE23TrivialOffsetCalculatorILi1EjESF_NS8_15LoadWithoutCastENS8_16StoreWithoutCastELi4ELi1EEEEEvT0_T1_.num_vgpr)
	.set _ZN2at6native27unrolled_elementwise_kernelIZZZNS0_12_GLOBAL__N_121bessel_j0_kernel_cudaERNS_18TensorIteratorBaseEENKUlvE_clEvENKUlvE0_clEvEUlfE_St5arrayIPcLm2EELi4E23TrivialOffsetCalculatorILi1EjESC_NS0_6memory15LoadWithoutCastENSD_16StoreWithoutCastEEEviT_T0_T2_T3_T4_T5_.num_agpr, max(0, .L_ZN2at6native25elementwise_kernel_helperILb0EZZZNS0_12_GLOBAL__N_121bessel_j0_kernel_cudaERNS_18TensorIteratorBaseEENKUlvE_clEvENKUlvE0_clEvEUlfE_NS0_6memory8policies11unroll_baseILi256ESt5arrayIPcLm2EE23TrivialOffsetCalculatorILi1EjESF_NS8_15LoadWithoutCastENS8_16StoreWithoutCastELi4ELi1EEEEEvT0_T1_.num_agpr)
	.set _ZN2at6native27unrolled_elementwise_kernelIZZZNS0_12_GLOBAL__N_121bessel_j0_kernel_cudaERNS_18TensorIteratorBaseEENKUlvE_clEvENKUlvE0_clEvEUlfE_St5arrayIPcLm2EELi4E23TrivialOffsetCalculatorILi1EjESC_NS0_6memory15LoadWithoutCastENSD_16StoreWithoutCastEEEviT_T0_T2_T3_T4_T5_.numbered_sgpr, max(33, .L_ZN2at6native25elementwise_kernel_helperILb0EZZZNS0_12_GLOBAL__N_121bessel_j0_kernel_cudaERNS_18TensorIteratorBaseEENKUlvE_clEvENKUlvE0_clEvEUlfE_NS0_6memory8policies11unroll_baseILi256ESt5arrayIPcLm2EE23TrivialOffsetCalculatorILi1EjESF_NS8_15LoadWithoutCastENS8_16StoreWithoutCastELi4ELi1EEEEEvT0_T1_.numbered_sgpr)
	.set _ZN2at6native27unrolled_elementwise_kernelIZZZNS0_12_GLOBAL__N_121bessel_j0_kernel_cudaERNS_18TensorIteratorBaseEENKUlvE_clEvENKUlvE0_clEvEUlfE_St5arrayIPcLm2EELi4E23TrivialOffsetCalculatorILi1EjESC_NS0_6memory15LoadWithoutCastENSD_16StoreWithoutCastEEEviT_T0_T2_T3_T4_T5_.num_named_barrier, max(0, .L_ZN2at6native25elementwise_kernel_helperILb0EZZZNS0_12_GLOBAL__N_121bessel_j0_kernel_cudaERNS_18TensorIteratorBaseEENKUlvE_clEvENKUlvE0_clEvEUlfE_NS0_6memory8policies11unroll_baseILi256ESt5arrayIPcLm2EE23TrivialOffsetCalculatorILi1EjESF_NS8_15LoadWithoutCastENS8_16StoreWithoutCastELi4ELi1EEEEEvT0_T1_.num_named_barrier)
	.set _ZN2at6native27unrolled_elementwise_kernelIZZZNS0_12_GLOBAL__N_121bessel_j0_kernel_cudaERNS_18TensorIteratorBaseEENKUlvE_clEvENKUlvE0_clEvEUlfE_St5arrayIPcLm2EELi4E23TrivialOffsetCalculatorILi1EjESC_NS0_6memory15LoadWithoutCastENSD_16StoreWithoutCastEEEviT_T0_T2_T3_T4_T5_.private_seg_size, 0+max(.L_ZN2at6native25elementwise_kernel_helperILb0EZZZNS0_12_GLOBAL__N_121bessel_j0_kernel_cudaERNS_18TensorIteratorBaseEENKUlvE_clEvENKUlvE0_clEvEUlfE_NS0_6memory8policies11unroll_baseILi256ESt5arrayIPcLm2EE23TrivialOffsetCalculatorILi1EjESF_NS8_15LoadWithoutCastENS8_16StoreWithoutCastELi4ELi1EEEEEvT0_T1_.private_seg_size)
	.set _ZN2at6native27unrolled_elementwise_kernelIZZZNS0_12_GLOBAL__N_121bessel_j0_kernel_cudaERNS_18TensorIteratorBaseEENKUlvE_clEvENKUlvE0_clEvEUlfE_St5arrayIPcLm2EELi4E23TrivialOffsetCalculatorILi1EjESC_NS0_6memory15LoadWithoutCastENSD_16StoreWithoutCastEEEviT_T0_T2_T3_T4_T5_.uses_vcc, or(1, .L_ZN2at6native25elementwise_kernel_helperILb0EZZZNS0_12_GLOBAL__N_121bessel_j0_kernel_cudaERNS_18TensorIteratorBaseEENKUlvE_clEvENKUlvE0_clEvEUlfE_NS0_6memory8policies11unroll_baseILi256ESt5arrayIPcLm2EE23TrivialOffsetCalculatorILi1EjESF_NS8_15LoadWithoutCastENS8_16StoreWithoutCastELi4ELi1EEEEEvT0_T1_.uses_vcc)
	.set _ZN2at6native27unrolled_elementwise_kernelIZZZNS0_12_GLOBAL__N_121bessel_j0_kernel_cudaERNS_18TensorIteratorBaseEENKUlvE_clEvENKUlvE0_clEvEUlfE_St5arrayIPcLm2EELi4E23TrivialOffsetCalculatorILi1EjESC_NS0_6memory15LoadWithoutCastENSD_16StoreWithoutCastEEEviT_T0_T2_T3_T4_T5_.uses_flat_scratch, or(0, .L_ZN2at6native25elementwise_kernel_helperILb0EZZZNS0_12_GLOBAL__N_121bessel_j0_kernel_cudaERNS_18TensorIteratorBaseEENKUlvE_clEvENKUlvE0_clEvEUlfE_NS0_6memory8policies11unroll_baseILi256ESt5arrayIPcLm2EE23TrivialOffsetCalculatorILi1EjESF_NS8_15LoadWithoutCastENS8_16StoreWithoutCastELi4ELi1EEEEEvT0_T1_.uses_flat_scratch)
	.set _ZN2at6native27unrolled_elementwise_kernelIZZZNS0_12_GLOBAL__N_121bessel_j0_kernel_cudaERNS_18TensorIteratorBaseEENKUlvE_clEvENKUlvE0_clEvEUlfE_St5arrayIPcLm2EELi4E23TrivialOffsetCalculatorILi1EjESC_NS0_6memory15LoadWithoutCastENSD_16StoreWithoutCastEEEviT_T0_T2_T3_T4_T5_.has_dyn_sized_stack, or(0, .L_ZN2at6native25elementwise_kernel_helperILb0EZZZNS0_12_GLOBAL__N_121bessel_j0_kernel_cudaERNS_18TensorIteratorBaseEENKUlvE_clEvENKUlvE0_clEvEUlfE_NS0_6memory8policies11unroll_baseILi256ESt5arrayIPcLm2EE23TrivialOffsetCalculatorILi1EjESF_NS8_15LoadWithoutCastENS8_16StoreWithoutCastELi4ELi1EEEEEvT0_T1_.has_dyn_sized_stack)
	.set _ZN2at6native27unrolled_elementwise_kernelIZZZNS0_12_GLOBAL__N_121bessel_j0_kernel_cudaERNS_18TensorIteratorBaseEENKUlvE_clEvENKUlvE0_clEvEUlfE_St5arrayIPcLm2EELi4E23TrivialOffsetCalculatorILi1EjESC_NS0_6memory15LoadWithoutCastENSD_16StoreWithoutCastEEEviT_T0_T2_T3_T4_T5_.has_recursion, or(0, .L_ZN2at6native25elementwise_kernel_helperILb0EZZZNS0_12_GLOBAL__N_121bessel_j0_kernel_cudaERNS_18TensorIteratorBaseEENKUlvE_clEvENKUlvE0_clEvEUlfE_NS0_6memory8policies11unroll_baseILi256ESt5arrayIPcLm2EE23TrivialOffsetCalculatorILi1EjESF_NS8_15LoadWithoutCastENS8_16StoreWithoutCastELi4ELi1EEEEEvT0_T1_.has_recursion)
	.set _ZN2at6native27unrolled_elementwise_kernelIZZZNS0_12_GLOBAL__N_121bessel_j0_kernel_cudaERNS_18TensorIteratorBaseEENKUlvE_clEvENKUlvE0_clEvEUlfE_St5arrayIPcLm2EELi4E23TrivialOffsetCalculatorILi1EjESC_NS0_6memory15LoadWithoutCastENSD_16StoreWithoutCastEEEviT_T0_T2_T3_T4_T5_.has_indirect_call, or(0, .L_ZN2at6native25elementwise_kernel_helperILb0EZZZNS0_12_GLOBAL__N_121bessel_j0_kernel_cudaERNS_18TensorIteratorBaseEENKUlvE_clEvENKUlvE0_clEvEUlfE_NS0_6memory8policies11unroll_baseILi256ESt5arrayIPcLm2EE23TrivialOffsetCalculatorILi1EjESF_NS8_15LoadWithoutCastENS8_16StoreWithoutCastELi4ELi1EEEEEvT0_T1_.has_indirect_call)
	.section	.AMDGPU.csdata,"",@progbits
; Kernel info:
; codeLenInByte = 96
; TotalNumSgprs: 37
; NumVgprs: 32
; ScratchSize: 0
; MemoryBound: 0
; FloatMode: 240
; IeeeMode: 1
; LDSByteSize: 0 bytes/workgroup (compile time only)
; SGPRBlocks: 4
; VGPRBlocks: 7
; NumSGPRsForWavesPerEU: 37
; NumVGPRsForWavesPerEU: 32
; Occupancy: 8
; WaveLimiterHint : 0
; COMPUTE_PGM_RSRC2:SCRATCH_EN: 0
; COMPUTE_PGM_RSRC2:USER_SGPR: 6
; COMPUTE_PGM_RSRC2:TRAP_HANDLER: 0
; COMPUTE_PGM_RSRC2:TGID_X_EN: 1
; COMPUTE_PGM_RSRC2:TGID_Y_EN: 0
; COMPUTE_PGM_RSRC2:TGID_Z_EN: 0
; COMPUTE_PGM_RSRC2:TIDIG_COMP_CNT: 0
	.section	.text._ZN2at6native32elementwise_kernel_manual_unrollILi128ELi4EZNS0_22gpu_kernel_impl_nocastIZZZNS0_12_GLOBAL__N_121bessel_j0_kernel_cudaERNS_18TensorIteratorBaseEENKUlvE_clEvENKUlvE0_clEvEUlfE_EEvS5_RKT_EUlibE_EEviT1_,"axG",@progbits,_ZN2at6native32elementwise_kernel_manual_unrollILi128ELi4EZNS0_22gpu_kernel_impl_nocastIZZZNS0_12_GLOBAL__N_121bessel_j0_kernel_cudaERNS_18TensorIteratorBaseEENKUlvE_clEvENKUlvE0_clEvEUlfE_EEvS5_RKT_EUlibE_EEviT1_,comdat
	.globl	_ZN2at6native32elementwise_kernel_manual_unrollILi128ELi4EZNS0_22gpu_kernel_impl_nocastIZZZNS0_12_GLOBAL__N_121bessel_j0_kernel_cudaERNS_18TensorIteratorBaseEENKUlvE_clEvENKUlvE0_clEvEUlfE_EEvS5_RKT_EUlibE_EEviT1_ ; -- Begin function _ZN2at6native32elementwise_kernel_manual_unrollILi128ELi4EZNS0_22gpu_kernel_impl_nocastIZZZNS0_12_GLOBAL__N_121bessel_j0_kernel_cudaERNS_18TensorIteratorBaseEENKUlvE_clEvENKUlvE0_clEvEUlfE_EEvS5_RKT_EUlibE_EEviT1_
	.p2align	8
	.type	_ZN2at6native32elementwise_kernel_manual_unrollILi128ELi4EZNS0_22gpu_kernel_impl_nocastIZZZNS0_12_GLOBAL__N_121bessel_j0_kernel_cudaERNS_18TensorIteratorBaseEENKUlvE_clEvENKUlvE0_clEvEUlfE_EEvS5_RKT_EUlibE_EEviT1_,@function
_ZN2at6native32elementwise_kernel_manual_unrollILi128ELi4EZNS0_22gpu_kernel_impl_nocastIZZZNS0_12_GLOBAL__N_121bessel_j0_kernel_cudaERNS_18TensorIteratorBaseEENKUlvE_clEvENKUlvE0_clEvEUlfE_EEvS5_RKT_EUlibE_EEviT1_: ; @_ZN2at6native32elementwise_kernel_manual_unrollILi128ELi4EZNS0_22gpu_kernel_impl_nocastIZZZNS0_12_GLOBAL__N_121bessel_j0_kernel_cudaERNS_18TensorIteratorBaseEENKUlvE_clEvENKUlvE0_clEvEUlfE_EEvS5_RKT_EUlibE_EEviT1_
; %bb.0:
	s_load_dword s55, s[4:5], 0x0
	s_load_dword s33, s[4:5], 0x8
	s_add_u32 s34, s4, 8
	s_addc_u32 s35, s5, 0
	v_lshl_or_b32 v4, s6, 9, v0
	v_or_b32_e32 v13, 0x180, v4
	s_waitcnt lgkmcnt(0)
	s_add_i32 s54, s33, -1
	s_cmp_gt_u32 s54, 1
	v_cmp_le_i32_e32 vcc, s55, v13
	s_cselect_b64 s[36:37], -1, 0
	s_and_saveexec_b64 s[0:1], vcc
	s_xor_b64 s[38:39], exec, s[0:1]
	s_cbranch_execz .LBB19_7
; %bb.1:
	s_load_dwordx4 s[24:27], s[34:35], 0x4
	s_load_dwordx2 s[40:41], s[34:35], 0x14
	s_load_dwordx4 s[20:23], s[34:35], 0xc4
	s_load_dwordx4 s[16:19], s[34:35], 0x148
	s_cmp_lg_u32 s33, 0
	s_cselect_b64 s[46:47], -1, 0
	s_add_u32 s44, s34, 0xc4
	s_addc_u32 s45, s35, 0
	s_min_u32 s56, s54, 15
	s_cmp_gt_u32 s33, 1
	s_cselect_b64 s[42:43], -1, 0
	v_cmp_gt_i32_e32 vcc, s55, v4
	s_and_saveexec_b64 s[48:49], vcc
	s_cbranch_execz .LBB19_14
; %bb.2:
	s_andn2_b64 vcc, exec, s[36:37]
	s_cbranch_vccnz .LBB19_21
; %bb.3:
	s_andn2_b64 vcc, exec, s[46:47]
	s_cbranch_vccnz .LBB19_137
; %bb.4:
	s_add_i32 s58, s56, 1
	s_cmp_eq_u32 s54, 2
	s_cbranch_scc1 .LBB19_139
; %bb.5:
	s_and_b32 s57, s58, 28
	v_mov_b32_e32 v2, 0
	s_mov_b32 s59, 0
	s_mov_b64 s[50:51], s[34:35]
	s_mov_b64 s[52:53], s[44:45]
	v_mov_b32_e32 v0, 0
	v_mov_b32_e32 v1, v4
.LBB19_6:                               ; =>This Inner Loop Header: Depth=1
	s_load_dwordx8 s[8:15], s[50:51], 0x4
	s_load_dwordx4 s[28:31], s[50:51], 0x24
	s_load_dwordx8 s[0:7], s[52:53], 0x0
	s_add_u32 s50, s50, 48
	s_addc_u32 s51, s51, 0
	s_waitcnt lgkmcnt(0)
	v_mul_hi_u32 v3, s9, v1
	s_add_i32 s59, s59, 4
	s_add_u32 s52, s52, 32
	s_addc_u32 s53, s53, 0
	v_add_u32_e32 v3, v1, v3
	v_lshrrev_b32_e32 v3, s10, v3
	v_mul_lo_u32 v5, v3, s8
	v_mul_hi_u32 v6, s12, v3
	s_cmp_lg_u32 s57, s59
	v_sub_u32_e32 v1, v1, v5
	v_add_u32_e32 v5, v3, v6
	v_mul_lo_u32 v6, v1, s0
	v_mul_lo_u32 v7, v1, s1
	v_lshrrev_b32_e32 v1, s13, v5
	v_mul_lo_u32 v5, v1, s11
	v_mul_hi_u32 v8, s15, v1
	v_sub_u32_e32 v3, v3, v5
	v_add_u32_e32 v5, v1, v8
	v_lshrrev_b32_e32 v5, s28, v5
	v_mul_hi_u32 v9, s30, v5
	v_mul_lo_u32 v10, v5, s14
	v_mul_lo_u32 v8, v3, s2
	;; [unrolled: 1-line block ×3, first 2 shown]
	v_sub_u32_e32 v10, v1, v10
	v_add_u32_e32 v1, v5, v9
	v_lshrrev_b32_e32 v1, s31, v1
	v_mul_lo_u32 v9, v1, s29
	v_mul_lo_u32 v11, v10, s4
	;; [unrolled: 1-line block ×3, first 2 shown]
	v_add3_u32 v0, v6, v0, v8
	v_sub_u32_e32 v5, v5, v9
	v_mul_lo_u32 v9, v5, s6
	v_mul_lo_u32 v5, v5, s7
	v_add3_u32 v2, v7, v2, v3
	v_add3_u32 v0, v11, v0, v9
	;; [unrolled: 1-line block ×3, first 2 shown]
	s_cbranch_scc1 .LBB19_6
	s_branch .LBB19_140
.LBB19_7:
	s_andn2_saveexec_b64 s[0:1], s[38:39]
	s_cbranch_execz .LBB19_197
.LBB19_8:
	v_cndmask_b32_e64 v0, 0, 1, s[36:37]
	v_cmp_ne_u32_e64 s[0:1], 1, v0
	s_andn2_b64 vcc, exec, s[36:37]
	s_cbranch_vccnz .LBB19_20
; %bb.9:
	s_cmp_lg_u32 s33, 0
	s_waitcnt lgkmcnt(0)
	s_mov_b32 s26, 0
	s_cbranch_scc0 .LBB19_23
; %bb.10:
	s_min_u32 s27, s54, 15
	s_add_i32 s27, s27, 1
	s_cmp_eq_u32 s54, 2
	s_cbranch_scc1 .LBB19_24
; %bb.11:
	s_and_b32 s26, s27, 28
	s_add_u32 s2, s34, 0xc4
	s_addc_u32 s3, s35, 0
	v_mov_b32_e32 v11, 0
	s_mov_b32 s28, 0
	s_mov_b64 s[24:25], s[34:35]
	v_mov_b32_e32 v0, 0
	v_mov_b32_e32 v1, v4
.LBB19_12:                              ; =>This Inner Loop Header: Depth=1
	s_load_dwordx8 s[12:19], s[24:25], 0x4
	s_load_dwordx4 s[20:23], s[24:25], 0x24
	s_load_dwordx8 s[4:11], s[2:3], 0x0
	s_add_u32 s24, s24, 48
	s_addc_u32 s25, s25, 0
	s_waitcnt lgkmcnt(0)
	v_mul_hi_u32 v2, s13, v1
	s_add_i32 s28, s28, 4
	s_add_u32 s2, s2, 32
	s_addc_u32 s3, s3, 0
	v_add_u32_e32 v2, v1, v2
	v_lshrrev_b32_e32 v2, s14, v2
	v_mul_lo_u32 v3, v2, s12
	v_mul_hi_u32 v5, s16, v2
	s_cmp_lg_u32 s26, s28
	v_sub_u32_e32 v1, v1, v3
	v_add_u32_e32 v3, v2, v5
	v_mul_lo_u32 v5, v1, s4
	v_mul_lo_u32 v6, v1, s5
	v_lshrrev_b32_e32 v1, s17, v3
	v_mul_lo_u32 v3, v1, s15
	v_mul_hi_u32 v7, s19, v1
	v_sub_u32_e32 v2, v2, v3
	v_add_u32_e32 v3, v1, v7
	v_lshrrev_b32_e32 v3, s20, v3
	v_mul_hi_u32 v8, s22, v3
	v_mul_lo_u32 v9, v3, s18
	v_mul_lo_u32 v7, v2, s6
	;; [unrolled: 1-line block ×3, first 2 shown]
	v_sub_u32_e32 v9, v1, v9
	v_add_u32_e32 v1, v3, v8
	v_lshrrev_b32_e32 v1, s23, v1
	v_mul_lo_u32 v8, v1, s21
	v_mul_lo_u32 v10, v9, s8
	;; [unrolled: 1-line block ×3, first 2 shown]
	v_add3_u32 v0, v5, v0, v7
	v_sub_u32_e32 v3, v3, v8
	v_mul_lo_u32 v8, v3, s10
	v_mul_lo_u32 v3, v3, s11
	v_add3_u32 v2, v6, v11, v2
	v_add3_u32 v0, v10, v0, v8
	;; [unrolled: 1-line block ×3, first 2 shown]
	s_cbranch_scc1 .LBB19_12
; %bb.13:
	s_and_b32 s6, s27, 3
	s_cmp_eq_u32 s6, 0
	s_cbranch_scc0 .LBB19_25
	s_branch .LBB19_27
.LBB19_14:
	s_or_b64 exec, exec, s[48:49]
	v_cmp_gt_i32_e32 vcc, s55, v4
	s_and_saveexec_b64 s[48:49], vcc
	s_cbranch_execz .LBB19_163
.LBB19_15:
	s_andn2_b64 vcc, exec, s[36:37]
	s_cbranch_vccnz .LBB19_22
; %bb.16:
	s_andn2_b64 vcc, exec, s[46:47]
	s_cbranch_vccnz .LBB19_138
; %bb.17:
	s_add_i32 s58, s56, 1
	s_cmp_eq_u32 s54, 2
	s_cbranch_scc1 .LBB19_171
; %bb.18:
	s_and_b32 s57, s58, 28
	v_mov_b32_e32 v2, 0
	s_mov_b32 s59, 0
	s_mov_b64 s[50:51], s[34:35]
	s_mov_b64 s[52:53], s[44:45]
	v_mov_b32_e32 v0, 0
	v_mov_b32_e32 v1, v4
.LBB19_19:                              ; =>This Inner Loop Header: Depth=1
	s_load_dwordx8 s[8:15], s[50:51], 0x4
	s_load_dwordx4 s[28:31], s[50:51], 0x24
	s_load_dwordx8 s[0:7], s[52:53], 0x0
	s_add_u32 s50, s50, 48
	s_addc_u32 s51, s51, 0
	s_waitcnt lgkmcnt(0)
	v_mul_hi_u32 v3, s9, v1
	s_add_i32 s59, s59, 4
	s_add_u32 s52, s52, 32
	s_addc_u32 s53, s53, 0
	v_add_u32_e32 v3, v1, v3
	v_lshrrev_b32_e32 v3, s10, v3
	v_mul_lo_u32 v5, v3, s8
	v_mul_hi_u32 v6, s12, v3
	s_cmp_eq_u32 s57, s59
	v_sub_u32_e32 v1, v1, v5
	v_add_u32_e32 v5, v3, v6
	v_mul_lo_u32 v6, v1, s0
	v_mul_lo_u32 v7, v1, s1
	v_lshrrev_b32_e32 v1, s13, v5
	v_mul_lo_u32 v5, v1, s11
	v_mul_hi_u32 v8, s15, v1
	v_sub_u32_e32 v3, v3, v5
	v_add_u32_e32 v5, v1, v8
	v_lshrrev_b32_e32 v5, s28, v5
	v_mul_hi_u32 v9, s30, v5
	v_mul_lo_u32 v10, v5, s14
	v_mul_lo_u32 v8, v3, s2
	;; [unrolled: 1-line block ×3, first 2 shown]
	v_sub_u32_e32 v10, v1, v10
	v_add_u32_e32 v1, v5, v9
	v_lshrrev_b32_e32 v1, s31, v1
	v_mul_lo_u32 v9, v1, s29
	v_mul_lo_u32 v11, v10, s4
	;; [unrolled: 1-line block ×3, first 2 shown]
	v_add3_u32 v0, v6, v0, v8
	v_sub_u32_e32 v5, v5, v9
	v_mul_lo_u32 v9, v5, s6
	v_mul_lo_u32 v5, v5, s7
	v_add3_u32 v2, v7, v2, v3
	v_add3_u32 v0, v11, v0, v9
	;; [unrolled: 1-line block ×3, first 2 shown]
	s_cbranch_scc0 .LBB19_19
	s_branch .LBB19_172
.LBB19_20:
                                        ; implicit-def: $vgpr0
                                        ; implicit-def: $vgpr11
	s_branch .LBB19_28
.LBB19_21:
                                        ; implicit-def: $vgpr0
                                        ; implicit-def: $vgpr2
	s_branch .LBB19_144
.LBB19_22:
                                        ; implicit-def: $vgpr0
                                        ; implicit-def: $vgpr2
	s_branch .LBB19_176
.LBB19_23:
	v_mov_b32_e32 v0, 0
	v_mov_b32_e32 v11, 0
	s_branch .LBB19_27
.LBB19_24:
	v_mov_b32_e32 v0, 0
	v_mov_b32_e32 v11, 0
	v_mov_b32_e32 v1, v4
	s_and_b32 s6, s27, 3
	s_cmp_eq_u32 s6, 0
	s_cbranch_scc1 .LBB19_27
.LBB19_25:
	s_lshl_b32 s2, s26, 3
	s_add_u32 s2, s34, s2
	s_addc_u32 s3, s35, 0
	s_add_u32 s2, s2, 0xc4
	s_addc_u32 s3, s3, 0
	s_mul_i32 s4, s26, 12
	s_add_u32 s4, s34, s4
	s_addc_u32 s5, s35, 0
.LBB19_26:                              ; =>This Inner Loop Header: Depth=1
	s_load_dwordx2 s[8:9], s[4:5], 0x4
	s_load_dword s7, s[4:5], 0xc
	s_load_dwordx2 s[10:11], s[2:3], 0x0
	s_add_u32 s4, s4, 12
	s_addc_u32 s5, s5, 0
	s_waitcnt lgkmcnt(0)
	v_mul_hi_u32 v2, s9, v1
	s_add_u32 s2, s2, 8
	s_addc_u32 s3, s3, 0
	s_add_i32 s6, s6, -1
	v_add_u32_e32 v2, v1, v2
	v_lshrrev_b32_e32 v2, s7, v2
	v_mul_lo_u32 v3, v2, s8
	s_cmp_lg_u32 s6, 0
	v_sub_u32_e32 v3, v1, v3
	v_mad_u64_u32 v[0:1], s[8:9], v3, s10, v[0:1]
	v_mad_u64_u32 v[11:12], s[8:9], v3, s11, v[11:12]
	v_mov_b32_e32 v1, v2
	s_cbranch_scc1 .LBB19_26
.LBB19_27:
	s_cbranch_execnz .LBB19_30
.LBB19_28:
	s_load_dwordx4 s[4:7], s[34:35], 0x4
	s_load_dwordx2 s[2:3], s[34:35], 0xc4
	s_cmp_lt_u32 s33, 2
	s_waitcnt lgkmcnt(0)
	v_mul_hi_u32 v0, s5, v4
	v_add_u32_e32 v0, v4, v0
	v_lshrrev_b32_e32 v1, s6, v0
	v_mul_lo_u32 v0, v1, s4
	v_sub_u32_e32 v2, v4, v0
	v_mul_lo_u32 v0, v2, s2
	v_mul_lo_u32 v11, v2, s3
	s_cbranch_scc1 .LBB19_30
; %bb.29:
	s_load_dwordx4 s[4:7], s[34:35], 0x10
	s_load_dwordx2 s[2:3], s[34:35], 0xcc
	s_waitcnt lgkmcnt(0)
	v_mul_hi_u32 v2, s5, v1
	v_add_u32_e32 v2, v1, v2
	v_lshrrev_b32_e32 v2, s6, v2
	v_mul_lo_u32 v2, v2, s4
	v_sub_u32_e32 v2, v1, v2
	v_mad_u64_u32 v[0:1], s[4:5], v2, s2, v[0:1]
	v_mad_u64_u32 v[11:12], s[2:3], v2, s3, v[11:12]
.LBB19_30:
	s_and_b64 vcc, exec, s[0:1]
	v_add_u32_e32 v3, 0x80, v4
	s_cbranch_vccnz .LBB19_36
; %bb.31:
	s_cmp_lg_u32 s33, 0
	s_waitcnt lgkmcnt(0)
	s_mov_b32 s26, 0
	s_cbranch_scc0 .LBB19_37
; %bb.32:
	s_min_u32 s27, s54, 15
	s_add_i32 s27, s27, 1
	s_cmp_eq_u32 s54, 2
	s_cbranch_scc1 .LBB19_38
; %bb.33:
	s_and_b32 s26, s27, 28
	s_add_u32 s2, s34, 0xc4
	s_addc_u32 s3, s35, 0
	v_mov_b32_e32 v9, 0
	s_mov_b32 s28, 0
	s_mov_b64 s[24:25], s[34:35]
	v_mov_b32_e32 v1, 0
	v_mov_b32_e32 v2, v3
.LBB19_34:                              ; =>This Inner Loop Header: Depth=1
	s_load_dwordx8 s[12:19], s[24:25], 0x4
	s_load_dwordx4 s[20:23], s[24:25], 0x24
	s_load_dwordx8 s[4:11], s[2:3], 0x0
	s_add_u32 s24, s24, 48
	s_addc_u32 s25, s25, 0
	s_waitcnt lgkmcnt(0)
	v_mul_hi_u32 v5, s13, v2
	s_add_i32 s28, s28, 4
	s_add_u32 s2, s2, 32
	s_addc_u32 s3, s3, 0
	v_add_u32_e32 v5, v2, v5
	v_lshrrev_b32_e32 v5, s14, v5
	v_mul_lo_u32 v6, v5, s12
	v_mul_hi_u32 v7, s16, v5
	s_cmp_lg_u32 s26, s28
	v_sub_u32_e32 v2, v2, v6
	v_add_u32_e32 v6, v5, v7
	v_mul_lo_u32 v7, v2, s4
	v_mul_lo_u32 v8, v2, s5
	v_lshrrev_b32_e32 v2, s17, v6
	v_mul_lo_u32 v6, v2, s15
	v_mul_hi_u32 v10, s19, v2
	v_sub_u32_e32 v5, v5, v6
	v_add_u32_e32 v6, v2, v10
	v_lshrrev_b32_e32 v6, s20, v6
	v_mul_hi_u32 v12, s22, v6
	v_mul_lo_u32 v14, v6, s18
	v_mul_lo_u32 v10, v5, s6
	;; [unrolled: 1-line block ×3, first 2 shown]
	v_sub_u32_e32 v14, v2, v14
	v_add_u32_e32 v2, v6, v12
	v_lshrrev_b32_e32 v2, s23, v2
	v_mul_lo_u32 v12, v2, s21
	v_mul_lo_u32 v15, v14, s8
	;; [unrolled: 1-line block ×3, first 2 shown]
	v_add3_u32 v1, v7, v1, v10
	v_sub_u32_e32 v6, v6, v12
	v_mul_lo_u32 v12, v6, s10
	v_mul_lo_u32 v6, v6, s11
	v_add3_u32 v5, v8, v9, v5
	v_add3_u32 v1, v15, v1, v12
	v_add3_u32 v9, v14, v5, v6
	s_cbranch_scc1 .LBB19_34
; %bb.35:
	s_and_b32 s6, s27, 3
	s_cmp_eq_u32 s6, 0
	s_cbranch_scc0 .LBB19_39
	s_branch .LBB19_41
.LBB19_36:
                                        ; implicit-def: $vgpr1
                                        ; implicit-def: $vgpr9
	s_branch .LBB19_42
.LBB19_37:
	v_mov_b32_e32 v1, 0
	v_mov_b32_e32 v9, 0
	s_branch .LBB19_41
.LBB19_38:
	v_mov_b32_e32 v1, 0
	v_mov_b32_e32 v9, 0
	v_mov_b32_e32 v2, v3
	s_and_b32 s6, s27, 3
	s_cmp_eq_u32 s6, 0
	s_cbranch_scc1 .LBB19_41
.LBB19_39:
	s_lshl_b32 s2, s26, 3
	s_add_u32 s2, s34, s2
	s_addc_u32 s3, s35, 0
	s_add_u32 s2, s2, 0xc4
	s_addc_u32 s3, s3, 0
	s_mul_i32 s4, s26, 12
	s_add_u32 s4, s34, s4
	s_addc_u32 s5, s35, 0
.LBB19_40:                              ; =>This Inner Loop Header: Depth=1
	s_load_dwordx2 s[8:9], s[4:5], 0x4
	s_load_dword s7, s[4:5], 0xc
	s_load_dwordx2 s[10:11], s[2:3], 0x0
	s_add_u32 s4, s4, 12
	s_addc_u32 s5, s5, 0
	s_waitcnt lgkmcnt(0)
	v_mul_hi_u32 v5, s9, v2
	s_add_u32 s2, s2, 8
	s_addc_u32 s3, s3, 0
	s_add_i32 s6, s6, -1
	v_add_u32_e32 v5, v2, v5
	v_lshrrev_b32_e32 v5, s7, v5
	v_mul_lo_u32 v6, v5, s8
	s_cmp_lg_u32 s6, 0
	v_sub_u32_e32 v6, v2, v6
	v_mad_u64_u32 v[1:2], s[8:9], v6, s10, v[1:2]
	v_mad_u64_u32 v[9:10], s[8:9], v6, s11, v[9:10]
	v_mov_b32_e32 v2, v5
	s_cbranch_scc1 .LBB19_40
.LBB19_41:
	s_cbranch_execnz .LBB19_44
.LBB19_42:
	s_load_dwordx4 s[4:7], s[34:35], 0x4
	s_load_dwordx2 s[2:3], s[34:35], 0xc4
	s_cmp_lt_u32 s33, 2
	s_waitcnt lgkmcnt(0)
	v_mul_hi_u32 v1, s5, v3
	v_add_u32_e32 v1, v3, v1
	v_lshrrev_b32_e32 v2, s6, v1
	v_mul_lo_u32 v1, v2, s4
	v_sub_u32_e32 v3, v3, v1
	v_mul_lo_u32 v1, v3, s2
	v_mul_lo_u32 v9, v3, s3
	s_cbranch_scc1 .LBB19_44
; %bb.43:
	s_load_dwordx4 s[4:7], s[34:35], 0x10
	s_load_dwordx2 s[2:3], s[34:35], 0xcc
	s_waitcnt lgkmcnt(0)
	v_mul_hi_u32 v3, s5, v2
	v_add_u32_e32 v3, v2, v3
	v_lshrrev_b32_e32 v3, s6, v3
	v_mul_lo_u32 v3, v3, s4
	v_sub_u32_e32 v3, v2, v3
	v_mad_u64_u32 v[1:2], s[4:5], v3, s2, v[1:2]
	v_mad_u64_u32 v[9:10], s[2:3], v3, s3, v[9:10]
.LBB19_44:
	s_and_b64 vcc, exec, s[0:1]
	v_add_u32_e32 v4, 0x100, v4
	s_cbranch_vccnz .LBB19_50
; %bb.45:
	s_cmp_lg_u32 s33, 0
	s_waitcnt lgkmcnt(0)
	s_mov_b32 s26, 0
	s_cbranch_scc0 .LBB19_51
; %bb.46:
	s_min_u32 s27, s54, 15
	s_add_i32 s27, s27, 1
	s_cmp_eq_u32 s54, 2
	s_cbranch_scc1 .LBB19_52
; %bb.47:
	s_and_b32 s26, s27, 28
	s_add_u32 s2, s34, 0xc4
	s_addc_u32 s3, s35, 0
	v_mov_b32_e32 v7, 0
	s_mov_b32 s28, 0
	s_mov_b64 s[24:25], s[34:35]
	v_mov_b32_e32 v2, 0
	v_mov_b32_e32 v3, v4
.LBB19_48:                              ; =>This Inner Loop Header: Depth=1
	s_load_dwordx8 s[12:19], s[24:25], 0x4
	s_load_dwordx4 s[20:23], s[24:25], 0x24
	s_load_dwordx8 s[4:11], s[2:3], 0x0
	s_add_u32 s24, s24, 48
	s_addc_u32 s25, s25, 0
	s_waitcnt lgkmcnt(0)
	v_mul_hi_u32 v5, s13, v3
	s_add_i32 s28, s28, 4
	s_add_u32 s2, s2, 32
	s_addc_u32 s3, s3, 0
	v_add_u32_e32 v5, v3, v5
	v_lshrrev_b32_e32 v5, s14, v5
	v_mul_lo_u32 v6, v5, s12
	v_mul_hi_u32 v8, s16, v5
	s_cmp_lg_u32 s26, s28
	v_sub_u32_e32 v3, v3, v6
	v_add_u32_e32 v6, v5, v8
	v_mul_lo_u32 v8, v3, s4
	v_mul_lo_u32 v10, v3, s5
	v_lshrrev_b32_e32 v3, s17, v6
	v_mul_lo_u32 v6, v3, s15
	v_mul_hi_u32 v12, s19, v3
	v_sub_u32_e32 v5, v5, v6
	v_add_u32_e32 v6, v3, v12
	v_lshrrev_b32_e32 v6, s20, v6
	v_mul_hi_u32 v14, s22, v6
	v_mul_lo_u32 v15, v6, s18
	v_mul_lo_u32 v12, v5, s6
	;; [unrolled: 1-line block ×3, first 2 shown]
	v_sub_u32_e32 v15, v3, v15
	v_add_u32_e32 v3, v6, v14
	v_lshrrev_b32_e32 v3, s23, v3
	v_mul_lo_u32 v14, v3, s21
	v_mul_lo_u32 v16, v15, s8
	;; [unrolled: 1-line block ×3, first 2 shown]
	v_add3_u32 v2, v8, v2, v12
	v_sub_u32_e32 v6, v6, v14
	v_mul_lo_u32 v14, v6, s10
	v_mul_lo_u32 v6, v6, s11
	v_add3_u32 v5, v10, v7, v5
	v_add3_u32 v2, v16, v2, v14
	;; [unrolled: 1-line block ×3, first 2 shown]
	s_cbranch_scc1 .LBB19_48
; %bb.49:
	s_and_b32 s6, s27, 3
	s_cmp_eq_u32 s6, 0
	s_cbranch_scc0 .LBB19_53
	s_branch .LBB19_55
.LBB19_50:
                                        ; implicit-def: $vgpr2
                                        ; implicit-def: $vgpr7
	s_branch .LBB19_56
.LBB19_51:
	v_mov_b32_e32 v2, 0
	v_mov_b32_e32 v7, 0
	s_branch .LBB19_55
.LBB19_52:
	v_mov_b32_e32 v2, 0
	v_mov_b32_e32 v7, 0
	;; [unrolled: 1-line block ×3, first 2 shown]
	s_and_b32 s6, s27, 3
	s_cmp_eq_u32 s6, 0
	s_cbranch_scc1 .LBB19_55
.LBB19_53:
	s_lshl_b32 s2, s26, 3
	s_add_u32 s2, s34, s2
	s_addc_u32 s3, s35, 0
	s_add_u32 s2, s2, 0xc4
	s_addc_u32 s3, s3, 0
	s_mul_i32 s4, s26, 12
	s_add_u32 s4, s34, s4
	s_addc_u32 s5, s35, 0
.LBB19_54:                              ; =>This Inner Loop Header: Depth=1
	s_load_dwordx2 s[8:9], s[4:5], 0x4
	s_load_dword s7, s[4:5], 0xc
	s_load_dwordx2 s[10:11], s[2:3], 0x0
	s_add_u32 s4, s4, 12
	s_addc_u32 s5, s5, 0
	s_waitcnt lgkmcnt(0)
	v_mul_hi_u32 v5, s9, v3
	s_add_u32 s2, s2, 8
	s_addc_u32 s3, s3, 0
	s_add_i32 s6, s6, -1
	v_add_u32_e32 v5, v3, v5
	v_lshrrev_b32_e32 v5, s7, v5
	v_mul_lo_u32 v6, v5, s8
	s_cmp_lg_u32 s6, 0
	v_sub_u32_e32 v6, v3, v6
	v_mad_u64_u32 v[2:3], s[8:9], v6, s10, v[2:3]
	v_mad_u64_u32 v[7:8], s[8:9], v6, s11, v[7:8]
	v_mov_b32_e32 v3, v5
	s_cbranch_scc1 .LBB19_54
.LBB19_55:
	s_cbranch_execnz .LBB19_58
.LBB19_56:
	s_load_dwordx4 s[4:7], s[34:35], 0x4
	s_load_dwordx2 s[2:3], s[34:35], 0xc4
	s_cmp_lt_u32 s33, 2
	s_waitcnt lgkmcnt(0)
	v_mul_hi_u32 v2, s5, v4
	v_add_u32_e32 v2, v4, v2
	v_lshrrev_b32_e32 v3, s6, v2
	v_mul_lo_u32 v2, v3, s4
	v_sub_u32_e32 v4, v4, v2
	v_mul_lo_u32 v2, v4, s2
	v_mul_lo_u32 v7, v4, s3
	s_cbranch_scc1 .LBB19_58
; %bb.57:
	s_load_dwordx4 s[4:7], s[34:35], 0x10
	s_load_dwordx2 s[2:3], s[34:35], 0xcc
	s_waitcnt lgkmcnt(0)
	v_mul_hi_u32 v4, s5, v3
	v_add_u32_e32 v4, v3, v4
	v_lshrrev_b32_e32 v4, s6, v4
	v_mul_lo_u32 v4, v4, s4
	v_sub_u32_e32 v4, v3, v4
	v_mad_u64_u32 v[2:3], s[4:5], v4, s2, v[2:3]
	v_mad_u64_u32 v[7:8], s[2:3], v4, s3, v[7:8]
.LBB19_58:
	s_and_b64 vcc, exec, s[0:1]
	s_cbranch_vccnz .LBB19_64
; %bb.59:
	s_cmp_lg_u32 s33, 0
	s_waitcnt lgkmcnt(0)
	s_mov_b32 s24, 0
	s_cbranch_scc0 .LBB19_65
; %bb.60:
	s_min_u32 s25, s54, 15
	s_add_i32 s25, s25, 1
	s_cmp_eq_u32 s54, 2
	s_cbranch_scc1 .LBB19_66
; %bb.61:
	s_and_b32 s24, s25, 28
	s_add_u32 s20, s34, 0xc4
	s_addc_u32 s21, s35, 0
	v_mov_b32_e32 v5, 0
	s_mov_b32 s26, 0
	s_mov_b64 s[22:23], s[34:35]
	v_mov_b32_e32 v3, 0
	v_mov_b32_e32 v4, v13
.LBB19_62:                              ; =>This Inner Loop Header: Depth=1
	s_load_dwordx8 s[8:15], s[22:23], 0x4
	s_load_dwordx4 s[16:19], s[22:23], 0x24
	s_load_dwordx8 s[0:7], s[20:21], 0x0
	s_add_u32 s22, s22, 48
	s_addc_u32 s23, s23, 0
	s_waitcnt lgkmcnt(0)
	v_mul_hi_u32 v6, s9, v4
	s_add_i32 s26, s26, 4
	s_add_u32 s20, s20, 32
	s_addc_u32 s21, s21, 0
	v_add_u32_e32 v6, v4, v6
	v_lshrrev_b32_e32 v6, s10, v6
	v_mul_lo_u32 v8, v6, s8
	v_mul_hi_u32 v10, s12, v6
	s_cmp_lg_u32 s24, s26
	v_sub_u32_e32 v4, v4, v8
	v_add_u32_e32 v8, v6, v10
	v_mul_lo_u32 v10, v4, s0
	v_mul_lo_u32 v12, v4, s1
	v_lshrrev_b32_e32 v4, s13, v8
	v_mul_lo_u32 v8, v4, s11
	v_mul_hi_u32 v14, s15, v4
	v_sub_u32_e32 v6, v6, v8
	v_add_u32_e32 v8, v4, v14
	v_lshrrev_b32_e32 v8, s16, v8
	v_mul_hi_u32 v15, s18, v8
	v_mul_lo_u32 v16, v8, s14
	v_mul_lo_u32 v14, v6, s2
	;; [unrolled: 1-line block ×3, first 2 shown]
	v_sub_u32_e32 v16, v4, v16
	v_add_u32_e32 v4, v8, v15
	v_lshrrev_b32_e32 v4, s19, v4
	v_mul_lo_u32 v15, v4, s17
	v_mul_lo_u32 v17, v16, s4
	;; [unrolled: 1-line block ×3, first 2 shown]
	v_add3_u32 v3, v10, v3, v14
	v_sub_u32_e32 v8, v8, v15
	v_mul_lo_u32 v15, v8, s6
	v_mul_lo_u32 v8, v8, s7
	v_add3_u32 v5, v12, v5, v6
	v_add3_u32 v3, v17, v3, v15
	;; [unrolled: 1-line block ×3, first 2 shown]
	s_cbranch_scc1 .LBB19_62
; %bb.63:
	s_and_b32 s4, s25, 3
	s_cmp_eq_u32 s4, 0
	s_cbranch_scc0 .LBB19_67
	s_branch .LBB19_69
.LBB19_64:
                                        ; implicit-def: $vgpr3
                                        ; implicit-def: $vgpr5
	s_branch .LBB19_70
.LBB19_65:
	v_mov_b32_e32 v3, 0
	v_mov_b32_e32 v5, 0
	s_branch .LBB19_69
.LBB19_66:
	v_mov_b32_e32 v3, 0
	v_mov_b32_e32 v5, 0
	;; [unrolled: 1-line block ×3, first 2 shown]
	s_and_b32 s4, s25, 3
	s_cmp_eq_u32 s4, 0
	s_cbranch_scc1 .LBB19_69
.LBB19_67:
	s_lshl_b32 s0, s24, 3
	s_add_u32 s0, s34, s0
	s_addc_u32 s1, s35, 0
	s_add_u32 s0, s0, 0xc4
	s_addc_u32 s1, s1, 0
	s_mul_i32 s2, s24, 12
	s_add_u32 s2, s34, s2
	s_addc_u32 s3, s35, 0
.LBB19_68:                              ; =>This Inner Loop Header: Depth=1
	s_load_dwordx2 s[6:7], s[2:3], 0x4
	s_load_dword s5, s[2:3], 0xc
	s_load_dwordx2 s[8:9], s[0:1], 0x0
	s_add_u32 s2, s2, 12
	s_addc_u32 s3, s3, 0
	s_waitcnt lgkmcnt(0)
	v_mul_hi_u32 v6, s7, v4
	s_add_u32 s0, s0, 8
	s_addc_u32 s1, s1, 0
	s_add_i32 s4, s4, -1
	v_add_u32_e32 v6, v4, v6
	v_lshrrev_b32_e32 v8, s5, v6
	v_mul_lo_u32 v6, v8, s6
	s_cmp_lg_u32 s4, 0
	v_sub_u32_e32 v6, v4, v6
	v_mad_u64_u32 v[3:4], s[6:7], v6, s8, v[3:4]
	v_mad_u64_u32 v[5:6], s[6:7], v6, s9, v[5:6]
	v_mov_b32_e32 v4, v8
	s_cbranch_scc1 .LBB19_68
.LBB19_69:
	s_cbranch_execnz .LBB19_72
.LBB19_70:
	s_load_dwordx4 s[0:3], s[34:35], 0x4
	s_load_dwordx2 s[4:5], s[34:35], 0xc4
	s_cmp_lt_u32 s33, 2
	s_waitcnt lgkmcnt(0)
	v_mul_hi_u32 v3, s1, v13
	v_add_u32_e32 v3, v13, v3
	v_lshrrev_b32_e32 v4, s2, v3
	v_mul_lo_u32 v3, v4, s0
	v_sub_u32_e32 v5, v13, v3
	v_mul_lo_u32 v3, v5, s4
	v_mul_lo_u32 v5, v5, s5
	s_cbranch_scc1 .LBB19_72
; %bb.71:
	s_load_dwordx4 s[0:3], s[34:35], 0x10
	s_load_dwordx2 s[4:5], s[34:35], 0xcc
	s_waitcnt lgkmcnt(0)
	v_mul_hi_u32 v6, s1, v4
	v_add_u32_e32 v6, v4, v6
	v_lshrrev_b32_e32 v6, s2, v6
	v_mul_lo_u32 v6, v6, s0
	v_sub_u32_e32 v6, v4, v6
	v_mad_u64_u32 v[3:4], s[0:1], v6, s4, v[3:4]
	v_mad_u64_u32 v[5:6], s[0:1], v6, s5, v[5:6]
.LBB19_72:
	s_load_dwordx4 s[8:11], s[34:35], 0x148
	s_mov_b32 s0, 0x40a00000
	s_waitcnt lgkmcnt(0)
	global_load_dword v4, v11, s[10:11]
	s_waitcnt vmcnt(0)
	v_cmp_gt_f32_e32 vcc, 0, v4
	v_cndmask_b32_e64 v6, v4, -v4, vcc
	v_cmp_ge_f32_e32 vcc, s0, v6
                                        ; implicit-def: $vgpr4
	s_and_saveexec_b64 s[0:1], vcc
	s_xor_b64 s[0:1], exec, s[0:1]
	s_cbranch_execz .LBB19_78
; %bb.73:
	s_mov_b32 s2, 0x3727c5ac
	v_cmp_ngt_f32_e32 vcc, s2, v6
	v_mul_f32_e32 v6, v6, v6
                                        ; implicit-def: $vgpr4
	s_and_saveexec_b64 s[2:3], vcc
	s_xor_b64 s[2:3], exec, s[2:3]
	s_cbranch_execz .LBB19_75
; %bb.74:
	v_mov_b32_e32 v4, 0xcf8ee29d
	v_fmac_f32_e32 v4, 0, v6
	v_mov_b32_e32 v8, 0x53e3ba8e
	v_fmac_f32_e32 v8, v6, v4
	;; [unrolled: 2-line block ×12, first 2 shown]
	v_add_f32_e32 v4, 0xc0b90fdc, v6
	v_add_f32_e32 v6, 0xc1f3c525, v6
	v_mul_f32_e32 v4, v4, v6
	v_mul_f32_e32 v4, v4, v8
	v_div_scale_f32 v6, s[4:5], v10, v10, v4
	v_div_scale_f32 v8, vcc, v4, v10, v4
	v_rcp_f32_e32 v11, v6
	v_fma_f32 v12, -v6, v11, 1.0
	v_fmac_f32_e32 v11, v12, v11
	v_mul_f32_e32 v12, v8, v11
	v_fma_f32 v13, -v6, v12, v8
	v_fmac_f32_e32 v12, v13, v11
	v_fma_f32 v6, -v6, v12, v8
	v_div_fmas_f32 v6, v6, v11, v12
	v_div_fixup_f32 v4, v6, v10, v4
                                        ; implicit-def: $vgpr6
.LBB19_75:
	s_andn2_saveexec_b64 s[2:3], s[2:3]
; %bb.76:
	s_mov_b32 s4, 0xbe800000
	v_fma_f32 v4, v6, s4, 1.0
; %bb.77:
	s_or_b64 exec, exec, s[2:3]
                                        ; implicit-def: $vgpr6
.LBB19_78:
	s_andn2_saveexec_b64 s[6:7], s[0:1]
	s_cbranch_execz .LBB19_88
; %bb.79:
	v_add_f32_e32 v4, 0xbf490fdb, v6
	v_and_b32_e32 v8, 0x7fffffff, v4
	s_brev_b32 s0, 18
	v_cmp_nlt_f32_e64 s[12:13], |v4|, s0
	v_lshrrev_b32_e32 v14, 23, v8
                                        ; implicit-def: $vgpr10
                                        ; implicit-def: $vgpr11
	s_and_saveexec_b64 s[0:1], s[12:13]
	s_xor_b64 s[14:15], exec, s[0:1]
	s_cbranch_execz .LBB19_81
; %bb.80:
	v_and_b32_e32 v10, 0x7fffff, v8
	v_or_b32_e32 v13, 0x800000, v10
	s_mov_b32 s0, 0xfe5163ab
	v_mad_u64_u32 v[10:11], s[0:1], v13, s0, 0
	v_mov_b32_e32 v12, 0
	s_mov_b32 s0, 0x3c439041
	v_mad_u64_u32 v[15:16], s[0:1], v13, s0, v[11:12]
	s_mov_b32 s0, 0xdb629599
	v_add_u32_e32 v20, 0xffffff88, v14
	v_mov_b32_e32 v11, v16
	v_mad_u64_u32 v[16:17], s[0:1], v13, s0, v[11:12]
	s_mov_b32 s0, 0xf534ddc0
	v_not_b32_e32 v21, 63
	v_mov_b32_e32 v11, v17
	v_mad_u64_u32 v[17:18], s[0:1], v13, s0, v[11:12]
	s_mov_b32 s0, 0xfc2757d1
	v_cmp_lt_u32_e32 vcc, 63, v20
	v_mov_b32_e32 v11, v18
	v_mad_u64_u32 v[18:19], s[0:1], v13, s0, v[11:12]
	v_cndmask_b32_e32 v11, 0, v21, vcc
	v_add_u32_e32 v21, v11, v20
	v_mov_b32_e32 v11, v19
	s_mov_b32 s0, 0x4e441529
	v_mad_u64_u32 v[19:20], s[0:1], v13, s0, v[11:12]
	v_not_b32_e32 v22, 31
	v_cmp_lt_u32_e64 s[0:1], 31, v21
	v_cndmask_b32_e64 v11, 0, v22, s[0:1]
	v_add_u32_e32 v21, v11, v21
	v_mov_b32_e32 v11, v20
	s_mov_b32 s2, 0xa2f9836e
	v_mad_u64_u32 v[11:12], s[2:3], v13, s2, v[11:12]
	v_cmp_lt_u32_e64 s[2:3], 31, v21
	v_cndmask_b32_e64 v13, 0, v22, s[2:3]
	v_cndmask_b32_e32 v20, v19, v17, vcc
	v_cndmask_b32_e32 v11, v11, v18, vcc
	;; [unrolled: 1-line block ×3, first 2 shown]
	v_add_u32_e32 v13, v13, v21
	v_cndmask_b32_e64 v21, v11, v20, s[0:1]
	v_cndmask_b32_e64 v11, v12, v11, s[0:1]
	v_cndmask_b32_e32 v12, v18, v16, vcc
	v_cndmask_b32_e64 v18, v20, v12, s[0:1]
	v_cndmask_b32_e64 v11, v11, v21, s[2:3]
	;; [unrolled: 1-line block ×3, first 2 shown]
	v_sub_u32_e32 v20, 32, v13
	v_alignbit_b32 v21, v11, v19, v20
	v_cmp_eq_u32_e64 s[4:5], 0, v13
	v_cndmask_b32_e64 v13, v21, v11, s[4:5]
	v_cndmask_b32_e32 v11, v17, v15, vcc
	v_cndmask_b32_e64 v12, v12, v11, s[0:1]
	v_cndmask_b32_e64 v15, v18, v12, s[2:3]
	v_alignbit_b32 v17, v19, v15, v20
	v_cndmask_b32_e32 v10, v16, v10, vcc
	v_cndmask_b32_e64 v17, v17, v19, s[4:5]
	v_bfe_u32 v21, v13, 29, 1
	v_cndmask_b32_e64 v10, v11, v10, s[0:1]
	v_alignbit_b32 v18, v13, v17, 30
	v_sub_u32_e32 v22, 0, v21
	v_cndmask_b32_e64 v10, v12, v10, s[2:3]
	v_xor_b32_e32 v18, v18, v22
	v_alignbit_b32 v11, v15, v10, v20
	v_cndmask_b32_e64 v11, v11, v15, s[4:5]
	v_ffbh_u32_e32 v15, v18
	v_alignbit_b32 v12, v17, v11, 30
	v_min_u32_e32 v15, 32, v15
	v_alignbit_b32 v10, v11, v10, 30
	v_xor_b32_e32 v12, v12, v22
	v_sub_u32_e32 v16, 31, v15
	v_xor_b32_e32 v10, v10, v22
	v_alignbit_b32 v17, v18, v12, v16
	v_alignbit_b32 v10, v12, v10, v16
	;; [unrolled: 1-line block ×3, first 2 shown]
	v_ffbh_u32_e32 v12, v11
	v_min_u32_e32 v12, 32, v12
	v_lshrrev_b32_e32 v19, 29, v13
	v_not_b32_e32 v16, v12
	v_alignbit_b32 v10, v11, v10, v16
	v_lshlrev_b32_e32 v11, 31, v19
	v_or_b32_e32 v16, 0x33000000, v11
	v_add_lshl_u32 v12, v12, v15, 23
	v_lshrrev_b32_e32 v10, 9, v10
	v_sub_u32_e32 v12, v16, v12
	v_or_b32_e32 v11, 0.5, v11
	v_lshlrev_b32_e32 v15, 23, v15
	v_or_b32_e32 v10, v12, v10
	v_lshrrev_b32_e32 v12, 9, v17
	v_sub_u32_e32 v11, v11, v15
	v_or_b32_e32 v11, v12, v11
	s_mov_b32 s0, 0x3fc90fda
	v_mul_f32_e32 v12, 0x3fc90fda, v11
	v_fma_f32 v15, v11, s0, -v12
	v_fmac_f32_e32 v15, 0x33a22168, v11
	v_fmac_f32_e32 v15, 0x3fc90fda, v10
	v_lshrrev_b32_e32 v10, 30, v13
	v_add_f32_e32 v11, v12, v15
	v_add_u32_e32 v10, v21, v10
	s_andn2_saveexec_b64 s[0:1], s[14:15]
	s_cbranch_execz .LBB19_83
	s_branch .LBB19_82
.LBB19_81:
	s_andn2_saveexec_b64 s[0:1], s[14:15]
	s_cbranch_execz .LBB19_83
.LBB19_82:
	s_mov_b32 s2, 0x3f22f983
	v_mul_f32_e64 v10, |v4|, s2
	v_rndne_f32_e32 v12, v10
	s_mov_b32 s2, 0xbfc90fda
	v_cvt_i32_f32_e32 v10, v12
	v_fma_f32 v11, v12, s2, |v4|
	v_fmac_f32_e32 v11, 0xb3a22168, v12
	v_fmac_f32_e32 v11, 0xa7c234c4, v12
.LBB19_83:
	s_or_b64 exec, exec, s[0:1]
                                        ; implicit-def: $vgpr12
                                        ; implicit-def: $vgpr13
	s_and_saveexec_b64 s[0:1], s[12:13]
	s_xor_b64 s[12:13], exec, s[0:1]
	s_cbranch_execz .LBB19_85
; %bb.84:
	v_and_b32_e32 v12, 0x7fffff, v8
	v_or_b32_e32 v21, 0x800000, v12
	s_mov_b32 s0, 0xfe5163ab
	v_mad_u64_u32 v[12:13], s[0:1], v21, s0, 0
	v_mov_b32_e32 v16, 0
	s_mov_b32 s0, 0x3c439041
	v_mov_b32_e32 v15, v13
	v_mad_u64_u32 v[17:18], s[0:1], v21, s0, v[15:16]
	s_mov_b32 s0, 0xdb629599
	v_add_u32_e32 v22, 0xffffff88, v14
	v_mov_b32_e32 v15, v18
	v_mad_u64_u32 v[18:19], s[0:1], v21, s0, v[15:16]
	s_mov_b32 s0, 0xf534ddc0
	v_not_b32_e32 v23, 63
	v_mov_b32_e32 v15, v19
	v_mad_u64_u32 v[19:20], s[0:1], v21, s0, v[15:16]
	s_mov_b32 s0, 0xfc2757d1
	v_cmp_lt_u32_e32 vcc, 63, v22
	v_mov_b32_e32 v15, v20
	v_mad_u64_u32 v[13:14], s[0:1], v21, s0, v[15:16]
	v_cndmask_b32_e32 v15, 0, v23, vcc
	v_add_u32_e32 v20, v15, v22
	v_mov_b32_e32 v15, v14
	s_mov_b32 s0, 0x4e441529
	v_mad_u64_u32 v[14:15], s[0:1], v21, s0, v[15:16]
	v_not_b32_e32 v22, 31
	v_cmp_lt_u32_e64 s[0:1], 31, v20
	s_mov_b32 s2, 0xa2f9836e
	v_cndmask_b32_e64 v23, 0, v22, s[0:1]
	v_mad_u64_u32 v[15:16], s[2:3], v21, s2, v[15:16]
	v_add_u32_e32 v20, v23, v20
	v_cmp_lt_u32_e64 s[2:3], 31, v20
	v_cndmask_b32_e64 v21, 0, v22, s[2:3]
	v_add_u32_e32 v20, v21, v20
	v_cndmask_b32_e32 v21, v14, v19, vcc
	v_cndmask_b32_e32 v15, v15, v13, vcc
	;; [unrolled: 1-line block ×4, first 2 shown]
	v_cndmask_b32_e64 v22, v15, v21, s[0:1]
	v_cndmask_b32_e64 v14, v14, v15, s[0:1]
	v_cndmask_b32_e64 v15, v21, v13, s[0:1]
	v_cndmask_b32_e32 v17, v19, v17, vcc
	v_cndmask_b32_e64 v14, v14, v22, s[2:3]
	v_cndmask_b32_e64 v16, v22, v15, s[2:3]
	v_sub_u32_e32 v21, 32, v20
	v_cndmask_b32_e64 v13, v13, v17, s[0:1]
	v_alignbit_b32 v22, v14, v16, v21
	v_cmp_eq_u32_e64 s[4:5], 0, v20
	v_cndmask_b32_e64 v15, v15, v13, s[2:3]
	v_cndmask_b32_e32 v12, v18, v12, vcc
	v_cndmask_b32_e64 v14, v22, v14, s[4:5]
	v_alignbit_b32 v19, v16, v15, v21
	v_cndmask_b32_e64 v12, v17, v12, s[0:1]
	v_cndmask_b32_e64 v16, v19, v16, s[4:5]
	v_bfe_u32 v22, v14, 29, 1
	v_cndmask_b32_e64 v12, v13, v12, s[2:3]
	v_alignbit_b32 v19, v14, v16, 30
	v_sub_u32_e32 v23, 0, v22
	v_alignbit_b32 v13, v15, v12, v21
	v_xor_b32_e32 v19, v19, v23
	v_cndmask_b32_e64 v13, v13, v15, s[4:5]
	v_alignbit_b32 v15, v16, v13, 30
	v_ffbh_u32_e32 v16, v19
	v_min_u32_e32 v16, 32, v16
	v_alignbit_b32 v12, v13, v12, 30
	v_xor_b32_e32 v15, v15, v23
	v_sub_u32_e32 v17, 31, v16
	v_xor_b32_e32 v12, v12, v23
	v_alignbit_b32 v18, v19, v15, v17
	v_alignbit_b32 v12, v15, v12, v17
	;; [unrolled: 1-line block ×3, first 2 shown]
	v_ffbh_u32_e32 v15, v13
	v_min_u32_e32 v15, 32, v15
	v_lshrrev_b32_e32 v20, 29, v14
	v_not_b32_e32 v17, v15
	v_alignbit_b32 v12, v13, v12, v17
	v_lshlrev_b32_e32 v13, 31, v20
	v_or_b32_e32 v17, 0x33000000, v13
	v_add_lshl_u32 v15, v15, v16, 23
	v_lshrrev_b32_e32 v12, 9, v12
	v_sub_u32_e32 v15, v17, v15
	v_or_b32_e32 v13, 0.5, v13
	v_lshlrev_b32_e32 v16, 23, v16
	v_or_b32_e32 v12, v15, v12
	v_lshrrev_b32_e32 v15, 9, v18
	v_sub_u32_e32 v13, v13, v16
	v_or_b32_e32 v13, v15, v13
	s_mov_b32 s0, 0x3fc90fda
	v_mul_f32_e32 v15, 0x3fc90fda, v13
	v_fma_f32 v16, v13, s0, -v15
	v_fmac_f32_e32 v16, 0x33a22168, v13
	v_fmac_f32_e32 v16, 0x3fc90fda, v12
	v_lshrrev_b32_e32 v12, 30, v14
	v_add_f32_e32 v13, v15, v16
	v_add_u32_e32 v12, v22, v12
	s_andn2_saveexec_b64 s[0:1], s[12:13]
	s_cbranch_execnz .LBB19_86
	s_branch .LBB19_87
.LBB19_85:
	s_andn2_saveexec_b64 s[0:1], s[12:13]
	s_cbranch_execz .LBB19_87
.LBB19_86:
	s_mov_b32 s2, 0x3f22f983
	v_mul_f32_e64 v12, |v4|, s2
	v_rndne_f32_e32 v14, v12
	s_mov_b32 s2, 0xbfc90fda
	v_cvt_i32_f32_e32 v12, v14
	v_fma_f32 v13, v14, s2, |v4|
	v_fmac_f32_e32 v13, 0xb3a22168, v14
	v_fmac_f32_e32 v13, 0xa7c234c4, v14
.LBB19_87:
	s_or_b64 exec, exec, s[0:1]
	v_mul_f32_e32 v14, v6, v6
	s_mov_b32 s2, 0x41c80000
	v_div_scale_f32 v15, s[0:1], v14, v14, s2
	v_div_scale_f32 v16, vcc, s2, v14, s2
	v_mov_b32_e32 v18, 0x3a50e985
	v_mov_b32_e32 v19, 0x3da9a586
	;; [unrolled: 1-line block ×12, first 2 shown]
	v_rcp_f32_e32 v17, v15
	v_mov_b32_e32 v32, 0xc331ae61
	v_mov_b32_e32 v33, 0xc31313d7
	v_mul_f32_e32 v34, v11, v11
	v_fma_f32 v21, -v15, v17, 1.0
	v_fmac_f32_e32 v17, v21, v17
	v_mul_f32_e32 v21, v16, v17
	v_fma_f32 v22, -v15, v21, v16
	v_fmac_f32_e32 v21, v22, v17
	v_fma_f32 v15, -v15, v21, v16
	v_div_fmas_f32 v15, v15, v17, v21
	v_mov_b32_e32 v22, 0x3a725406
	v_mov_b32_e32 v16, 0x40ae4fdf
	;; [unrolled: 1-line block ×5, first 2 shown]
	v_fmac_f32_e32 v36, 0xb94c1982, v34
	v_mov_b32_e32 v35, 0x3c0881c4
	v_div_fixup_f32 v15, v15, v14, s2
	v_fmac_f32_e32 v18, 0, v15
	v_fmac_f32_e32 v22, 0, v15
	;; [unrolled: 1-line block ×12, first 2 shown]
	v_fma_f32 v16, v15, v27, 1.0
	v_fma_f32 v17, v15, v21, 1.0
	v_div_scale_f32 v18, s[0:1], v16, v16, v17
	v_div_scale_f32 v22, vcc, v17, v16, v17
	v_mov_b32_e32 v20, 0x4280a2ba
	s_mov_b32 s2, 0xc0a00000
	v_fmac_f32_e32 v28, 0, v15
	v_mov_b32_e32 v21, 0x44561b86
	v_div_scale_f32 v38, s[0:1], v6, v6, s2
	v_fmac_f32_e32 v20, 0, v15
	v_fmac_f32_e32 v29, v15, v28
	v_mov_b32_e32 v23, 0x4572a66e
	v_fmac_f32_e32 v21, v15, v20
	v_fmac_f32_e32 v30, v15, v29
	v_mov_b32_e32 v24, 0x45e243be
	v_rcp_f32_e32 v37, v18
	v_fmac_f32_e32 v23, v15, v21
	v_fmac_f32_e32 v31, v15, v30
	v_mov_b32_e32 v25, 0x45b955d1
	v_fma_f32 v39, -v18, v37, 1.0
	v_fmac_f32_e32 v37, v39, v37
	v_mul_f32_e32 v39, v22, v37
	v_fma_f32 v40, -v18, v39, v22
	v_fmac_f32_e32 v39, v40, v37
	v_fma_f32 v18, -v18, v39, v22
	v_div_fmas_f32 v18, v18, v37, v39
	v_fmac_f32_e32 v24, v15, v23
	v_fmac_f32_e32 v32, v15, v31
	v_mov_b32_e32 v19, 0xc24da463
	v_mov_b32_e32 v26, 0x4500e17e
	v_fmac_f32_e32 v25, v15, v24
	v_fmac_f32_e32 v33, v15, v32
	v_mov_b32_e32 v14, 0xc0c19ac7
	v_mov_b32_e32 v27, 0x43720178
	v_fmac_f32_e32 v26, v15, v25
	v_fmac_f32_e32 v19, v15, v33
	;; [unrolled: 1-line block ×4, first 2 shown]
	v_rcp_f32_e32 v21, v38
	v_mov_b32_e32 v22, 0xbab64f3b
	v_fmac_f32_e32 v22, 0x37d75334, v34
	v_div_fixup_f32 v15, v18, v16, v17
	v_div_scale_f32 v16, vcc, s2, v6, s2
	v_div_scale_f32 v18, s[0:1], v27, v27, v14
	v_div_scale_f32 v20, s[0:1], v14, v27, v14
	v_fma_f32 v24, -v38, v21, 1.0
	v_fmac_f32_e32 v21, v24, v21
	v_mov_b32_e32 v17, 0xbe2aaa9d
	v_fma_f32 v19, v34, v36, v17
	v_mul_f32_e32 v19, v34, v19
	v_fmac_f32_e32 v11, v11, v19
	v_mov_b32_e32 v19, 0xbab64f3b
	v_mov_b32_e32 v23, 0x3d2aabf7
	v_mul_f32_e32 v24, v16, v21
	v_fma_f32 v25, -v38, v24, v16
	v_fmac_f32_e32 v24, v25, v21
	v_rcp_f32_e32 v25, v18
	v_fma_f32 v16, -v38, v24, v16
	v_div_fmas_f32 v16, v16, v21, v24
	s_mov_b64 vcc, s[0:1]
	v_fma_f32 v21, -v18, v25, 1.0
	v_fmac_f32_e32 v25, v21, v25
	v_mul_f32_e32 v21, v20, v25
	v_fma_f32 v24, -v18, v21, v20
	v_fmac_f32_e32 v21, v24, v25
	v_fma_f32 v18, -v18, v21, v20
	v_div_fmas_f32 v18, v18, v25, v21
	v_fma_f32 v20, v34, v22, v23
	v_mov_b32_e32 v21, 0xbf000004
	v_fma_f32 v20, v34, v20, v21
	v_and_b32_e32 v22, 1, v10
	v_fma_f32 v20, v34, v20, 1.0
	v_cmp_eq_u32_e32 vcc, 0, v22
	s_movk_i32 s0, 0x1f8
	v_div_fixup_f32 v16, v16, v6, s2
	v_cndmask_b32_e64 v11, -v11, v20, vcc
	v_lshlrev_b32_e32 v10, 30, v10
	v_cmp_class_f32_e64 vcc, v4, s0
	v_xor_b32_e32 v4, v8, v4
	v_and_b32_e32 v10, 0x80000000, v10
	v_xor_b32_e32 v10, v10, v11
	v_mov_b32_e32 v11, 0x7fc00000
	v_div_fixup_f32 v14, v18, v27, v14
	v_mul_f32_e32 v14, v16, v14
	v_mul_f32_e32 v16, v13, v13
	v_fmac_f32_e32 v35, 0xb94c1982, v16
	v_fmac_f32_e32 v17, v16, v35
	;; [unrolled: 1-line block ×3, first 2 shown]
	v_mul_f32_e32 v17, v16, v17
	v_fmac_f32_e32 v23, v16, v19
	v_fmac_f32_e32 v13, v13, v17
	;; [unrolled: 1-line block ×3, first 2 shown]
	v_and_b32_e32 v17, 1, v12
	v_lshlrev_b32_e32 v12, 30, v12
	v_fma_f32 v16, v16, v21, 1.0
	v_cmp_eq_u32_e64 s[0:1], 0, v17
	v_and_b32_e32 v12, 0x80000000, v12
	v_cndmask_b32_e64 v13, v16, v13, s[0:1]
	v_xor_b32_e32 v4, v4, v12
	v_xor_b32_e32 v4, v4, v13
	s_mov_b32 s0, 0xf800000
	v_cndmask_b32_e32 v10, v11, v10, vcc
	v_cndmask_b32_e32 v4, v11, v4, vcc
	v_mul_f32_e32 v8, 0x4f800000, v6
	v_cmp_gt_f32_e32 vcc, s0, v6
	v_cndmask_b32_e32 v6, v6, v8, vcc
	v_sqrt_f32_e32 v8, v6
	v_mul_f32_e32 v4, v14, v4
	v_fmac_f32_e32 v4, v15, v10
	v_mul_f32_e32 v4, 0x3f4c422a, v4
	v_add_u32_e32 v10, -1, v8
	v_fma_f32 v11, -v10, v8, v6
	v_cmp_ge_f32_e64 s[0:1], 0, v11
	v_add_u32_e32 v11, 1, v8
	v_cndmask_b32_e64 v10, v8, v10, s[0:1]
	v_fma_f32 v8, -v11, v8, v6
	v_cmp_lt_f32_e64 s[0:1], 0, v8
	v_cndmask_b32_e64 v8, v10, v11, s[0:1]
	v_mul_f32_e32 v10, 0x37800000, v8
	v_cndmask_b32_e32 v8, v8, v10, vcc
	v_mov_b32_e32 v10, 0x260
	v_cmp_class_f32_e32 vcc, v6, v10
	v_cndmask_b32_e32 v6, v8, v6, vcc
	v_div_scale_f32 v8, s[0:1], v6, v6, v4
	v_div_scale_f32 v10, vcc, v4, v6, v4
	v_rcp_f32_e32 v11, v8
	v_fma_f32 v12, -v8, v11, 1.0
	v_fmac_f32_e32 v11, v12, v11
	v_mul_f32_e32 v12, v10, v11
	v_fma_f32 v13, -v8, v12, v10
	v_fmac_f32_e32 v12, v13, v11
	v_fma_f32 v8, -v8, v12, v10
	v_div_fmas_f32 v8, v8, v11, v12
	v_div_fixup_f32 v4, v8, v6, v4
.LBB19_88:
	s_or_b64 exec, exec, s[6:7]
	global_load_dword v6, v9, s[10:11]
	s_mov_b32 s0, 0x40a00000
	s_waitcnt vmcnt(0)
	v_cmp_gt_f32_e32 vcc, 0, v6
	v_cndmask_b32_e64 v8, v6, -v6, vcc
	v_cmp_ge_f32_e32 vcc, s0, v8
                                        ; implicit-def: $vgpr6
	s_and_saveexec_b64 s[0:1], vcc
	s_xor_b64 s[0:1], exec, s[0:1]
	s_cbranch_execz .LBB19_94
; %bb.89:
	s_mov_b32 s2, 0x3727c5ac
	v_cmp_ngt_f32_e32 vcc, s2, v8
	v_mul_f32_e32 v8, v8, v8
                                        ; implicit-def: $vgpr6
	s_and_saveexec_b64 s[2:3], vcc
	s_xor_b64 s[2:3], exec, s[2:3]
	s_cbranch_execz .LBB19_91
; %bb.90:
	v_mov_b32_e32 v6, 0xcf8ee29d
	v_fmac_f32_e32 v6, 0, v8
	v_mov_b32_e32 v9, 0x53e3ba8e
	v_fmac_f32_e32 v9, v8, v6
	;; [unrolled: 2-line block ×12, first 2 shown]
	v_add_f32_e32 v6, 0xc0b90fdc, v8
	v_add_f32_e32 v8, 0xc1f3c525, v8
	v_mul_f32_e32 v6, v6, v8
	v_mul_f32_e32 v6, v6, v9
	v_div_scale_f32 v8, s[4:5], v10, v10, v6
	v_div_scale_f32 v9, vcc, v6, v10, v6
	v_rcp_f32_e32 v11, v8
	v_fma_f32 v12, -v8, v11, 1.0
	v_fmac_f32_e32 v11, v12, v11
	v_mul_f32_e32 v12, v9, v11
	v_fma_f32 v13, -v8, v12, v9
	v_fmac_f32_e32 v12, v13, v11
	v_fma_f32 v8, -v8, v12, v9
	v_div_fmas_f32 v8, v8, v11, v12
	v_div_fixup_f32 v6, v8, v10, v6
                                        ; implicit-def: $vgpr8
.LBB19_91:
	s_andn2_saveexec_b64 s[2:3], s[2:3]
; %bb.92:
	s_mov_b32 s4, 0xbe800000
	v_fma_f32 v6, v8, s4, 1.0
; %bb.93:
	s_or_b64 exec, exec, s[2:3]
                                        ; implicit-def: $vgpr8
.LBB19_94:
	s_andn2_saveexec_b64 s[6:7], s[0:1]
	s_cbranch_execz .LBB19_104
; %bb.95:
	v_add_f32_e32 v6, 0xbf490fdb, v8
	v_and_b32_e32 v9, 0x7fffffff, v6
	s_brev_b32 s0, 18
	v_cmp_nlt_f32_e64 s[12:13], |v6|, s0
	v_lshrrev_b32_e32 v14, 23, v9
                                        ; implicit-def: $vgpr10
                                        ; implicit-def: $vgpr11
	s_and_saveexec_b64 s[0:1], s[12:13]
	s_xor_b64 s[14:15], exec, s[0:1]
	s_cbranch_execz .LBB19_97
; %bb.96:
	v_and_b32_e32 v10, 0x7fffff, v9
	v_or_b32_e32 v13, 0x800000, v10
	s_mov_b32 s0, 0xfe5163ab
	v_mad_u64_u32 v[10:11], s[0:1], v13, s0, 0
	v_mov_b32_e32 v12, 0
	s_mov_b32 s0, 0x3c439041
	v_mad_u64_u32 v[15:16], s[0:1], v13, s0, v[11:12]
	s_mov_b32 s0, 0xdb629599
	v_add_u32_e32 v20, 0xffffff88, v14
	v_mov_b32_e32 v11, v16
	v_mad_u64_u32 v[16:17], s[0:1], v13, s0, v[11:12]
	s_mov_b32 s0, 0xf534ddc0
	v_not_b32_e32 v21, 63
	v_mov_b32_e32 v11, v17
	v_mad_u64_u32 v[17:18], s[0:1], v13, s0, v[11:12]
	s_mov_b32 s0, 0xfc2757d1
	v_cmp_lt_u32_e32 vcc, 63, v20
	v_mov_b32_e32 v11, v18
	v_mad_u64_u32 v[18:19], s[0:1], v13, s0, v[11:12]
	v_cndmask_b32_e32 v11, 0, v21, vcc
	v_add_u32_e32 v21, v11, v20
	v_mov_b32_e32 v11, v19
	s_mov_b32 s0, 0x4e441529
	v_mad_u64_u32 v[19:20], s[0:1], v13, s0, v[11:12]
	v_not_b32_e32 v22, 31
	v_cmp_lt_u32_e64 s[0:1], 31, v21
	v_cndmask_b32_e64 v11, 0, v22, s[0:1]
	v_add_u32_e32 v21, v11, v21
	v_mov_b32_e32 v11, v20
	s_mov_b32 s2, 0xa2f9836e
	v_mad_u64_u32 v[11:12], s[2:3], v13, s2, v[11:12]
	v_cmp_lt_u32_e64 s[2:3], 31, v21
	v_cndmask_b32_e64 v13, 0, v22, s[2:3]
	v_cndmask_b32_e32 v20, v19, v17, vcc
	v_cndmask_b32_e32 v11, v11, v18, vcc
	;; [unrolled: 1-line block ×3, first 2 shown]
	v_add_u32_e32 v13, v13, v21
	v_cndmask_b32_e64 v21, v11, v20, s[0:1]
	v_cndmask_b32_e64 v11, v12, v11, s[0:1]
	v_cndmask_b32_e32 v12, v18, v16, vcc
	v_cndmask_b32_e64 v18, v20, v12, s[0:1]
	v_cndmask_b32_e64 v11, v11, v21, s[2:3]
	v_cndmask_b32_e64 v19, v21, v18, s[2:3]
	v_sub_u32_e32 v20, 32, v13
	v_alignbit_b32 v21, v11, v19, v20
	v_cmp_eq_u32_e64 s[4:5], 0, v13
	v_cndmask_b32_e64 v13, v21, v11, s[4:5]
	v_cndmask_b32_e32 v11, v17, v15, vcc
	v_cndmask_b32_e64 v12, v12, v11, s[0:1]
	v_cndmask_b32_e64 v15, v18, v12, s[2:3]
	v_alignbit_b32 v17, v19, v15, v20
	v_cndmask_b32_e32 v10, v16, v10, vcc
	v_cndmask_b32_e64 v17, v17, v19, s[4:5]
	v_bfe_u32 v21, v13, 29, 1
	v_cndmask_b32_e64 v10, v11, v10, s[0:1]
	v_alignbit_b32 v18, v13, v17, 30
	v_sub_u32_e32 v22, 0, v21
	v_cndmask_b32_e64 v10, v12, v10, s[2:3]
	v_xor_b32_e32 v18, v18, v22
	v_alignbit_b32 v11, v15, v10, v20
	v_cndmask_b32_e64 v11, v11, v15, s[4:5]
	v_ffbh_u32_e32 v15, v18
	v_alignbit_b32 v12, v17, v11, 30
	v_min_u32_e32 v15, 32, v15
	v_alignbit_b32 v10, v11, v10, 30
	v_xor_b32_e32 v12, v12, v22
	v_sub_u32_e32 v16, 31, v15
	v_xor_b32_e32 v10, v10, v22
	v_alignbit_b32 v17, v18, v12, v16
	v_alignbit_b32 v10, v12, v10, v16
	v_alignbit_b32 v11, v17, v10, 9
	v_ffbh_u32_e32 v12, v11
	v_min_u32_e32 v12, 32, v12
	v_lshrrev_b32_e32 v19, 29, v13
	v_not_b32_e32 v16, v12
	v_alignbit_b32 v10, v11, v10, v16
	v_lshlrev_b32_e32 v11, 31, v19
	v_or_b32_e32 v16, 0x33000000, v11
	v_add_lshl_u32 v12, v12, v15, 23
	v_lshrrev_b32_e32 v10, 9, v10
	v_sub_u32_e32 v12, v16, v12
	v_or_b32_e32 v11, 0.5, v11
	v_lshlrev_b32_e32 v15, 23, v15
	v_or_b32_e32 v10, v12, v10
	v_lshrrev_b32_e32 v12, 9, v17
	v_sub_u32_e32 v11, v11, v15
	v_or_b32_e32 v11, v12, v11
	s_mov_b32 s0, 0x3fc90fda
	v_mul_f32_e32 v12, 0x3fc90fda, v11
	v_fma_f32 v15, v11, s0, -v12
	v_fmac_f32_e32 v15, 0x33a22168, v11
	v_fmac_f32_e32 v15, 0x3fc90fda, v10
	v_lshrrev_b32_e32 v10, 30, v13
	v_add_f32_e32 v11, v12, v15
	v_add_u32_e32 v10, v21, v10
	s_andn2_saveexec_b64 s[0:1], s[14:15]
	s_cbranch_execz .LBB19_99
	s_branch .LBB19_98
.LBB19_97:
	s_andn2_saveexec_b64 s[0:1], s[14:15]
	s_cbranch_execz .LBB19_99
.LBB19_98:
	s_mov_b32 s2, 0x3f22f983
	v_mul_f32_e64 v10, |v6|, s2
	v_rndne_f32_e32 v12, v10
	s_mov_b32 s2, 0xbfc90fda
	v_cvt_i32_f32_e32 v10, v12
	v_fma_f32 v11, v12, s2, |v6|
	v_fmac_f32_e32 v11, 0xb3a22168, v12
	v_fmac_f32_e32 v11, 0xa7c234c4, v12
.LBB19_99:
	s_or_b64 exec, exec, s[0:1]
                                        ; implicit-def: $vgpr12
                                        ; implicit-def: $vgpr13
	s_and_saveexec_b64 s[0:1], s[12:13]
	s_xor_b64 s[12:13], exec, s[0:1]
	s_cbranch_execz .LBB19_101
; %bb.100:
	v_and_b32_e32 v12, 0x7fffff, v9
	v_or_b32_e32 v21, 0x800000, v12
	s_mov_b32 s0, 0xfe5163ab
	v_mad_u64_u32 v[12:13], s[0:1], v21, s0, 0
	v_mov_b32_e32 v16, 0
	s_mov_b32 s0, 0x3c439041
	v_mov_b32_e32 v15, v13
	v_mad_u64_u32 v[17:18], s[0:1], v21, s0, v[15:16]
	s_mov_b32 s0, 0xdb629599
	v_add_u32_e32 v22, 0xffffff88, v14
	v_mov_b32_e32 v15, v18
	v_mad_u64_u32 v[18:19], s[0:1], v21, s0, v[15:16]
	s_mov_b32 s0, 0xf534ddc0
	v_not_b32_e32 v23, 63
	v_mov_b32_e32 v15, v19
	v_mad_u64_u32 v[19:20], s[0:1], v21, s0, v[15:16]
	s_mov_b32 s0, 0xfc2757d1
	v_cmp_lt_u32_e32 vcc, 63, v22
	v_mov_b32_e32 v15, v20
	v_mad_u64_u32 v[13:14], s[0:1], v21, s0, v[15:16]
	v_cndmask_b32_e32 v15, 0, v23, vcc
	v_add_u32_e32 v20, v15, v22
	v_mov_b32_e32 v15, v14
	s_mov_b32 s0, 0x4e441529
	v_mad_u64_u32 v[14:15], s[0:1], v21, s0, v[15:16]
	v_not_b32_e32 v22, 31
	v_cmp_lt_u32_e64 s[0:1], 31, v20
	s_mov_b32 s2, 0xa2f9836e
	v_cndmask_b32_e64 v23, 0, v22, s[0:1]
	v_mad_u64_u32 v[15:16], s[2:3], v21, s2, v[15:16]
	v_add_u32_e32 v20, v23, v20
	v_cmp_lt_u32_e64 s[2:3], 31, v20
	v_cndmask_b32_e64 v21, 0, v22, s[2:3]
	v_add_u32_e32 v20, v21, v20
	v_cndmask_b32_e32 v21, v14, v19, vcc
	v_cndmask_b32_e32 v15, v15, v13, vcc
	;; [unrolled: 1-line block ×4, first 2 shown]
	v_cndmask_b32_e64 v22, v15, v21, s[0:1]
	v_cndmask_b32_e64 v14, v14, v15, s[0:1]
	;; [unrolled: 1-line block ×3, first 2 shown]
	v_cndmask_b32_e32 v17, v19, v17, vcc
	v_cndmask_b32_e64 v14, v14, v22, s[2:3]
	v_cndmask_b32_e64 v16, v22, v15, s[2:3]
	v_sub_u32_e32 v21, 32, v20
	v_cndmask_b32_e64 v13, v13, v17, s[0:1]
	v_alignbit_b32 v22, v14, v16, v21
	v_cmp_eq_u32_e64 s[4:5], 0, v20
	v_cndmask_b32_e64 v15, v15, v13, s[2:3]
	v_cndmask_b32_e32 v12, v18, v12, vcc
	v_cndmask_b32_e64 v14, v22, v14, s[4:5]
	v_alignbit_b32 v19, v16, v15, v21
	v_cndmask_b32_e64 v12, v17, v12, s[0:1]
	v_cndmask_b32_e64 v16, v19, v16, s[4:5]
	v_bfe_u32 v22, v14, 29, 1
	v_cndmask_b32_e64 v12, v13, v12, s[2:3]
	v_alignbit_b32 v19, v14, v16, 30
	v_sub_u32_e32 v23, 0, v22
	v_alignbit_b32 v13, v15, v12, v21
	v_xor_b32_e32 v19, v19, v23
	v_cndmask_b32_e64 v13, v13, v15, s[4:5]
	v_alignbit_b32 v15, v16, v13, 30
	v_ffbh_u32_e32 v16, v19
	v_min_u32_e32 v16, 32, v16
	v_alignbit_b32 v12, v13, v12, 30
	v_xor_b32_e32 v15, v15, v23
	v_sub_u32_e32 v17, 31, v16
	v_xor_b32_e32 v12, v12, v23
	v_alignbit_b32 v18, v19, v15, v17
	v_alignbit_b32 v12, v15, v12, v17
	;; [unrolled: 1-line block ×3, first 2 shown]
	v_ffbh_u32_e32 v15, v13
	v_min_u32_e32 v15, 32, v15
	v_lshrrev_b32_e32 v20, 29, v14
	v_not_b32_e32 v17, v15
	v_alignbit_b32 v12, v13, v12, v17
	v_lshlrev_b32_e32 v13, 31, v20
	v_or_b32_e32 v17, 0x33000000, v13
	v_add_lshl_u32 v15, v15, v16, 23
	v_lshrrev_b32_e32 v12, 9, v12
	v_sub_u32_e32 v15, v17, v15
	v_or_b32_e32 v13, 0.5, v13
	v_lshlrev_b32_e32 v16, 23, v16
	v_or_b32_e32 v12, v15, v12
	v_lshrrev_b32_e32 v15, 9, v18
	v_sub_u32_e32 v13, v13, v16
	v_or_b32_e32 v13, v15, v13
	s_mov_b32 s0, 0x3fc90fda
	v_mul_f32_e32 v15, 0x3fc90fda, v13
	v_fma_f32 v16, v13, s0, -v15
	v_fmac_f32_e32 v16, 0x33a22168, v13
	v_fmac_f32_e32 v16, 0x3fc90fda, v12
	v_lshrrev_b32_e32 v12, 30, v14
	v_add_f32_e32 v13, v15, v16
	v_add_u32_e32 v12, v22, v12
	s_andn2_saveexec_b64 s[0:1], s[12:13]
	s_cbranch_execnz .LBB19_102
	s_branch .LBB19_103
.LBB19_101:
	s_andn2_saveexec_b64 s[0:1], s[12:13]
	s_cbranch_execz .LBB19_103
.LBB19_102:
	s_mov_b32 s2, 0x3f22f983
	v_mul_f32_e64 v12, |v6|, s2
	v_rndne_f32_e32 v14, v12
	s_mov_b32 s2, 0xbfc90fda
	v_cvt_i32_f32_e32 v12, v14
	v_fma_f32 v13, v14, s2, |v6|
	v_fmac_f32_e32 v13, 0xb3a22168, v14
	v_fmac_f32_e32 v13, 0xa7c234c4, v14
.LBB19_103:
	s_or_b64 exec, exec, s[0:1]
	v_mul_f32_e32 v14, v8, v8
	s_mov_b32 s2, 0x41c80000
	v_div_scale_f32 v15, s[0:1], v14, v14, s2
	v_div_scale_f32 v16, vcc, s2, v14, s2
	v_mov_b32_e32 v18, 0x3a50e985
	v_mov_b32_e32 v19, 0x3da9a586
	;; [unrolled: 1-line block ×12, first 2 shown]
	v_rcp_f32_e32 v17, v15
	v_mov_b32_e32 v32, 0xc331ae61
	v_mov_b32_e32 v33, 0xc31313d7
	v_mul_f32_e32 v34, v11, v11
	v_fma_f32 v21, -v15, v17, 1.0
	v_fmac_f32_e32 v17, v21, v17
	v_mul_f32_e32 v21, v16, v17
	v_fma_f32 v22, -v15, v21, v16
	v_fmac_f32_e32 v21, v22, v17
	v_fma_f32 v15, -v15, v21, v16
	v_div_fmas_f32 v15, v15, v17, v21
	v_mov_b32_e32 v22, 0x3a725406
	v_mov_b32_e32 v16, 0x40ae4fdf
	;; [unrolled: 1-line block ×5, first 2 shown]
	v_fmac_f32_e32 v36, 0xb94c1982, v34
	v_mov_b32_e32 v35, 0x3c0881c4
	v_div_fixup_f32 v15, v15, v14, s2
	v_fmac_f32_e32 v18, 0, v15
	v_fmac_f32_e32 v22, 0, v15
	;; [unrolled: 1-line block ×12, first 2 shown]
	v_fma_f32 v16, v15, v27, 1.0
	v_fma_f32 v17, v15, v21, 1.0
	v_div_scale_f32 v18, s[0:1], v16, v16, v17
	v_div_scale_f32 v22, vcc, v17, v16, v17
	v_mov_b32_e32 v20, 0x4280a2ba
	s_mov_b32 s2, 0xc0a00000
	v_fmac_f32_e32 v28, 0, v15
	v_mov_b32_e32 v21, 0x44561b86
	v_div_scale_f32 v38, s[0:1], v8, v8, s2
	v_fmac_f32_e32 v20, 0, v15
	v_fmac_f32_e32 v29, v15, v28
	v_mov_b32_e32 v23, 0x4572a66e
	v_fmac_f32_e32 v21, v15, v20
	v_fmac_f32_e32 v30, v15, v29
	v_mov_b32_e32 v24, 0x45e243be
	v_rcp_f32_e32 v37, v18
	v_fmac_f32_e32 v23, v15, v21
	v_fmac_f32_e32 v31, v15, v30
	v_mov_b32_e32 v25, 0x45b955d1
	v_fma_f32 v39, -v18, v37, 1.0
	v_fmac_f32_e32 v37, v39, v37
	v_mul_f32_e32 v39, v22, v37
	v_fma_f32 v40, -v18, v39, v22
	v_fmac_f32_e32 v39, v40, v37
	v_fma_f32 v18, -v18, v39, v22
	v_div_fmas_f32 v18, v18, v37, v39
	v_fmac_f32_e32 v24, v15, v23
	v_fmac_f32_e32 v32, v15, v31
	v_mov_b32_e32 v19, 0xc24da463
	v_mov_b32_e32 v26, 0x4500e17e
	v_fmac_f32_e32 v25, v15, v24
	v_fmac_f32_e32 v33, v15, v32
	v_mov_b32_e32 v14, 0xc0c19ac7
	v_mov_b32_e32 v27, 0x43720178
	v_fmac_f32_e32 v26, v15, v25
	v_fmac_f32_e32 v19, v15, v33
	;; [unrolled: 1-line block ×4, first 2 shown]
	v_rcp_f32_e32 v21, v38
	v_mov_b32_e32 v22, 0xbab64f3b
	v_fmac_f32_e32 v22, 0x37d75334, v34
	v_div_fixup_f32 v15, v18, v16, v17
	v_div_scale_f32 v16, vcc, s2, v8, s2
	v_div_scale_f32 v18, s[0:1], v27, v27, v14
	v_div_scale_f32 v20, s[0:1], v14, v27, v14
	v_fma_f32 v24, -v38, v21, 1.0
	v_fmac_f32_e32 v21, v24, v21
	v_mov_b32_e32 v17, 0xbe2aaa9d
	v_fma_f32 v19, v34, v36, v17
	v_mul_f32_e32 v19, v34, v19
	v_fmac_f32_e32 v11, v11, v19
	v_mov_b32_e32 v19, 0xbab64f3b
	v_mov_b32_e32 v23, 0x3d2aabf7
	v_mul_f32_e32 v24, v16, v21
	v_fma_f32 v25, -v38, v24, v16
	v_fmac_f32_e32 v24, v25, v21
	v_rcp_f32_e32 v25, v18
	v_fma_f32 v16, -v38, v24, v16
	v_div_fmas_f32 v16, v16, v21, v24
	s_mov_b64 vcc, s[0:1]
	v_fma_f32 v21, -v18, v25, 1.0
	v_fmac_f32_e32 v25, v21, v25
	v_mul_f32_e32 v21, v20, v25
	v_fma_f32 v24, -v18, v21, v20
	v_fmac_f32_e32 v21, v24, v25
	v_fma_f32 v18, -v18, v21, v20
	v_div_fmas_f32 v18, v18, v25, v21
	v_fma_f32 v20, v34, v22, v23
	v_mov_b32_e32 v21, 0xbf000004
	v_fma_f32 v20, v34, v20, v21
	v_and_b32_e32 v22, 1, v10
	v_fma_f32 v20, v34, v20, 1.0
	v_cmp_eq_u32_e32 vcc, 0, v22
	s_movk_i32 s0, 0x1f8
	v_div_fixup_f32 v16, v16, v8, s2
	v_cndmask_b32_e64 v11, -v11, v20, vcc
	v_lshlrev_b32_e32 v10, 30, v10
	v_cmp_class_f32_e64 vcc, v6, s0
	v_xor_b32_e32 v6, v9, v6
	v_and_b32_e32 v10, 0x80000000, v10
	v_xor_b32_e32 v10, v10, v11
	v_mov_b32_e32 v11, 0x7fc00000
	v_div_fixup_f32 v14, v18, v27, v14
	v_mul_f32_e32 v14, v16, v14
	v_mul_f32_e32 v16, v13, v13
	v_fmac_f32_e32 v35, 0xb94c1982, v16
	v_fmac_f32_e32 v17, v16, v35
	;; [unrolled: 1-line block ×3, first 2 shown]
	v_mul_f32_e32 v17, v16, v17
	v_fmac_f32_e32 v23, v16, v19
	v_fmac_f32_e32 v13, v13, v17
	;; [unrolled: 1-line block ×3, first 2 shown]
	v_and_b32_e32 v17, 1, v12
	v_lshlrev_b32_e32 v12, 30, v12
	v_fma_f32 v16, v16, v21, 1.0
	v_cmp_eq_u32_e64 s[0:1], 0, v17
	v_and_b32_e32 v12, 0x80000000, v12
	v_cndmask_b32_e64 v13, v16, v13, s[0:1]
	v_xor_b32_e32 v6, v6, v12
	v_xor_b32_e32 v6, v6, v13
	s_mov_b32 s0, 0xf800000
	v_cndmask_b32_e32 v10, v11, v10, vcc
	v_cndmask_b32_e32 v6, v11, v6, vcc
	v_mul_f32_e32 v9, 0x4f800000, v8
	v_cmp_gt_f32_e32 vcc, s0, v8
	v_cndmask_b32_e32 v8, v8, v9, vcc
	v_sqrt_f32_e32 v9, v8
	v_mul_f32_e32 v6, v14, v6
	v_fmac_f32_e32 v6, v15, v10
	v_mul_f32_e32 v6, 0x3f4c422a, v6
	v_add_u32_e32 v10, -1, v9
	v_fma_f32 v11, -v10, v9, v8
	v_cmp_ge_f32_e64 s[0:1], 0, v11
	v_add_u32_e32 v11, 1, v9
	v_cndmask_b32_e64 v10, v9, v10, s[0:1]
	v_fma_f32 v9, -v11, v9, v8
	v_cmp_lt_f32_e64 s[0:1], 0, v9
	v_cndmask_b32_e64 v9, v10, v11, s[0:1]
	v_mul_f32_e32 v10, 0x37800000, v9
	v_cndmask_b32_e32 v9, v9, v10, vcc
	v_mov_b32_e32 v10, 0x260
	v_cmp_class_f32_e32 vcc, v8, v10
	v_cndmask_b32_e32 v8, v9, v8, vcc
	v_div_scale_f32 v9, s[0:1], v8, v8, v6
	v_div_scale_f32 v10, vcc, v6, v8, v6
	v_rcp_f32_e32 v11, v9
	v_fma_f32 v12, -v9, v11, 1.0
	v_fmac_f32_e32 v11, v12, v11
	v_mul_f32_e32 v12, v10, v11
	v_fma_f32 v13, -v9, v12, v10
	v_fmac_f32_e32 v12, v13, v11
	v_fma_f32 v9, -v9, v12, v10
	v_div_fmas_f32 v9, v9, v11, v12
	v_div_fixup_f32 v6, v9, v8, v6
.LBB19_104:
	s_or_b64 exec, exec, s[6:7]
	global_load_dword v7, v7, s[10:11]
	s_mov_b32 s0, 0x40a00000
	s_waitcnt vmcnt(0)
	v_cmp_gt_f32_e32 vcc, 0, v7
	v_cndmask_b32_e64 v8, v7, -v7, vcc
	v_cmp_ge_f32_e32 vcc, s0, v8
                                        ; implicit-def: $vgpr7
	s_and_saveexec_b64 s[0:1], vcc
	s_xor_b64 s[0:1], exec, s[0:1]
	s_cbranch_execz .LBB19_110
; %bb.105:
	s_mov_b32 s2, 0x3727c5ac
	v_cmp_ngt_f32_e32 vcc, s2, v8
	v_mul_f32_e32 v8, v8, v8
                                        ; implicit-def: $vgpr7
	s_and_saveexec_b64 s[2:3], vcc
	s_xor_b64 s[2:3], exec, s[2:3]
	s_cbranch_execz .LBB19_107
; %bb.106:
	v_mov_b32_e32 v7, 0xcf8ee29d
	v_fmac_f32_e32 v7, 0, v8
	v_mov_b32_e32 v9, 0x53e3ba8e
	v_fmac_f32_e32 v9, v8, v7
	;; [unrolled: 2-line block ×12, first 2 shown]
	v_add_f32_e32 v7, 0xc0b90fdc, v8
	v_add_f32_e32 v8, 0xc1f3c525, v8
	v_mul_f32_e32 v7, v7, v8
	v_mul_f32_e32 v7, v7, v9
	v_div_scale_f32 v8, s[4:5], v10, v10, v7
	v_div_scale_f32 v9, vcc, v7, v10, v7
	v_rcp_f32_e32 v11, v8
	v_fma_f32 v12, -v8, v11, 1.0
	v_fmac_f32_e32 v11, v12, v11
	v_mul_f32_e32 v12, v9, v11
	v_fma_f32 v13, -v8, v12, v9
	v_fmac_f32_e32 v12, v13, v11
	v_fma_f32 v8, -v8, v12, v9
	v_div_fmas_f32 v8, v8, v11, v12
	v_div_fixup_f32 v7, v8, v10, v7
                                        ; implicit-def: $vgpr8
.LBB19_107:
	s_andn2_saveexec_b64 s[2:3], s[2:3]
; %bb.108:
	s_mov_b32 s4, 0xbe800000
	v_fma_f32 v7, v8, s4, 1.0
; %bb.109:
	s_or_b64 exec, exec, s[2:3]
                                        ; implicit-def: $vgpr8
.LBB19_110:
	s_andn2_saveexec_b64 s[6:7], s[0:1]
	s_cbranch_execz .LBB19_120
; %bb.111:
	v_add_f32_e32 v7, 0xbf490fdb, v8
	v_and_b32_e32 v9, 0x7fffffff, v7
	s_brev_b32 s0, 18
	v_cmp_nlt_f32_e64 s[12:13], |v7|, s0
	v_lshrrev_b32_e32 v14, 23, v9
                                        ; implicit-def: $vgpr10
                                        ; implicit-def: $vgpr11
	s_and_saveexec_b64 s[0:1], s[12:13]
	s_xor_b64 s[14:15], exec, s[0:1]
	s_cbranch_execz .LBB19_113
; %bb.112:
	v_and_b32_e32 v10, 0x7fffff, v9
	v_or_b32_e32 v13, 0x800000, v10
	s_mov_b32 s0, 0xfe5163ab
	v_mad_u64_u32 v[10:11], s[0:1], v13, s0, 0
	v_mov_b32_e32 v12, 0
	s_mov_b32 s0, 0x3c439041
	v_mad_u64_u32 v[15:16], s[0:1], v13, s0, v[11:12]
	s_mov_b32 s0, 0xdb629599
	v_add_u32_e32 v20, 0xffffff88, v14
	v_mov_b32_e32 v11, v16
	v_mad_u64_u32 v[16:17], s[0:1], v13, s0, v[11:12]
	s_mov_b32 s0, 0xf534ddc0
	v_not_b32_e32 v21, 63
	v_mov_b32_e32 v11, v17
	v_mad_u64_u32 v[17:18], s[0:1], v13, s0, v[11:12]
	s_mov_b32 s0, 0xfc2757d1
	v_cmp_lt_u32_e32 vcc, 63, v20
	v_mov_b32_e32 v11, v18
	v_mad_u64_u32 v[18:19], s[0:1], v13, s0, v[11:12]
	v_cndmask_b32_e32 v11, 0, v21, vcc
	v_add_u32_e32 v21, v11, v20
	v_mov_b32_e32 v11, v19
	s_mov_b32 s0, 0x4e441529
	v_mad_u64_u32 v[19:20], s[0:1], v13, s0, v[11:12]
	v_not_b32_e32 v22, 31
	v_cmp_lt_u32_e64 s[0:1], 31, v21
	v_cndmask_b32_e64 v11, 0, v22, s[0:1]
	v_add_u32_e32 v21, v11, v21
	v_mov_b32_e32 v11, v20
	s_mov_b32 s2, 0xa2f9836e
	v_mad_u64_u32 v[11:12], s[2:3], v13, s2, v[11:12]
	v_cmp_lt_u32_e64 s[2:3], 31, v21
	v_cndmask_b32_e64 v13, 0, v22, s[2:3]
	v_cndmask_b32_e32 v20, v19, v17, vcc
	v_cndmask_b32_e32 v11, v11, v18, vcc
	;; [unrolled: 1-line block ×3, first 2 shown]
	v_add_u32_e32 v13, v13, v21
	v_cndmask_b32_e64 v21, v11, v20, s[0:1]
	v_cndmask_b32_e64 v11, v12, v11, s[0:1]
	v_cndmask_b32_e32 v12, v18, v16, vcc
	v_cndmask_b32_e64 v18, v20, v12, s[0:1]
	v_cndmask_b32_e64 v11, v11, v21, s[2:3]
	;; [unrolled: 1-line block ×3, first 2 shown]
	v_sub_u32_e32 v20, 32, v13
	v_alignbit_b32 v21, v11, v19, v20
	v_cmp_eq_u32_e64 s[4:5], 0, v13
	v_cndmask_b32_e64 v13, v21, v11, s[4:5]
	v_cndmask_b32_e32 v11, v17, v15, vcc
	v_cndmask_b32_e64 v12, v12, v11, s[0:1]
	v_cndmask_b32_e64 v15, v18, v12, s[2:3]
	v_alignbit_b32 v17, v19, v15, v20
	v_cndmask_b32_e32 v10, v16, v10, vcc
	v_cndmask_b32_e64 v17, v17, v19, s[4:5]
	v_bfe_u32 v21, v13, 29, 1
	v_cndmask_b32_e64 v10, v11, v10, s[0:1]
	v_alignbit_b32 v18, v13, v17, 30
	v_sub_u32_e32 v22, 0, v21
	v_cndmask_b32_e64 v10, v12, v10, s[2:3]
	v_xor_b32_e32 v18, v18, v22
	v_alignbit_b32 v11, v15, v10, v20
	v_cndmask_b32_e64 v11, v11, v15, s[4:5]
	v_ffbh_u32_e32 v15, v18
	v_alignbit_b32 v12, v17, v11, 30
	v_min_u32_e32 v15, 32, v15
	v_alignbit_b32 v10, v11, v10, 30
	v_xor_b32_e32 v12, v12, v22
	v_sub_u32_e32 v16, 31, v15
	v_xor_b32_e32 v10, v10, v22
	v_alignbit_b32 v17, v18, v12, v16
	v_alignbit_b32 v10, v12, v10, v16
	;; [unrolled: 1-line block ×3, first 2 shown]
	v_ffbh_u32_e32 v12, v11
	v_min_u32_e32 v12, 32, v12
	v_lshrrev_b32_e32 v19, 29, v13
	v_not_b32_e32 v16, v12
	v_alignbit_b32 v10, v11, v10, v16
	v_lshlrev_b32_e32 v11, 31, v19
	v_or_b32_e32 v16, 0x33000000, v11
	v_add_lshl_u32 v12, v12, v15, 23
	v_lshrrev_b32_e32 v10, 9, v10
	v_sub_u32_e32 v12, v16, v12
	v_or_b32_e32 v11, 0.5, v11
	v_lshlrev_b32_e32 v15, 23, v15
	v_or_b32_e32 v10, v12, v10
	v_lshrrev_b32_e32 v12, 9, v17
	v_sub_u32_e32 v11, v11, v15
	v_or_b32_e32 v11, v12, v11
	s_mov_b32 s0, 0x3fc90fda
	v_mul_f32_e32 v12, 0x3fc90fda, v11
	v_fma_f32 v15, v11, s0, -v12
	v_fmac_f32_e32 v15, 0x33a22168, v11
	v_fmac_f32_e32 v15, 0x3fc90fda, v10
	v_lshrrev_b32_e32 v10, 30, v13
	v_add_f32_e32 v11, v12, v15
	v_add_u32_e32 v10, v21, v10
	s_andn2_saveexec_b64 s[0:1], s[14:15]
	s_cbranch_execz .LBB19_115
	s_branch .LBB19_114
.LBB19_113:
	s_andn2_saveexec_b64 s[0:1], s[14:15]
	s_cbranch_execz .LBB19_115
.LBB19_114:
	s_mov_b32 s2, 0x3f22f983
	v_mul_f32_e64 v10, |v7|, s2
	v_rndne_f32_e32 v12, v10
	s_mov_b32 s2, 0xbfc90fda
	v_cvt_i32_f32_e32 v10, v12
	v_fma_f32 v11, v12, s2, |v7|
	v_fmac_f32_e32 v11, 0xb3a22168, v12
	v_fmac_f32_e32 v11, 0xa7c234c4, v12
.LBB19_115:
	s_or_b64 exec, exec, s[0:1]
                                        ; implicit-def: $vgpr12
                                        ; implicit-def: $vgpr13
	s_and_saveexec_b64 s[0:1], s[12:13]
	s_xor_b64 s[12:13], exec, s[0:1]
	s_cbranch_execz .LBB19_117
; %bb.116:
	v_and_b32_e32 v12, 0x7fffff, v9
	v_or_b32_e32 v21, 0x800000, v12
	s_mov_b32 s0, 0xfe5163ab
	v_mad_u64_u32 v[12:13], s[0:1], v21, s0, 0
	v_mov_b32_e32 v16, 0
	s_mov_b32 s0, 0x3c439041
	v_mov_b32_e32 v15, v13
	v_mad_u64_u32 v[17:18], s[0:1], v21, s0, v[15:16]
	s_mov_b32 s0, 0xdb629599
	v_add_u32_e32 v22, 0xffffff88, v14
	v_mov_b32_e32 v15, v18
	v_mad_u64_u32 v[18:19], s[0:1], v21, s0, v[15:16]
	s_mov_b32 s0, 0xf534ddc0
	v_not_b32_e32 v23, 63
	v_mov_b32_e32 v15, v19
	v_mad_u64_u32 v[19:20], s[0:1], v21, s0, v[15:16]
	s_mov_b32 s0, 0xfc2757d1
	v_cmp_lt_u32_e32 vcc, 63, v22
	v_mov_b32_e32 v15, v20
	v_mad_u64_u32 v[13:14], s[0:1], v21, s0, v[15:16]
	v_cndmask_b32_e32 v15, 0, v23, vcc
	v_add_u32_e32 v20, v15, v22
	v_mov_b32_e32 v15, v14
	s_mov_b32 s0, 0x4e441529
	v_mad_u64_u32 v[14:15], s[0:1], v21, s0, v[15:16]
	v_not_b32_e32 v22, 31
	v_cmp_lt_u32_e64 s[0:1], 31, v20
	s_mov_b32 s2, 0xa2f9836e
	v_cndmask_b32_e64 v23, 0, v22, s[0:1]
	v_mad_u64_u32 v[15:16], s[2:3], v21, s2, v[15:16]
	v_add_u32_e32 v20, v23, v20
	v_cmp_lt_u32_e64 s[2:3], 31, v20
	v_cndmask_b32_e64 v21, 0, v22, s[2:3]
	v_add_u32_e32 v20, v21, v20
	v_cndmask_b32_e32 v21, v14, v19, vcc
	v_cndmask_b32_e32 v15, v15, v13, vcc
	v_cndmask_b32_e32 v14, v16, v14, vcc
	v_cndmask_b32_e32 v13, v13, v18, vcc
	v_cndmask_b32_e64 v22, v15, v21, s[0:1]
	v_cndmask_b32_e64 v14, v14, v15, s[0:1]
	;; [unrolled: 1-line block ×3, first 2 shown]
	v_cndmask_b32_e32 v17, v19, v17, vcc
	v_cndmask_b32_e64 v14, v14, v22, s[2:3]
	v_cndmask_b32_e64 v16, v22, v15, s[2:3]
	v_sub_u32_e32 v21, 32, v20
	v_cndmask_b32_e64 v13, v13, v17, s[0:1]
	v_alignbit_b32 v22, v14, v16, v21
	v_cmp_eq_u32_e64 s[4:5], 0, v20
	v_cndmask_b32_e64 v15, v15, v13, s[2:3]
	v_cndmask_b32_e32 v12, v18, v12, vcc
	v_cndmask_b32_e64 v14, v22, v14, s[4:5]
	v_alignbit_b32 v19, v16, v15, v21
	v_cndmask_b32_e64 v12, v17, v12, s[0:1]
	v_cndmask_b32_e64 v16, v19, v16, s[4:5]
	v_bfe_u32 v22, v14, 29, 1
	v_cndmask_b32_e64 v12, v13, v12, s[2:3]
	v_alignbit_b32 v19, v14, v16, 30
	v_sub_u32_e32 v23, 0, v22
	v_alignbit_b32 v13, v15, v12, v21
	v_xor_b32_e32 v19, v19, v23
	v_cndmask_b32_e64 v13, v13, v15, s[4:5]
	v_alignbit_b32 v15, v16, v13, 30
	v_ffbh_u32_e32 v16, v19
	v_min_u32_e32 v16, 32, v16
	v_alignbit_b32 v12, v13, v12, 30
	v_xor_b32_e32 v15, v15, v23
	v_sub_u32_e32 v17, 31, v16
	v_xor_b32_e32 v12, v12, v23
	v_alignbit_b32 v18, v19, v15, v17
	v_alignbit_b32 v12, v15, v12, v17
	;; [unrolled: 1-line block ×3, first 2 shown]
	v_ffbh_u32_e32 v15, v13
	v_min_u32_e32 v15, 32, v15
	v_lshrrev_b32_e32 v20, 29, v14
	v_not_b32_e32 v17, v15
	v_alignbit_b32 v12, v13, v12, v17
	v_lshlrev_b32_e32 v13, 31, v20
	v_or_b32_e32 v17, 0x33000000, v13
	v_add_lshl_u32 v15, v15, v16, 23
	v_lshrrev_b32_e32 v12, 9, v12
	v_sub_u32_e32 v15, v17, v15
	v_or_b32_e32 v13, 0.5, v13
	v_lshlrev_b32_e32 v16, 23, v16
	v_or_b32_e32 v12, v15, v12
	v_lshrrev_b32_e32 v15, 9, v18
	v_sub_u32_e32 v13, v13, v16
	v_or_b32_e32 v13, v15, v13
	s_mov_b32 s0, 0x3fc90fda
	v_mul_f32_e32 v15, 0x3fc90fda, v13
	v_fma_f32 v16, v13, s0, -v15
	v_fmac_f32_e32 v16, 0x33a22168, v13
	v_fmac_f32_e32 v16, 0x3fc90fda, v12
	v_lshrrev_b32_e32 v12, 30, v14
	v_add_f32_e32 v13, v15, v16
	v_add_u32_e32 v12, v22, v12
	s_andn2_saveexec_b64 s[0:1], s[12:13]
	s_cbranch_execnz .LBB19_118
	s_branch .LBB19_119
.LBB19_117:
	s_andn2_saveexec_b64 s[0:1], s[12:13]
	s_cbranch_execz .LBB19_119
.LBB19_118:
	s_mov_b32 s2, 0x3f22f983
	v_mul_f32_e64 v12, |v7|, s2
	v_rndne_f32_e32 v14, v12
	s_mov_b32 s2, 0xbfc90fda
	v_cvt_i32_f32_e32 v12, v14
	v_fma_f32 v13, v14, s2, |v7|
	v_fmac_f32_e32 v13, 0xb3a22168, v14
	v_fmac_f32_e32 v13, 0xa7c234c4, v14
.LBB19_119:
	s_or_b64 exec, exec, s[0:1]
	v_mul_f32_e32 v15, v8, v8
	s_mov_b32 s2, 0x41c80000
	v_div_scale_f32 v14, s[0:1], v15, v15, s2
	v_div_scale_f32 v16, vcc, s2, v15, s2
	v_mov_b32_e32 v18, 0x3a50e985
	v_mov_b32_e32 v23, 0x3a725406
	;; [unrolled: 1-line block ×12, first 2 shown]
	v_rcp_f32_e32 v17, v14
	v_mov_b32_e32 v32, 0xc331ae61
	v_mov_b32_e32 v33, 0xc31313d7
	;; [unrolled: 1-line block ×3, first 2 shown]
	v_fma_f32 v21, -v14, v17, 1.0
	v_fmac_f32_e32 v17, v21, v17
	v_mul_f32_e32 v21, v16, v17
	v_fma_f32 v22, -v14, v21, v16
	v_fmac_f32_e32 v21, v22, v17
	v_fma_f32 v14, -v14, v21, v16
	v_div_fmas_f32 v16, v14, v17, v21
	v_mov_b32_e32 v17, 0x40ae4fdf
	v_mov_b32_e32 v21, 0x410bf463
	;; [unrolled: 1-line block ×5, first 2 shown]
	v_div_fixup_f32 v34, v16, v15, s2
	v_fmac_f32_e32 v18, 0, v34
	v_fmac_f32_e32 v23, 0, v34
	;; [unrolled: 1-line block ×12, first 2 shown]
	v_fma_f32 v17, v34, v28, 1.0
	v_fma_f32 v18, v34, v22, 1.0
	v_div_scale_f32 v19, s[0:1], v17, v17, v18
	v_div_scale_f32 v23, vcc, v18, v17, v18
	s_mov_b32 s2, 0xc0a00000
	v_mov_b32_e32 v21, 0x4280a2ba
	v_div_scale_f32 v38, s[0:1], v8, v8, s2
	v_fmac_f32_e32 v14, 0, v34
	v_mov_b32_e32 v22, 0x44561b86
	v_fmac_f32_e32 v21, 0, v34
	v_fmac_f32_e32 v29, v34, v14
	v_mov_b32_e32 v24, 0x4572a66e
	v_fmac_f32_e32 v22, v34, v21
	v_fmac_f32_e32 v30, v34, v29
	v_mov_b32_e32 v25, 0x45e243be
	v_rcp_f32_e32 v37, v19
	v_fmac_f32_e32 v24, v34, v22
	v_fmac_f32_e32 v31, v34, v30
	v_mov_b32_e32 v26, 0x45b955d1
	v_fma_f32 v39, -v19, v37, 1.0
	v_fmac_f32_e32 v37, v39, v37
	v_mul_f32_e32 v39, v23, v37
	v_fma_f32 v40, -v19, v39, v23
	v_fmac_f32_e32 v39, v40, v37
	v_fma_f32 v19, -v19, v39, v23
	v_div_fmas_f32 v19, v19, v37, v39
	v_fmac_f32_e32 v25, v34, v24
	v_fmac_f32_e32 v32, v34, v31
	v_mov_b32_e32 v20, 0xc24da463
	v_mov_b32_e32 v27, 0x4500e17e
	v_fmac_f32_e32 v26, v34, v25
	v_fmac_f32_e32 v33, v34, v32
	v_mov_b32_e32 v15, 0xc0c19ac7
	v_mov_b32_e32 v16, 0x43720178
	v_fmac_f32_e32 v27, v34, v26
	v_fmac_f32_e32 v20, v34, v33
	;; [unrolled: 1-line block ×4, first 2 shown]
	v_rcp_f32_e32 v22, v38
	v_mul_f32_e32 v28, v11, v11
	v_fmac_f32_e32 v36, 0xb94c1982, v28
	v_div_fixup_f32 v14, v19, v17, v18
	v_div_scale_f32 v17, vcc, s2, v8, s2
	v_div_scale_f32 v19, s[0:1], v16, v16, v15
	v_div_scale_f32 v21, s[0:1], v15, v16, v15
	v_fma_f32 v25, -v38, v22, 1.0
	v_fmac_f32_e32 v22, v25, v22
	v_mov_b32_e32 v18, 0xbe2aaa9d
	v_fma_f32 v20, v28, v36, v18
	v_mul_f32_e32 v20, v28, v20
	v_mov_b32_e32 v23, 0xbab64f3b
	v_fmac_f32_e32 v11, v11, v20
	v_mov_b32_e32 v20, 0xbab64f3b
	v_fmac_f32_e32 v23, 0x37d75334, v28
	v_mov_b32_e32 v24, 0x3d2aabf7
	v_mul_f32_e32 v25, v17, v22
	v_fma_f32 v26, -v38, v25, v17
	v_fmac_f32_e32 v25, v26, v22
	v_rcp_f32_e32 v26, v19
	v_fma_f32 v17, -v38, v25, v17
	v_div_fmas_f32 v17, v17, v22, v25
	s_mov_b64 vcc, s[0:1]
	v_fma_f32 v22, -v19, v26, 1.0
	v_fmac_f32_e32 v26, v22, v26
	v_mul_f32_e32 v22, v21, v26
	v_fma_f32 v25, -v19, v22, v21
	v_fmac_f32_e32 v22, v25, v26
	v_fma_f32 v19, -v19, v22, v21
	v_div_fmas_f32 v19, v19, v26, v22
	v_fma_f32 v21, v28, v23, v24
	v_mov_b32_e32 v22, 0xbf000004
	v_fma_f32 v21, v28, v21, v22
	v_and_b32_e32 v23, 1, v10
	v_fma_f32 v21, v28, v21, 1.0
	v_cmp_eq_u32_e32 vcc, 0, v23
	s_movk_i32 s0, 0x1f8
	v_div_fixup_f32 v17, v17, v8, s2
	v_cndmask_b32_e64 v11, -v11, v21, vcc
	v_lshlrev_b32_e32 v10, 30, v10
	v_cmp_class_f32_e64 vcc, v7, s0
	v_xor_b32_e32 v7, v9, v7
	v_and_b32_e32 v10, 0x80000000, v10
	v_xor_b32_e32 v10, v10, v11
	v_mov_b32_e32 v11, 0x7fc00000
	v_div_fixup_f32 v15, v19, v16, v15
	v_mul_f32_e32 v16, v13, v13
	v_fmac_f32_e32 v35, 0xb94c1982, v16
	v_fmac_f32_e32 v18, v16, v35
	;; [unrolled: 1-line block ×3, first 2 shown]
	v_mul_f32_e32 v15, v17, v15
	v_mul_f32_e32 v17, v16, v18
	v_fmac_f32_e32 v24, v16, v20
	v_fmac_f32_e32 v13, v13, v17
	;; [unrolled: 1-line block ×3, first 2 shown]
	v_and_b32_e32 v17, 1, v12
	v_lshlrev_b32_e32 v12, 30, v12
	v_fma_f32 v16, v16, v22, 1.0
	v_cmp_eq_u32_e64 s[0:1], 0, v17
	v_and_b32_e32 v12, 0x80000000, v12
	v_cndmask_b32_e64 v13, v16, v13, s[0:1]
	v_xor_b32_e32 v7, v7, v12
	v_xor_b32_e32 v7, v7, v13
	s_mov_b32 s0, 0xf800000
	v_cndmask_b32_e32 v10, v11, v10, vcc
	v_cndmask_b32_e32 v7, v11, v7, vcc
	v_mul_f32_e32 v9, 0x4f800000, v8
	v_cmp_gt_f32_e32 vcc, s0, v8
	v_cndmask_b32_e32 v8, v8, v9, vcc
	v_sqrt_f32_e32 v9, v8
	v_mul_f32_e32 v7, v15, v7
	v_fmac_f32_e32 v7, v14, v10
	v_mul_f32_e32 v7, 0x3f4c422a, v7
	v_add_u32_e32 v10, -1, v9
	v_fma_f32 v11, -v10, v9, v8
	v_cmp_ge_f32_e64 s[0:1], 0, v11
	v_add_u32_e32 v11, 1, v9
	v_cndmask_b32_e64 v10, v9, v10, s[0:1]
	v_fma_f32 v9, -v11, v9, v8
	v_cmp_lt_f32_e64 s[0:1], 0, v9
	v_cndmask_b32_e64 v9, v10, v11, s[0:1]
	v_mul_f32_e32 v10, 0x37800000, v9
	v_cndmask_b32_e32 v9, v9, v10, vcc
	v_mov_b32_e32 v10, 0x260
	v_cmp_class_f32_e32 vcc, v8, v10
	v_cndmask_b32_e32 v8, v9, v8, vcc
	v_div_scale_f32 v9, s[0:1], v8, v8, v7
	v_div_scale_f32 v10, vcc, v7, v8, v7
	v_rcp_f32_e32 v11, v9
	v_fma_f32 v12, -v9, v11, 1.0
	v_fmac_f32_e32 v11, v12, v11
	v_mul_f32_e32 v12, v10, v11
	v_fma_f32 v13, -v9, v12, v10
	v_fmac_f32_e32 v12, v13, v11
	v_fma_f32 v9, -v9, v12, v10
	v_div_fmas_f32 v9, v9, v11, v12
	v_div_fixup_f32 v7, v9, v8, v7
.LBB19_120:
	s_or_b64 exec, exec, s[6:7]
	global_load_dword v5, v5, s[10:11]
	s_mov_b32 s0, 0x40a00000
                                        ; implicit-def: $vgpr8
	s_waitcnt vmcnt(0)
	v_cmp_gt_f32_e32 vcc, 0, v5
	v_cndmask_b32_e64 v5, v5, -v5, vcc
	v_cmp_ge_f32_e32 vcc, s0, v5
	s_and_saveexec_b64 s[0:1], vcc
	s_xor_b64 s[0:1], exec, s[0:1]
	s_cbranch_execz .LBB19_126
; %bb.121:
	s_mov_b32 s2, 0x3727c5ac
	v_cmp_ngt_f32_e32 vcc, s2, v5
	v_mul_f32_e32 v5, v5, v5
                                        ; implicit-def: $vgpr8
	s_and_saveexec_b64 s[2:3], vcc
	s_xor_b64 s[2:3], exec, s[2:3]
	s_cbranch_execz .LBB19_123
; %bb.122:
	v_mov_b32_e32 v8, 0xcf8ee29d
	v_fmac_f32_e32 v8, 0, v5
	v_mov_b32_e32 v9, 0x53e3ba8e
	v_fmac_f32_e32 v9, v5, v8
	;; [unrolled: 2-line block ×12, first 2 shown]
	v_add_f32_e32 v8, 0xc0b90fdc, v5
	v_add_f32_e32 v5, 0xc1f3c525, v5
	v_mul_f32_e32 v5, v8, v5
	v_mul_f32_e32 v5, v5, v9
	v_div_scale_f32 v8, s[4:5], v10, v10, v5
	v_div_scale_f32 v9, vcc, v5, v10, v5
	v_rcp_f32_e32 v11, v8
	v_fma_f32 v12, -v8, v11, 1.0
	v_fmac_f32_e32 v11, v12, v11
	v_mul_f32_e32 v12, v9, v11
	v_fma_f32 v13, -v8, v12, v9
	v_fmac_f32_e32 v12, v13, v11
	v_fma_f32 v8, -v8, v12, v9
	v_div_fmas_f32 v8, v8, v11, v12
	v_div_fixup_f32 v8, v8, v10, v5
                                        ; implicit-def: $vgpr5
.LBB19_123:
	s_andn2_saveexec_b64 s[2:3], s[2:3]
; %bb.124:
	s_mov_b32 s4, 0xbe800000
	v_fma_f32 v8, v5, s4, 1.0
; %bb.125:
	s_or_b64 exec, exec, s[2:3]
                                        ; implicit-def: $vgpr5
.LBB19_126:
	s_andn2_saveexec_b64 s[6:7], s[0:1]
	s_cbranch_execz .LBB19_136
; %bb.127:
	v_add_f32_e32 v8, 0xbf490fdb, v5
	v_and_b32_e32 v9, 0x7fffffff, v8
	s_brev_b32 s0, 18
	v_cmp_nlt_f32_e64 s[10:11], |v8|, s0
	v_lshrrev_b32_e32 v14, 23, v9
                                        ; implicit-def: $vgpr10
                                        ; implicit-def: $vgpr11
	s_and_saveexec_b64 s[0:1], s[10:11]
	s_xor_b64 s[12:13], exec, s[0:1]
	s_cbranch_execz .LBB19_129
; %bb.128:
	v_and_b32_e32 v10, 0x7fffff, v9
	v_or_b32_e32 v13, 0x800000, v10
	s_mov_b32 s0, 0xfe5163ab
	v_mad_u64_u32 v[10:11], s[0:1], v13, s0, 0
	v_mov_b32_e32 v12, 0
	s_mov_b32 s0, 0x3c439041
	v_mad_u64_u32 v[15:16], s[0:1], v13, s0, v[11:12]
	s_mov_b32 s0, 0xdb629599
	v_add_u32_e32 v20, 0xffffff88, v14
	v_mov_b32_e32 v11, v16
	v_mad_u64_u32 v[16:17], s[0:1], v13, s0, v[11:12]
	s_mov_b32 s0, 0xf534ddc0
	v_not_b32_e32 v21, 63
	v_mov_b32_e32 v11, v17
	v_mad_u64_u32 v[17:18], s[0:1], v13, s0, v[11:12]
	s_mov_b32 s0, 0xfc2757d1
	v_cmp_lt_u32_e32 vcc, 63, v20
	v_mov_b32_e32 v11, v18
	v_mad_u64_u32 v[18:19], s[0:1], v13, s0, v[11:12]
	v_cndmask_b32_e32 v11, 0, v21, vcc
	v_add_u32_e32 v21, v11, v20
	v_mov_b32_e32 v11, v19
	s_mov_b32 s0, 0x4e441529
	v_mad_u64_u32 v[19:20], s[0:1], v13, s0, v[11:12]
	v_not_b32_e32 v22, 31
	v_cmp_lt_u32_e64 s[0:1], 31, v21
	v_cndmask_b32_e64 v11, 0, v22, s[0:1]
	v_add_u32_e32 v21, v11, v21
	v_mov_b32_e32 v11, v20
	s_mov_b32 s2, 0xa2f9836e
	v_mad_u64_u32 v[11:12], s[2:3], v13, s2, v[11:12]
	v_cmp_lt_u32_e64 s[2:3], 31, v21
	v_cndmask_b32_e64 v13, 0, v22, s[2:3]
	v_cndmask_b32_e32 v20, v19, v17, vcc
	v_cndmask_b32_e32 v11, v11, v18, vcc
	;; [unrolled: 1-line block ×3, first 2 shown]
	v_add_u32_e32 v13, v13, v21
	v_cndmask_b32_e64 v21, v11, v20, s[0:1]
	v_cndmask_b32_e64 v11, v12, v11, s[0:1]
	v_cndmask_b32_e32 v12, v18, v16, vcc
	v_cndmask_b32_e64 v18, v20, v12, s[0:1]
	v_cndmask_b32_e64 v11, v11, v21, s[2:3]
	;; [unrolled: 1-line block ×3, first 2 shown]
	v_sub_u32_e32 v20, 32, v13
	v_alignbit_b32 v21, v11, v19, v20
	v_cmp_eq_u32_e64 s[4:5], 0, v13
	v_cndmask_b32_e64 v13, v21, v11, s[4:5]
	v_cndmask_b32_e32 v11, v17, v15, vcc
	v_cndmask_b32_e64 v12, v12, v11, s[0:1]
	v_cndmask_b32_e64 v15, v18, v12, s[2:3]
	v_alignbit_b32 v17, v19, v15, v20
	v_cndmask_b32_e32 v10, v16, v10, vcc
	v_cndmask_b32_e64 v17, v17, v19, s[4:5]
	v_bfe_u32 v21, v13, 29, 1
	v_cndmask_b32_e64 v10, v11, v10, s[0:1]
	v_alignbit_b32 v18, v13, v17, 30
	v_sub_u32_e32 v22, 0, v21
	v_cndmask_b32_e64 v10, v12, v10, s[2:3]
	v_xor_b32_e32 v18, v18, v22
	v_alignbit_b32 v11, v15, v10, v20
	v_cndmask_b32_e64 v11, v11, v15, s[4:5]
	v_ffbh_u32_e32 v15, v18
	v_alignbit_b32 v12, v17, v11, 30
	v_min_u32_e32 v15, 32, v15
	v_alignbit_b32 v10, v11, v10, 30
	v_xor_b32_e32 v12, v12, v22
	v_sub_u32_e32 v16, 31, v15
	v_xor_b32_e32 v10, v10, v22
	v_alignbit_b32 v17, v18, v12, v16
	v_alignbit_b32 v10, v12, v10, v16
	v_alignbit_b32 v11, v17, v10, 9
	v_ffbh_u32_e32 v12, v11
	v_min_u32_e32 v12, 32, v12
	v_lshrrev_b32_e32 v19, 29, v13
	v_not_b32_e32 v16, v12
	v_alignbit_b32 v10, v11, v10, v16
	v_lshlrev_b32_e32 v11, 31, v19
	v_or_b32_e32 v16, 0x33000000, v11
	v_add_lshl_u32 v12, v12, v15, 23
	v_lshrrev_b32_e32 v10, 9, v10
	v_sub_u32_e32 v12, v16, v12
	v_or_b32_e32 v11, 0.5, v11
	v_lshlrev_b32_e32 v15, 23, v15
	v_or_b32_e32 v10, v12, v10
	v_lshrrev_b32_e32 v12, 9, v17
	v_sub_u32_e32 v11, v11, v15
	v_or_b32_e32 v11, v12, v11
	s_mov_b32 s0, 0x3fc90fda
	v_mul_f32_e32 v12, 0x3fc90fda, v11
	v_fma_f32 v15, v11, s0, -v12
	v_fmac_f32_e32 v15, 0x33a22168, v11
	v_fmac_f32_e32 v15, 0x3fc90fda, v10
	v_lshrrev_b32_e32 v10, 30, v13
	v_add_f32_e32 v11, v12, v15
	v_add_u32_e32 v10, v21, v10
	s_andn2_saveexec_b64 s[0:1], s[12:13]
	s_cbranch_execz .LBB19_131
	s_branch .LBB19_130
.LBB19_129:
	s_andn2_saveexec_b64 s[0:1], s[12:13]
	s_cbranch_execz .LBB19_131
.LBB19_130:
	s_mov_b32 s2, 0x3f22f983
	v_mul_f32_e64 v10, |v8|, s2
	v_rndne_f32_e32 v12, v10
	s_mov_b32 s2, 0xbfc90fda
	v_cvt_i32_f32_e32 v10, v12
	v_fma_f32 v11, v12, s2, |v8|
	v_fmac_f32_e32 v11, 0xb3a22168, v12
	v_fmac_f32_e32 v11, 0xa7c234c4, v12
.LBB19_131:
	s_or_b64 exec, exec, s[0:1]
                                        ; implicit-def: $vgpr12
                                        ; implicit-def: $vgpr13
	s_and_saveexec_b64 s[0:1], s[10:11]
	s_xor_b64 s[10:11], exec, s[0:1]
	s_cbranch_execz .LBB19_133
; %bb.132:
	v_and_b32_e32 v12, 0x7fffff, v9
	v_or_b32_e32 v21, 0x800000, v12
	s_mov_b32 s0, 0xfe5163ab
	v_mad_u64_u32 v[12:13], s[0:1], v21, s0, 0
	v_mov_b32_e32 v16, 0
	s_mov_b32 s0, 0x3c439041
	v_mov_b32_e32 v15, v13
	v_mad_u64_u32 v[17:18], s[0:1], v21, s0, v[15:16]
	s_mov_b32 s0, 0xdb629599
	v_add_u32_e32 v22, 0xffffff88, v14
	v_mov_b32_e32 v15, v18
	v_mad_u64_u32 v[18:19], s[0:1], v21, s0, v[15:16]
	s_mov_b32 s0, 0xf534ddc0
	v_not_b32_e32 v23, 63
	v_mov_b32_e32 v15, v19
	v_mad_u64_u32 v[19:20], s[0:1], v21, s0, v[15:16]
	s_mov_b32 s0, 0xfc2757d1
	v_cmp_lt_u32_e32 vcc, 63, v22
	v_mov_b32_e32 v15, v20
	v_mad_u64_u32 v[13:14], s[0:1], v21, s0, v[15:16]
	v_cndmask_b32_e32 v15, 0, v23, vcc
	v_add_u32_e32 v20, v15, v22
	v_mov_b32_e32 v15, v14
	s_mov_b32 s0, 0x4e441529
	v_mad_u64_u32 v[14:15], s[0:1], v21, s0, v[15:16]
	v_not_b32_e32 v22, 31
	v_cmp_lt_u32_e64 s[0:1], 31, v20
	s_mov_b32 s2, 0xa2f9836e
	v_cndmask_b32_e64 v23, 0, v22, s[0:1]
	v_mad_u64_u32 v[15:16], s[2:3], v21, s2, v[15:16]
	v_add_u32_e32 v20, v23, v20
	v_cmp_lt_u32_e64 s[2:3], 31, v20
	v_cndmask_b32_e64 v21, 0, v22, s[2:3]
	v_add_u32_e32 v20, v21, v20
	v_cndmask_b32_e32 v21, v14, v19, vcc
	v_cndmask_b32_e32 v15, v15, v13, vcc
	;; [unrolled: 1-line block ×4, first 2 shown]
	v_cndmask_b32_e64 v22, v15, v21, s[0:1]
	v_cndmask_b32_e64 v14, v14, v15, s[0:1]
	;; [unrolled: 1-line block ×3, first 2 shown]
	v_cndmask_b32_e32 v17, v19, v17, vcc
	v_cndmask_b32_e64 v14, v14, v22, s[2:3]
	v_cndmask_b32_e64 v16, v22, v15, s[2:3]
	v_sub_u32_e32 v21, 32, v20
	v_cndmask_b32_e64 v13, v13, v17, s[0:1]
	v_alignbit_b32 v22, v14, v16, v21
	v_cmp_eq_u32_e64 s[4:5], 0, v20
	v_cndmask_b32_e64 v15, v15, v13, s[2:3]
	v_cndmask_b32_e32 v12, v18, v12, vcc
	v_cndmask_b32_e64 v14, v22, v14, s[4:5]
	v_alignbit_b32 v19, v16, v15, v21
	v_cndmask_b32_e64 v12, v17, v12, s[0:1]
	v_cndmask_b32_e64 v16, v19, v16, s[4:5]
	v_bfe_u32 v22, v14, 29, 1
	v_cndmask_b32_e64 v12, v13, v12, s[2:3]
	v_alignbit_b32 v19, v14, v16, 30
	v_sub_u32_e32 v23, 0, v22
	v_alignbit_b32 v13, v15, v12, v21
	v_xor_b32_e32 v19, v19, v23
	v_cndmask_b32_e64 v13, v13, v15, s[4:5]
	v_alignbit_b32 v15, v16, v13, 30
	v_ffbh_u32_e32 v16, v19
	v_min_u32_e32 v16, 32, v16
	v_alignbit_b32 v12, v13, v12, 30
	v_xor_b32_e32 v15, v15, v23
	v_sub_u32_e32 v17, 31, v16
	v_xor_b32_e32 v12, v12, v23
	v_alignbit_b32 v18, v19, v15, v17
	v_alignbit_b32 v12, v15, v12, v17
	;; [unrolled: 1-line block ×3, first 2 shown]
	v_ffbh_u32_e32 v15, v13
	v_min_u32_e32 v15, 32, v15
	v_lshrrev_b32_e32 v20, 29, v14
	v_not_b32_e32 v17, v15
	v_alignbit_b32 v12, v13, v12, v17
	v_lshlrev_b32_e32 v13, 31, v20
	v_or_b32_e32 v17, 0x33000000, v13
	v_add_lshl_u32 v15, v15, v16, 23
	v_lshrrev_b32_e32 v12, 9, v12
	v_sub_u32_e32 v15, v17, v15
	v_or_b32_e32 v13, 0.5, v13
	v_lshlrev_b32_e32 v16, 23, v16
	v_or_b32_e32 v12, v15, v12
	v_lshrrev_b32_e32 v15, 9, v18
	v_sub_u32_e32 v13, v13, v16
	v_or_b32_e32 v13, v15, v13
	s_mov_b32 s0, 0x3fc90fda
	v_mul_f32_e32 v15, 0x3fc90fda, v13
	v_fma_f32 v16, v13, s0, -v15
	v_fmac_f32_e32 v16, 0x33a22168, v13
	v_fmac_f32_e32 v16, 0x3fc90fda, v12
	v_lshrrev_b32_e32 v12, 30, v14
	v_add_f32_e32 v13, v15, v16
	v_add_u32_e32 v12, v22, v12
	s_andn2_saveexec_b64 s[0:1], s[10:11]
	s_cbranch_execnz .LBB19_134
	s_branch .LBB19_135
.LBB19_133:
	s_andn2_saveexec_b64 s[0:1], s[10:11]
	s_cbranch_execz .LBB19_135
.LBB19_134:
	s_mov_b32 s2, 0x3f22f983
	v_mul_f32_e64 v12, |v8|, s2
	v_rndne_f32_e32 v14, v12
	s_mov_b32 s2, 0xbfc90fda
	v_cvt_i32_f32_e32 v12, v14
	v_fma_f32 v13, v14, s2, |v8|
	v_fmac_f32_e32 v13, 0xb3a22168, v14
	v_fmac_f32_e32 v13, 0xa7c234c4, v14
.LBB19_135:
	s_or_b64 exec, exec, s[0:1]
	v_mul_f32_e32 v14, v5, v5
	s_mov_b32 s2, 0x41c80000
	v_div_scale_f32 v15, s[0:1], v14, v14, s2
	v_div_scale_f32 v16, vcc, s2, v14, s2
	v_mov_b32_e32 v18, 0x3a50e985
	v_mov_b32_e32 v19, 0x3da9a586
	;; [unrolled: 1-line block ×12, first 2 shown]
	v_rcp_f32_e32 v17, v15
	v_mov_b32_e32 v32, 0xc331ae61
	v_mov_b32_e32 v33, 0xc31313d7
	v_mul_f32_e32 v34, v11, v11
	v_fma_f32 v21, -v15, v17, 1.0
	v_fmac_f32_e32 v17, v21, v17
	v_mul_f32_e32 v21, v16, v17
	v_fma_f32 v22, -v15, v21, v16
	v_fmac_f32_e32 v21, v22, v17
	v_fma_f32 v15, -v15, v21, v16
	v_div_fmas_f32 v15, v15, v17, v21
	v_mov_b32_e32 v22, 0x3a725406
	v_mov_b32_e32 v16, 0x40ae4fdf
	;; [unrolled: 1-line block ×5, first 2 shown]
	v_fmac_f32_e32 v36, 0xb94c1982, v34
	v_mov_b32_e32 v35, 0x3c0881c4
	v_div_fixup_f32 v15, v15, v14, s2
	v_fmac_f32_e32 v18, 0, v15
	v_fmac_f32_e32 v22, 0, v15
	;; [unrolled: 1-line block ×12, first 2 shown]
	v_fma_f32 v16, v15, v27, 1.0
	v_fma_f32 v17, v15, v21, 1.0
	v_div_scale_f32 v18, s[0:1], v16, v16, v17
	v_div_scale_f32 v22, vcc, v17, v16, v17
	v_mov_b32_e32 v20, 0x4280a2ba
	s_mov_b32 s2, 0xc0a00000
	v_fmac_f32_e32 v28, 0, v15
	v_mov_b32_e32 v21, 0x44561b86
	v_div_scale_f32 v38, s[0:1], v5, v5, s2
	v_fmac_f32_e32 v20, 0, v15
	v_fmac_f32_e32 v29, v15, v28
	v_mov_b32_e32 v23, 0x4572a66e
	v_fmac_f32_e32 v21, v15, v20
	v_fmac_f32_e32 v30, v15, v29
	v_mov_b32_e32 v24, 0x45e243be
	v_rcp_f32_e32 v37, v18
	v_fmac_f32_e32 v23, v15, v21
	v_fmac_f32_e32 v31, v15, v30
	v_mov_b32_e32 v25, 0x45b955d1
	v_fma_f32 v39, -v18, v37, 1.0
	v_fmac_f32_e32 v37, v39, v37
	v_mul_f32_e32 v39, v22, v37
	v_fma_f32 v40, -v18, v39, v22
	v_fmac_f32_e32 v39, v40, v37
	v_fma_f32 v18, -v18, v39, v22
	v_div_fmas_f32 v18, v18, v37, v39
	v_fmac_f32_e32 v24, v15, v23
	v_fmac_f32_e32 v32, v15, v31
	v_mov_b32_e32 v19, 0xc24da463
	v_mov_b32_e32 v26, 0x4500e17e
	v_fmac_f32_e32 v25, v15, v24
	v_fmac_f32_e32 v33, v15, v32
	v_mov_b32_e32 v14, 0xc0c19ac7
	v_mov_b32_e32 v27, 0x43720178
	v_fmac_f32_e32 v26, v15, v25
	v_fmac_f32_e32 v19, v15, v33
	;; [unrolled: 1-line block ×4, first 2 shown]
	v_rcp_f32_e32 v21, v38
	v_mov_b32_e32 v22, 0xbab64f3b
	v_fmac_f32_e32 v22, 0x37d75334, v34
	v_div_fixup_f32 v15, v18, v16, v17
	v_div_scale_f32 v16, vcc, s2, v5, s2
	v_div_scale_f32 v18, s[0:1], v27, v27, v14
	v_div_scale_f32 v20, s[0:1], v14, v27, v14
	v_fma_f32 v24, -v38, v21, 1.0
	v_fmac_f32_e32 v21, v24, v21
	v_mov_b32_e32 v17, 0xbe2aaa9d
	v_fma_f32 v19, v34, v36, v17
	v_mul_f32_e32 v19, v34, v19
	v_fmac_f32_e32 v11, v11, v19
	v_mov_b32_e32 v19, 0xbab64f3b
	v_mov_b32_e32 v23, 0x3d2aabf7
	v_mul_f32_e32 v24, v16, v21
	v_fma_f32 v25, -v38, v24, v16
	v_fmac_f32_e32 v24, v25, v21
	v_rcp_f32_e32 v25, v18
	v_fma_f32 v16, -v38, v24, v16
	v_div_fmas_f32 v16, v16, v21, v24
	s_mov_b64 vcc, s[0:1]
	v_fma_f32 v21, -v18, v25, 1.0
	v_fmac_f32_e32 v25, v21, v25
	v_mul_f32_e32 v21, v20, v25
	v_fma_f32 v24, -v18, v21, v20
	v_fmac_f32_e32 v21, v24, v25
	v_fma_f32 v18, -v18, v21, v20
	v_div_fmas_f32 v18, v18, v25, v21
	v_fma_f32 v20, v34, v22, v23
	v_mov_b32_e32 v21, 0xbf000004
	v_fma_f32 v20, v34, v20, v21
	v_and_b32_e32 v22, 1, v10
	v_fma_f32 v20, v34, v20, 1.0
	v_cmp_eq_u32_e32 vcc, 0, v22
	s_movk_i32 s0, 0x1f8
	v_div_fixup_f32 v16, v16, v5, s2
	v_cndmask_b32_e64 v11, -v11, v20, vcc
	v_lshlrev_b32_e32 v10, 30, v10
	v_cmp_class_f32_e64 vcc, v8, s0
	v_xor_b32_e32 v8, v9, v8
	v_and_b32_e32 v10, 0x80000000, v10
	v_xor_b32_e32 v10, v10, v11
	v_mov_b32_e32 v11, 0x7fc00000
	v_div_fixup_f32 v14, v18, v27, v14
	v_mul_f32_e32 v14, v16, v14
	v_mul_f32_e32 v16, v13, v13
	v_fmac_f32_e32 v35, 0xb94c1982, v16
	v_fmac_f32_e32 v17, v16, v35
	;; [unrolled: 1-line block ×3, first 2 shown]
	v_mul_f32_e32 v17, v16, v17
	v_fmac_f32_e32 v23, v16, v19
	v_fmac_f32_e32 v13, v13, v17
	;; [unrolled: 1-line block ×3, first 2 shown]
	v_and_b32_e32 v17, 1, v12
	v_lshlrev_b32_e32 v12, 30, v12
	v_fma_f32 v16, v16, v21, 1.0
	v_cmp_eq_u32_e64 s[0:1], 0, v17
	v_and_b32_e32 v12, 0x80000000, v12
	v_cndmask_b32_e64 v13, v16, v13, s[0:1]
	v_xor_b32_e32 v8, v8, v12
	v_xor_b32_e32 v8, v8, v13
	s_mov_b32 s0, 0xf800000
	v_cndmask_b32_e32 v10, v11, v10, vcc
	v_cndmask_b32_e32 v8, v11, v8, vcc
	v_mul_f32_e32 v9, 0x4f800000, v5
	v_cmp_gt_f32_e32 vcc, s0, v5
	v_cndmask_b32_e32 v5, v5, v9, vcc
	v_sqrt_f32_e32 v9, v5
	v_mul_f32_e32 v8, v14, v8
	v_fmac_f32_e32 v8, v15, v10
	v_mul_f32_e32 v8, 0x3f4c422a, v8
	v_add_u32_e32 v10, -1, v9
	v_fma_f32 v11, -v10, v9, v5
	v_cmp_ge_f32_e64 s[0:1], 0, v11
	v_add_u32_e32 v11, 1, v9
	v_cndmask_b32_e64 v10, v9, v10, s[0:1]
	v_fma_f32 v9, -v11, v9, v5
	v_cmp_lt_f32_e64 s[0:1], 0, v9
	v_cndmask_b32_e64 v9, v10, v11, s[0:1]
	v_mul_f32_e32 v10, 0x37800000, v9
	v_cndmask_b32_e32 v9, v9, v10, vcc
	v_mov_b32_e32 v10, 0x260
	v_cmp_class_f32_e32 vcc, v5, v10
	v_cndmask_b32_e32 v5, v9, v5, vcc
	v_div_scale_f32 v9, s[0:1], v5, v5, v8
	v_div_scale_f32 v10, vcc, v8, v5, v8
	v_rcp_f32_e32 v11, v9
	v_fma_f32 v12, -v9, v11, 1.0
	v_fmac_f32_e32 v11, v12, v11
	v_mul_f32_e32 v12, v10, v11
	v_fma_f32 v13, -v9, v12, v10
	v_fmac_f32_e32 v12, v13, v11
	v_fma_f32 v9, -v9, v12, v10
	v_div_fmas_f32 v9, v9, v11, v12
	v_div_fixup_f32 v8, v9, v5, v8
.LBB19_136:
	s_or_b64 exec, exec, s[6:7]
	global_store_dword v0, v4, s[8:9]
	global_store_dword v1, v6, s[8:9]
	global_store_dword v2, v7, s[8:9]
	global_store_dword v3, v8, s[8:9]
	s_endpgm
.LBB19_137:
	v_mov_b32_e32 v0, 0
	v_mov_b32_e32 v2, 0
	s_branch .LBB19_143
.LBB19_138:
	v_mov_b32_e32 v0, 0
	v_mov_b32_e32 v2, 0
	s_branch .LBB19_175
.LBB19_139:
	s_mov_b32 s57, 0
	v_mov_b32_e32 v0, 0
	v_mov_b32_e32 v2, 0
	;; [unrolled: 1-line block ×3, first 2 shown]
.LBB19_140:
	s_and_b32 s4, s58, 3
	s_cmp_eq_u32 s4, 0
	s_cbranch_scc1 .LBB19_143
; %bb.141:
	s_lshl_b32 s0, s57, 3
	s_add_u32 s0, s34, s0
	s_addc_u32 s1, s35, 0
	s_add_u32 s0, s0, 0xc4
	s_addc_u32 s1, s1, 0
	s_mul_i32 s2, s57, 12
	s_add_u32 s2, s34, s2
	s_addc_u32 s3, s35, 0
.LBB19_142:                             ; =>This Inner Loop Header: Depth=1
	s_load_dwordx2 s[6:7], s[2:3], 0x4
	s_load_dword s5, s[2:3], 0xc
	s_load_dwordx2 s[8:9], s[0:1], 0x0
	s_add_u32 s2, s2, 12
	s_addc_u32 s3, s3, 0
	s_waitcnt lgkmcnt(0)
	v_mul_hi_u32 v3, s7, v1
	s_add_u32 s0, s0, 8
	s_addc_u32 s1, s1, 0
	s_add_i32 s4, s4, -1
	v_add_u32_e32 v3, v1, v3
	v_lshrrev_b32_e32 v5, s5, v3
	v_mul_lo_u32 v3, v5, s6
	s_cmp_lg_u32 s4, 0
	v_sub_u32_e32 v3, v1, v3
	v_mad_u64_u32 v[0:1], s[6:7], v3, s8, v[0:1]
	v_mad_u64_u32 v[2:3], s[6:7], v3, s9, v[2:3]
	v_mov_b32_e32 v1, v5
	s_cbranch_scc1 .LBB19_142
.LBB19_143:
	s_cbranch_execnz .LBB19_146
.LBB19_144:
	s_waitcnt lgkmcnt(0)
	v_mul_hi_u32 v0, s25, v4
	s_andn2_b64 vcc, exec, s[42:43]
	v_add_u32_e32 v0, v4, v0
	v_lshrrev_b32_e32 v1, s26, v0
	v_mul_lo_u32 v0, v1, s24
	v_sub_u32_e32 v2, v4, v0
	v_mul_lo_u32 v0, v2, s20
	v_mul_lo_u32 v2, v2, s21
	s_cbranch_vccnz .LBB19_146
; %bb.145:
	v_mul_hi_u32 v3, s40, v1
	v_add_u32_e32 v3, v1, v3
	v_lshrrev_b32_e32 v3, s41, v3
	v_mul_lo_u32 v3, v3, s27
	v_sub_u32_e32 v3, v1, v3
	v_mad_u64_u32 v[0:1], s[0:1], v3, s22, v[0:1]
	v_mad_u64_u32 v[2:3], s[0:1], v3, s23, v[2:3]
.LBB19_146:
	s_waitcnt lgkmcnt(0)
	global_load_dword v1, v2, s[18:19]
	s_mov_b32 s0, 0x40a00000
                                        ; implicit-def: $vgpr2
	s_waitcnt vmcnt(0)
	v_cmp_gt_f32_e32 vcc, 0, v1
	v_cndmask_b32_e64 v1, v1, -v1, vcc
	v_cmp_ge_f32_e32 vcc, s0, v1
	v_mul_f32_e32 v5, v1, v1
	s_and_saveexec_b64 s[0:1], vcc
	s_xor_b64 s[0:1], exec, s[0:1]
	s_cbranch_execz .LBB19_152
; %bb.147:
	s_mov_b32 s2, 0x3727c5ac
	v_cmp_ngt_f32_e32 vcc, s2, v1
                                        ; implicit-def: $vgpr2
	s_and_saveexec_b64 s[2:3], vcc
	s_xor_b64 s[2:3], exec, s[2:3]
	s_cbranch_execz .LBB19_149
; %bb.148:
	v_mov_b32_e32 v1, 0xcf8ee29d
	v_fmac_f32_e32 v1, 0, v5
	v_mov_b32_e32 v2, 0x53e3ba8e
	v_fmac_f32_e32 v2, v5, v1
	;; [unrolled: 2-line block ×12, first 2 shown]
	v_add_f32_e32 v1, 0xc0b90fdc, v5
	v_add_f32_e32 v5, 0xc1f3c525, v5
	v_mul_f32_e32 v1, v1, v5
	v_mul_f32_e32 v1, v1, v2
	v_div_scale_f32 v2, s[4:5], v3, v3, v1
	v_div_scale_f32 v5, vcc, v1, v3, v1
	v_rcp_f32_e32 v6, v2
	v_fma_f32 v7, -v2, v6, 1.0
	v_fmac_f32_e32 v6, v7, v6
	v_mul_f32_e32 v7, v5, v6
	v_fma_f32 v8, -v2, v7, v5
	v_fmac_f32_e32 v7, v8, v6
	v_fma_f32 v2, -v2, v7, v5
	v_div_fmas_f32 v2, v2, v6, v7
                                        ; implicit-def: $vgpr5
	v_div_fixup_f32 v2, v2, v3, v1
.LBB19_149:
	s_andn2_saveexec_b64 s[2:3], s[2:3]
; %bb.150:
	s_mov_b32 s4, 0xbe800000
	v_fma_f32 v2, v5, s4, 1.0
; %bb.151:
	s_or_b64 exec, exec, s[2:3]
                                        ; implicit-def: $vgpr5
                                        ; implicit-def: $vgpr1
.LBB19_152:
	s_andn2_saveexec_b64 s[6:7], s[0:1]
	s_cbranch_execz .LBB19_162
; %bb.153:
	v_add_f32_e32 v2, 0xbf490fdb, v1
	s_brev_b32 s0, 18
	v_and_b32_e32 v3, 0x7fffffff, v2
	v_cmp_nlt_f32_e64 s[8:9], |v2|, s0
                                        ; implicit-def: $vgpr6
                                        ; implicit-def: $vgpr7
	s_and_saveexec_b64 s[0:1], s[8:9]
	s_xor_b64 s[10:11], exec, s[0:1]
	s_cbranch_execz .LBB19_155
; %bb.154:
	v_and_b32_e32 v6, 0x7fffff, v3
	v_or_b32_e32 v15, 0x800000, v6
	s_mov_b32 s0, 0xfe5163ab
	v_mad_u64_u32 v[6:7], s[0:1], v15, s0, 0
	v_mov_b32_e32 v8, 0
	s_mov_b32 s0, 0x3c439041
	v_mad_u64_u32 v[9:10], s[0:1], v15, s0, v[7:8]
	s_mov_b32 s0, 0xdb629599
	v_not_b32_e32 v14, 63
	v_mov_b32_e32 v7, v10
	v_mad_u64_u32 v[10:11], s[0:1], v15, s0, v[7:8]
	s_mov_b32 s0, 0xf534ddc0
	v_not_b32_e32 v17, 31
	v_mov_b32_e32 v7, v11
	v_mad_u64_u32 v[11:12], s[0:1], v15, s0, v[7:8]
	v_lshrrev_b32_e32 v7, 23, v3
	v_add_u32_e32 v16, 0xffffff88, v7
	v_mov_b32_e32 v7, v12
	s_mov_b32 s0, 0xfc2757d1
	v_mad_u64_u32 v[12:13], s[0:1], v15, s0, v[7:8]
	v_cmp_lt_u32_e32 vcc, 63, v16
	v_cndmask_b32_e32 v7, 0, v14, vcc
	v_add_u32_e32 v16, v7, v16
	v_mov_b32_e32 v7, v13
	s_mov_b32 s0, 0x4e441529
	v_mad_u64_u32 v[13:14], s[0:1], v15, s0, v[7:8]
	v_cmp_lt_u32_e64 s[0:1], 31, v16
	v_cndmask_b32_e64 v7, 0, v17, s[0:1]
	v_add_u32_e32 v16, v7, v16
	v_mov_b32_e32 v7, v14
	s_mov_b32 s2, 0xa2f9836e
	v_mad_u64_u32 v[7:8], s[2:3], v15, s2, v[7:8]
	v_cmp_lt_u32_e64 s[2:3], 31, v16
	v_cndmask_b32_e64 v14, 0, v17, s[2:3]
	v_cndmask_b32_e32 v15, v13, v11, vcc
	v_cndmask_b32_e32 v7, v7, v12, vcc
	;; [unrolled: 1-line block ×3, first 2 shown]
	v_add_u32_e32 v14, v14, v16
	v_cndmask_b32_e64 v16, v7, v15, s[0:1]
	v_cndmask_b32_e64 v7, v8, v7, s[0:1]
	v_cndmask_b32_e32 v8, v12, v10, vcc
	v_cndmask_b32_e64 v12, v15, v8, s[0:1]
	v_cndmask_b32_e64 v7, v7, v16, s[2:3]
	;; [unrolled: 1-line block ×3, first 2 shown]
	v_sub_u32_e32 v15, 32, v14
	v_alignbit_b32 v16, v7, v13, v15
	v_cmp_eq_u32_e64 s[4:5], 0, v14
	v_cndmask_b32_e64 v14, v16, v7, s[4:5]
	v_cndmask_b32_e32 v7, v11, v9, vcc
	v_cndmask_b32_e64 v8, v8, v7, s[0:1]
	v_cndmask_b32_e64 v9, v12, v8, s[2:3]
	v_alignbit_b32 v11, v13, v9, v15
	v_cndmask_b32_e32 v6, v10, v6, vcc
	v_cndmask_b32_e64 v11, v11, v13, s[4:5]
	v_bfe_u32 v16, v14, 29, 1
	v_cndmask_b32_e64 v6, v7, v6, s[0:1]
	v_alignbit_b32 v12, v14, v11, 30
	v_sub_u32_e32 v17, 0, v16
	v_cndmask_b32_e64 v6, v8, v6, s[2:3]
	v_xor_b32_e32 v12, v12, v17
	v_alignbit_b32 v7, v9, v6, v15
	v_cndmask_b32_e64 v7, v7, v9, s[4:5]
	v_ffbh_u32_e32 v9, v12
	v_alignbit_b32 v8, v11, v7, 30
	v_min_u32_e32 v9, 32, v9
	v_alignbit_b32 v6, v7, v6, 30
	v_xor_b32_e32 v8, v8, v17
	v_sub_u32_e32 v10, 31, v9
	v_xor_b32_e32 v6, v6, v17
	v_alignbit_b32 v11, v12, v8, v10
	v_alignbit_b32 v6, v8, v6, v10
	;; [unrolled: 1-line block ×3, first 2 shown]
	v_ffbh_u32_e32 v8, v7
	v_min_u32_e32 v8, 32, v8
	v_lshrrev_b32_e32 v13, 29, v14
	v_not_b32_e32 v10, v8
	v_alignbit_b32 v6, v7, v6, v10
	v_lshlrev_b32_e32 v7, 31, v13
	v_or_b32_e32 v10, 0x33000000, v7
	v_add_lshl_u32 v8, v8, v9, 23
	v_lshrrev_b32_e32 v6, 9, v6
	v_sub_u32_e32 v8, v10, v8
	v_or_b32_e32 v7, 0.5, v7
	v_lshlrev_b32_e32 v9, 23, v9
	v_or_b32_e32 v6, v8, v6
	v_lshrrev_b32_e32 v8, 9, v11
	v_sub_u32_e32 v7, v7, v9
	v_or_b32_e32 v7, v8, v7
	s_mov_b32 s0, 0x3fc90fda
	v_mul_f32_e32 v8, 0x3fc90fda, v7
	v_fma_f32 v9, v7, s0, -v8
	v_fmac_f32_e32 v9, 0x33a22168, v7
	v_fmac_f32_e32 v9, 0x3fc90fda, v6
	v_lshrrev_b32_e32 v6, 30, v14
	v_add_f32_e32 v7, v8, v9
	v_add_u32_e32 v6, v16, v6
	s_andn2_saveexec_b64 s[0:1], s[10:11]
	s_cbranch_execz .LBB19_157
	s_branch .LBB19_156
.LBB19_155:
	s_andn2_saveexec_b64 s[0:1], s[10:11]
	s_cbranch_execz .LBB19_157
.LBB19_156:
	s_mov_b32 s2, 0x3f22f983
	v_mul_f32_e64 v6, |v2|, s2
	v_rndne_f32_e32 v8, v6
	s_mov_b32 s2, 0xbfc90fda
	v_cvt_i32_f32_e32 v6, v8
	v_fma_f32 v7, v8, s2, |v2|
	v_fmac_f32_e32 v7, 0xb3a22168, v8
	v_fmac_f32_e32 v7, 0xa7c234c4, v8
.LBB19_157:
	s_or_b64 exec, exec, s[0:1]
                                        ; implicit-def: $vgpr8
                                        ; implicit-def: $vgpr9
	s_and_saveexec_b64 s[0:1], s[8:9]
	s_xor_b64 s[8:9], exec, s[0:1]
	s_cbranch_execz .LBB19_159
; %bb.158:
	v_and_b32_e32 v8, 0x7fffff, v3
	v_or_b32_e32 v17, 0x800000, v8
	s_mov_b32 s0, 0xfe5163ab
	v_mad_u64_u32 v[8:9], s[0:1], v17, s0, 0
	v_mov_b32_e32 v10, 0
	s_mov_b32 s0, 0x3c439041
	v_mad_u64_u32 v[11:12], s[0:1], v17, s0, v[9:10]
	s_mov_b32 s0, 0xdb629599
	v_not_b32_e32 v16, 63
	v_mov_b32_e32 v9, v12
	v_mad_u64_u32 v[12:13], s[0:1], v17, s0, v[9:10]
	s_mov_b32 s0, 0xf534ddc0
	v_not_b32_e32 v19, 31
	v_mov_b32_e32 v9, v13
	v_mad_u64_u32 v[13:14], s[0:1], v17, s0, v[9:10]
	v_lshrrev_b32_e32 v9, 23, v3
	v_add_u32_e32 v18, 0xffffff88, v9
	v_mov_b32_e32 v9, v14
	s_mov_b32 s0, 0xfc2757d1
	v_mad_u64_u32 v[14:15], s[0:1], v17, s0, v[9:10]
	v_cmp_lt_u32_e32 vcc, 63, v18
	v_cndmask_b32_e32 v9, 0, v16, vcc
	v_add_u32_e32 v18, v9, v18
	v_mov_b32_e32 v9, v15
	s_mov_b32 s0, 0x4e441529
	v_mad_u64_u32 v[15:16], s[0:1], v17, s0, v[9:10]
	v_cmp_lt_u32_e64 s[0:1], 31, v18
	v_cndmask_b32_e64 v9, 0, v19, s[0:1]
	v_add_u32_e32 v18, v9, v18
	v_mov_b32_e32 v9, v16
	s_mov_b32 s2, 0xa2f9836e
	v_mad_u64_u32 v[9:10], s[2:3], v17, s2, v[9:10]
	v_cmp_lt_u32_e64 s[2:3], 31, v18
	v_cndmask_b32_e64 v16, 0, v19, s[2:3]
	v_cndmask_b32_e32 v17, v15, v13, vcc
	v_cndmask_b32_e32 v9, v9, v14, vcc
	;; [unrolled: 1-line block ×3, first 2 shown]
	v_add_u32_e32 v16, v16, v18
	v_cndmask_b32_e64 v18, v9, v17, s[0:1]
	v_cndmask_b32_e64 v9, v10, v9, s[0:1]
	v_cndmask_b32_e32 v10, v14, v12, vcc
	v_cndmask_b32_e64 v14, v17, v10, s[0:1]
	v_cndmask_b32_e64 v9, v9, v18, s[2:3]
	;; [unrolled: 1-line block ×3, first 2 shown]
	v_sub_u32_e32 v17, 32, v16
	v_alignbit_b32 v18, v9, v15, v17
	v_cmp_eq_u32_e64 s[4:5], 0, v16
	v_cndmask_b32_e64 v16, v18, v9, s[4:5]
	v_cndmask_b32_e32 v9, v13, v11, vcc
	v_cndmask_b32_e64 v10, v10, v9, s[0:1]
	v_cndmask_b32_e64 v11, v14, v10, s[2:3]
	v_alignbit_b32 v13, v15, v11, v17
	v_cndmask_b32_e32 v8, v12, v8, vcc
	v_cndmask_b32_e64 v13, v13, v15, s[4:5]
	v_bfe_u32 v18, v16, 29, 1
	v_cndmask_b32_e64 v8, v9, v8, s[0:1]
	v_alignbit_b32 v14, v16, v13, 30
	v_sub_u32_e32 v19, 0, v18
	v_cndmask_b32_e64 v8, v10, v8, s[2:3]
	v_xor_b32_e32 v14, v14, v19
	v_alignbit_b32 v9, v11, v8, v17
	v_cndmask_b32_e64 v9, v9, v11, s[4:5]
	v_ffbh_u32_e32 v11, v14
	v_alignbit_b32 v10, v13, v9, 30
	v_min_u32_e32 v11, 32, v11
	v_alignbit_b32 v8, v9, v8, 30
	v_xor_b32_e32 v10, v10, v19
	v_sub_u32_e32 v12, 31, v11
	v_xor_b32_e32 v8, v8, v19
	v_alignbit_b32 v13, v14, v10, v12
	v_alignbit_b32 v8, v10, v8, v12
	;; [unrolled: 1-line block ×3, first 2 shown]
	v_ffbh_u32_e32 v10, v9
	v_min_u32_e32 v10, 32, v10
	v_lshrrev_b32_e32 v15, 29, v16
	v_not_b32_e32 v12, v10
	v_alignbit_b32 v8, v9, v8, v12
	v_lshlrev_b32_e32 v9, 31, v15
	v_or_b32_e32 v12, 0x33000000, v9
	v_add_lshl_u32 v10, v10, v11, 23
	v_lshrrev_b32_e32 v8, 9, v8
	v_sub_u32_e32 v10, v12, v10
	v_or_b32_e32 v9, 0.5, v9
	v_lshlrev_b32_e32 v11, 23, v11
	v_or_b32_e32 v8, v10, v8
	v_lshrrev_b32_e32 v10, 9, v13
	v_sub_u32_e32 v9, v9, v11
	v_or_b32_e32 v9, v10, v9
	s_mov_b32 s0, 0x3fc90fda
	v_mul_f32_e32 v10, 0x3fc90fda, v9
	v_fma_f32 v11, v9, s0, -v10
	v_fmac_f32_e32 v11, 0x33a22168, v9
	v_fmac_f32_e32 v11, 0x3fc90fda, v8
	v_lshrrev_b32_e32 v8, 30, v16
	v_add_f32_e32 v9, v10, v11
	v_add_u32_e32 v8, v18, v8
	s_andn2_saveexec_b64 s[0:1], s[8:9]
	s_cbranch_execnz .LBB19_160
	s_branch .LBB19_161
.LBB19_159:
	s_andn2_saveexec_b64 s[0:1], s[8:9]
	s_cbranch_execz .LBB19_161
.LBB19_160:
	s_mov_b32 s2, 0x3f22f983
	v_mul_f32_e64 v8, |v2|, s2
	v_rndne_f32_e32 v10, v8
	s_mov_b32 s2, 0xbfc90fda
	v_cvt_i32_f32_e32 v8, v10
	v_fma_f32 v9, v10, s2, |v2|
	v_fmac_f32_e32 v9, 0xb3a22168, v10
	v_fmac_f32_e32 v9, 0xa7c234c4, v10
.LBB19_161:
	s_or_b64 exec, exec, s[0:1]
	s_mov_b32 s2, 0x41c80000
	v_div_scale_f32 v10, s[0:1], v5, v5, s2
	v_div_scale_f32 v11, vcc, s2, v5, s2
	v_mov_b32_e32 v12, 0x3a50e985
	v_mov_b32_e32 v14, 0x3da9a586
	;; [unrolled: 1-line block ×9, first 2 shown]
	s_mov_b32 s4, 0xc0a00000
	v_mov_b32_e32 v24, 0xbfa429da
	v_div_scale_f32 v33, s[0:1], v1, v1, s4
	v_rcp_f32_e32 v13, v10
	v_mov_b32_e32 v25, 0xc19c6e80
	v_mov_b32_e32 v26, 0xc2ba697b
	;; [unrolled: 1-line block ×3, first 2 shown]
	v_fma_f32 v17, -v10, v13, 1.0
	v_fmac_f32_e32 v13, v17, v13
	v_mul_f32_e32 v17, v11, v13
	v_fma_f32 v18, -v10, v17, v11
	v_fmac_f32_e32 v17, v18, v13
	v_fma_f32 v10, -v10, v17, v11
	v_div_fmas_f32 v10, v10, v13, v17
	v_mov_b32_e32 v17, 0x3a725406
	v_mov_b32_e32 v18, 0x3daf5e2d
	;; [unrolled: 1-line block ×8, first 2 shown]
	v_div_fixup_f32 v10, v10, v5, s2
	v_fmac_f32_e32 v12, 0, v10
	v_fmac_f32_e32 v17, 0, v10
	;; [unrolled: 1-line block ×12, first 2 shown]
	v_fma_f32 v11, v10, v22, 1.0
	v_fma_f32 v12, v10, v13, 1.0
	v_div_scale_f32 v13, s[0:1], v11, v11, v12
	v_div_scale_f32 v18, vcc, v12, v11, v12
	v_mov_b32_e32 v14, 0x4280a2ba
	v_fmac_f32_e32 v23, 0, v10
	v_mov_b32_e32 v15, 0x44561b86
	v_fmac_f32_e32 v14, 0, v10
	v_fmac_f32_e32 v24, v10, v23
	v_mov_b32_e32 v16, 0x4572a66e
	v_fmac_f32_e32 v15, v10, v14
	;; [unrolled: 3-line block ×3, first 2 shown]
	v_fmac_f32_e32 v26, v10, v25
	v_mov_b32_e32 v19, 0x45b955d1
	v_rcp_f32_e32 v32, v13
	v_fmac_f32_e32 v17, v10, v16
	v_fmac_f32_e32 v27, v10, v26
	v_mov_b32_e32 v20, 0x4500e17e
	v_fma_f32 v35, -v13, v32, 1.0
	v_fmac_f32_e32 v32, v35, v32
	v_mul_f32_e32 v35, v18, v32
	v_fma_f32 v36, -v13, v35, v18
	v_fmac_f32_e32 v35, v36, v32
	v_fma_f32 v13, -v13, v35, v18
	v_div_fmas_f32 v13, v13, v32, v35
	v_fmac_f32_e32 v19, v10, v17
	v_fmac_f32_e32 v28, v10, v27
	v_mov_b32_e32 v5, 0xc0c19ac7
	v_mov_b32_e32 v21, 0x43720178
	v_div_scale_f32 v34, s[0:1], s4, v1, s4
	v_fmac_f32_e32 v20, v10, v19
	v_fmac_f32_e32 v29, v10, v28
	;; [unrolled: 1-line block ×4, first 2 shown]
	v_rcp_f32_e32 v15, v33
	s_mov_b64 vcc, s[0:1]
	v_mul_f32_e32 v22, v7, v7
	v_fmac_f32_e32 v31, 0xb94c1982, v22
	v_fma_f32 v18, -v33, v15, 1.0
	v_div_fixup_f32 v10, v13, v11, v12
	v_div_scale_f32 v12, s[2:3], v21, v21, v5
	v_div_scale_f32 v14, s[2:3], v5, v21, v5
	v_fmac_f32_e32 v15, v18, v15
	v_mul_f32_e32 v18, v34, v15
	v_fma_f32 v19, -v33, v18, v34
	v_fmac_f32_e32 v18, v19, v15
	v_fma_f32 v20, -v33, v18, v34
	v_div_fmas_f32 v15, v20, v15, v18
	s_mov_b64 vcc, s[2:3]
	v_mov_b32_e32 v11, 0xbe2aaa9d
	v_fma_f32 v13, v22, v31, v11
	v_mul_f32_e32 v13, v22, v13
	v_fmac_f32_e32 v7, v7, v13
	v_mov_b32_e32 v13, 0xbab64f3b
	v_rcp_f32_e32 v19, v12
	v_mov_b32_e32 v16, 0xbab64f3b
	v_fmac_f32_e32 v16, 0x37d75334, v22
	v_mov_b32_e32 v17, 0x3d2aabf7
	v_fma_f32 v18, -v12, v19, 1.0
	v_fmac_f32_e32 v19, v18, v19
	v_mul_f32_e32 v18, v14, v19
	v_fma_f32 v20, -v12, v18, v14
	v_fmac_f32_e32 v18, v20, v19
	v_fma_f32 v12, -v12, v18, v14
	v_div_fmas_f32 v12, v12, v19, v18
	v_fma_f32 v14, v22, v16, v17
	v_mov_b32_e32 v16, 0xbf000004
	v_fma_f32 v14, v22, v14, v16
	v_and_b32_e32 v18, 1, v6
	v_fma_f32 v14, v22, v14, 1.0
	v_cmp_eq_u32_e32 vcc, 0, v18
	s_movk_i32 s0, 0x1f8
	v_cndmask_b32_e64 v7, -v7, v14, vcc
	v_lshlrev_b32_e32 v6, 30, v6
	v_cmp_class_f32_e64 vcc, v2, s0
	v_xor_b32_e32 v2, v3, v2
	v_and_b32_e32 v6, 0x80000000, v6
	v_xor_b32_e32 v6, v6, v7
	v_mov_b32_e32 v7, 0x7fc00000
	v_cndmask_b32_e32 v6, v7, v6, vcc
	v_div_fixup_f32 v5, v12, v21, v5
	v_mul_f32_e32 v12, v9, v9
	v_fmac_f32_e32 v30, 0xb94c1982, v12
	v_fmac_f32_e32 v13, 0x37d75334, v12
	;; [unrolled: 1-line block ×4, first 2 shown]
	v_mul_f32_e32 v11, v12, v11
	v_fmac_f32_e32 v16, v12, v17
	v_fmac_f32_e32 v9, v9, v11
	v_fma_f32 v11, v12, v16, 1.0
	v_and_b32_e32 v12, 1, v8
	v_lshlrev_b32_e32 v8, 30, v8
	v_cmp_eq_u32_e64 s[0:1], 0, v12
	v_and_b32_e32 v8, 0x80000000, v8
	v_cndmask_b32_e64 v9, v11, v9, s[0:1]
	v_xor_b32_e32 v2, v2, v8
	v_xor_b32_e32 v2, v2, v9
	s_mov_b32 s0, 0xf800000
	v_cndmask_b32_e32 v2, v7, v2, vcc
	v_mul_f32_e32 v3, 0x4f800000, v1
	v_cmp_gt_f32_e32 vcc, s0, v1
	v_div_fixup_f32 v14, v15, v1, s4
	v_cndmask_b32_e32 v1, v1, v3, vcc
	v_sqrt_f32_e32 v3, v1
	v_mul_f32_e32 v5, v14, v5
	v_mul_f32_e32 v2, v5, v2
	v_fmac_f32_e32 v2, v10, v6
	v_add_u32_e32 v5, -1, v3
	v_fma_f32 v6, -v5, v3, v1
	v_cmp_ge_f32_e64 s[0:1], 0, v6
	v_add_u32_e32 v6, 1, v3
	v_cndmask_b32_e64 v5, v3, v5, s[0:1]
	v_fma_f32 v3, -v6, v3, v1
	v_cmp_lt_f32_e64 s[0:1], 0, v3
	v_cndmask_b32_e64 v3, v5, v6, s[0:1]
	v_mul_f32_e32 v5, 0x37800000, v3
	v_cndmask_b32_e32 v3, v3, v5, vcc
	v_mov_b32_e32 v5, 0x260
	v_cmp_class_f32_e32 vcc, v1, v5
	v_mul_f32_e32 v2, 0x3f4c422a, v2
	v_cndmask_b32_e32 v1, v3, v1, vcc
	v_div_scale_f32 v3, s[0:1], v1, v1, v2
	v_div_scale_f32 v5, vcc, v2, v1, v2
	v_rcp_f32_e32 v6, v3
	v_fma_f32 v7, -v3, v6, 1.0
	v_fmac_f32_e32 v6, v7, v6
	v_mul_f32_e32 v7, v5, v6
	v_fma_f32 v8, -v3, v7, v5
	v_fmac_f32_e32 v7, v8, v6
	v_fma_f32 v3, -v3, v7, v5
	v_div_fmas_f32 v3, v3, v6, v7
	v_div_fixup_f32 v2, v3, v1, v2
.LBB19_162:
	s_or_b64 exec, exec, s[6:7]
	v_add_u32_e32 v4, 0x80, v4
	global_store_dword v0, v2, s[16:17]
	s_or_b64 exec, exec, s[48:49]
	v_cmp_gt_i32_e32 vcc, s55, v4
	s_and_saveexec_b64 s[48:49], vcc
	s_cbranch_execnz .LBB19_15
.LBB19_163:
	s_or_b64 exec, exec, s[48:49]
	v_cmp_gt_i32_e32 vcc, s55, v4
	s_and_saveexec_b64 s[48:49], vcc
	s_cbranch_execz .LBB19_195
.LBB19_164:
	s_andn2_b64 vcc, exec, s[36:37]
	s_cbranch_vccnz .LBB19_169
; %bb.165:
	s_andn2_b64 vcc, exec, s[46:47]
	s_cbranch_vccnz .LBB19_170
; %bb.166:
	s_add_i32 s58, s56, 1
	s_cmp_eq_u32 s54, 2
	s_cbranch_scc1 .LBB19_198
; %bb.167:
	s_and_b32 s57, s58, 28
	v_mov_b32_e32 v2, 0
	s_mov_b32 s59, 0
	s_mov_b64 s[50:51], s[34:35]
	s_mov_b64 s[52:53], s[44:45]
	v_mov_b32_e32 v0, 0
	v_mov_b32_e32 v1, v4
.LBB19_168:                             ; =>This Inner Loop Header: Depth=1
	s_load_dwordx8 s[8:15], s[50:51], 0x4
	s_load_dwordx4 s[28:31], s[50:51], 0x24
	s_load_dwordx8 s[0:7], s[52:53], 0x0
	s_add_u32 s50, s50, 48
	s_addc_u32 s51, s51, 0
	s_waitcnt lgkmcnt(0)
	v_mul_hi_u32 v3, s9, v1
	s_add_i32 s59, s59, 4
	s_add_u32 s52, s52, 32
	s_addc_u32 s53, s53, 0
	v_add_u32_e32 v3, v1, v3
	v_lshrrev_b32_e32 v3, s10, v3
	v_mul_lo_u32 v5, v3, s8
	v_mul_hi_u32 v6, s12, v3
	s_cmp_eq_u32 s57, s59
	v_sub_u32_e32 v1, v1, v5
	v_add_u32_e32 v5, v3, v6
	v_mul_lo_u32 v6, v1, s0
	v_mul_lo_u32 v7, v1, s1
	v_lshrrev_b32_e32 v1, s13, v5
	v_mul_lo_u32 v5, v1, s11
	v_mul_hi_u32 v8, s15, v1
	v_sub_u32_e32 v3, v3, v5
	v_add_u32_e32 v5, v1, v8
	v_lshrrev_b32_e32 v5, s28, v5
	v_mul_hi_u32 v9, s30, v5
	v_mul_lo_u32 v10, v5, s14
	v_mul_lo_u32 v8, v3, s2
	;; [unrolled: 1-line block ×3, first 2 shown]
	v_sub_u32_e32 v10, v1, v10
	v_add_u32_e32 v1, v5, v9
	v_lshrrev_b32_e32 v1, s31, v1
	v_mul_lo_u32 v9, v1, s29
	v_mul_lo_u32 v11, v10, s4
	;; [unrolled: 1-line block ×3, first 2 shown]
	v_add3_u32 v0, v6, v0, v8
	v_sub_u32_e32 v5, v5, v9
	v_mul_lo_u32 v9, v5, s6
	v_mul_lo_u32 v5, v5, s7
	v_add3_u32 v2, v7, v2, v3
	v_add3_u32 v0, v11, v0, v9
	;; [unrolled: 1-line block ×3, first 2 shown]
	s_cbranch_scc0 .LBB19_168
	s_branch .LBB19_199
.LBB19_169:
                                        ; implicit-def: $vgpr0
                                        ; implicit-def: $vgpr2
	s_branch .LBB19_203
.LBB19_170:
	v_mov_b32_e32 v0, 0
	v_mov_b32_e32 v2, 0
	s_branch .LBB19_202
.LBB19_171:
	s_mov_b32 s57, 0
	v_mov_b32_e32 v0, 0
	v_mov_b32_e32 v2, 0
	;; [unrolled: 1-line block ×3, first 2 shown]
.LBB19_172:
	s_and_b32 s4, s58, 3
	s_cmp_eq_u32 s4, 0
	s_cbranch_scc1 .LBB19_175
; %bb.173:
	s_lshl_b32 s0, s57, 3
	s_add_u32 s0, s34, s0
	s_addc_u32 s1, s35, 0
	s_add_u32 s0, s0, 0xc4
	s_addc_u32 s1, s1, 0
	s_mul_i32 s2, s57, 12
	s_add_u32 s2, s34, s2
	s_addc_u32 s3, s35, 0
.LBB19_174:                             ; =>This Inner Loop Header: Depth=1
	s_load_dwordx2 s[6:7], s[2:3], 0x4
	s_load_dword s5, s[2:3], 0xc
	s_load_dwordx2 s[8:9], s[0:1], 0x0
	s_add_u32 s2, s2, 12
	s_addc_u32 s3, s3, 0
	s_waitcnt lgkmcnt(0)
	v_mul_hi_u32 v3, s7, v1
	s_add_u32 s0, s0, 8
	s_addc_u32 s1, s1, 0
	s_add_i32 s4, s4, -1
	v_add_u32_e32 v3, v1, v3
	v_lshrrev_b32_e32 v5, s5, v3
	v_mul_lo_u32 v3, v5, s6
	s_cmp_lg_u32 s4, 0
	v_sub_u32_e32 v3, v1, v3
	v_mad_u64_u32 v[0:1], s[6:7], v3, s8, v[0:1]
	v_mad_u64_u32 v[2:3], s[6:7], v3, s9, v[2:3]
	v_mov_b32_e32 v1, v5
	s_cbranch_scc1 .LBB19_174
.LBB19_175:
	s_cbranch_execnz .LBB19_178
.LBB19_176:
	s_waitcnt lgkmcnt(0)
	v_mul_hi_u32 v0, s25, v4
	s_andn2_b64 vcc, exec, s[42:43]
	v_add_u32_e32 v0, v4, v0
	v_lshrrev_b32_e32 v1, s26, v0
	v_mul_lo_u32 v0, v1, s24
	v_sub_u32_e32 v2, v4, v0
	v_mul_lo_u32 v0, v2, s20
	v_mul_lo_u32 v2, v2, s21
	s_cbranch_vccnz .LBB19_178
; %bb.177:
	v_mul_hi_u32 v3, s40, v1
	v_add_u32_e32 v3, v1, v3
	v_lshrrev_b32_e32 v3, s41, v3
	v_mul_lo_u32 v3, v3, s27
	v_sub_u32_e32 v3, v1, v3
	v_mad_u64_u32 v[0:1], s[0:1], v3, s22, v[0:1]
	v_mad_u64_u32 v[2:3], s[0:1], v3, s23, v[2:3]
.LBB19_178:
	s_waitcnt lgkmcnt(0)
	global_load_dword v1, v2, s[18:19]
	s_mov_b32 s0, 0x40a00000
                                        ; implicit-def: $vgpr2
	s_waitcnt vmcnt(0)
	v_cmp_gt_f32_e32 vcc, 0, v1
	v_cndmask_b32_e64 v1, v1, -v1, vcc
	v_cmp_ge_f32_e32 vcc, s0, v1
	v_mul_f32_e32 v5, v1, v1
	s_and_saveexec_b64 s[0:1], vcc
	s_xor_b64 s[0:1], exec, s[0:1]
	s_cbranch_execz .LBB19_184
; %bb.179:
	s_mov_b32 s2, 0x3727c5ac
	v_cmp_ngt_f32_e32 vcc, s2, v1
                                        ; implicit-def: $vgpr2
	s_and_saveexec_b64 s[2:3], vcc
	s_xor_b64 s[2:3], exec, s[2:3]
	s_cbranch_execz .LBB19_181
; %bb.180:
	v_mov_b32_e32 v1, 0xcf8ee29d
	v_fmac_f32_e32 v1, 0, v5
	v_mov_b32_e32 v2, 0x53e3ba8e
	v_fmac_f32_e32 v2, v5, v1
	;; [unrolled: 2-line block ×12, first 2 shown]
	v_add_f32_e32 v1, 0xc0b90fdc, v5
	v_add_f32_e32 v5, 0xc1f3c525, v5
	v_mul_f32_e32 v1, v1, v5
	v_mul_f32_e32 v1, v1, v2
	v_div_scale_f32 v2, s[4:5], v3, v3, v1
	v_div_scale_f32 v5, vcc, v1, v3, v1
	v_rcp_f32_e32 v6, v2
	v_fma_f32 v7, -v2, v6, 1.0
	v_fmac_f32_e32 v6, v7, v6
	v_mul_f32_e32 v7, v5, v6
	v_fma_f32 v8, -v2, v7, v5
	v_fmac_f32_e32 v7, v8, v6
	v_fma_f32 v2, -v2, v7, v5
	v_div_fmas_f32 v2, v2, v6, v7
                                        ; implicit-def: $vgpr5
	v_div_fixup_f32 v2, v2, v3, v1
.LBB19_181:
	s_andn2_saveexec_b64 s[2:3], s[2:3]
; %bb.182:
	s_mov_b32 s4, 0xbe800000
	v_fma_f32 v2, v5, s4, 1.0
; %bb.183:
	s_or_b64 exec, exec, s[2:3]
                                        ; implicit-def: $vgpr5
                                        ; implicit-def: $vgpr1
.LBB19_184:
	s_andn2_saveexec_b64 s[6:7], s[0:1]
	s_cbranch_execz .LBB19_194
; %bb.185:
	v_add_f32_e32 v2, 0xbf490fdb, v1
	s_brev_b32 s0, 18
	v_and_b32_e32 v3, 0x7fffffff, v2
	v_cmp_nlt_f32_e64 s[8:9], |v2|, s0
                                        ; implicit-def: $vgpr6
                                        ; implicit-def: $vgpr7
	s_and_saveexec_b64 s[0:1], s[8:9]
	s_xor_b64 s[10:11], exec, s[0:1]
	s_cbranch_execz .LBB19_187
; %bb.186:
	v_and_b32_e32 v6, 0x7fffff, v3
	v_or_b32_e32 v15, 0x800000, v6
	s_mov_b32 s0, 0xfe5163ab
	v_mad_u64_u32 v[6:7], s[0:1], v15, s0, 0
	v_mov_b32_e32 v8, 0
	s_mov_b32 s0, 0x3c439041
	v_mad_u64_u32 v[9:10], s[0:1], v15, s0, v[7:8]
	s_mov_b32 s0, 0xdb629599
	v_not_b32_e32 v14, 63
	v_mov_b32_e32 v7, v10
	v_mad_u64_u32 v[10:11], s[0:1], v15, s0, v[7:8]
	s_mov_b32 s0, 0xf534ddc0
	v_not_b32_e32 v17, 31
	v_mov_b32_e32 v7, v11
	v_mad_u64_u32 v[11:12], s[0:1], v15, s0, v[7:8]
	v_lshrrev_b32_e32 v7, 23, v3
	v_add_u32_e32 v16, 0xffffff88, v7
	v_mov_b32_e32 v7, v12
	s_mov_b32 s0, 0xfc2757d1
	v_mad_u64_u32 v[12:13], s[0:1], v15, s0, v[7:8]
	v_cmp_lt_u32_e32 vcc, 63, v16
	v_cndmask_b32_e32 v7, 0, v14, vcc
	v_add_u32_e32 v16, v7, v16
	v_mov_b32_e32 v7, v13
	s_mov_b32 s0, 0x4e441529
	v_mad_u64_u32 v[13:14], s[0:1], v15, s0, v[7:8]
	v_cmp_lt_u32_e64 s[0:1], 31, v16
	v_cndmask_b32_e64 v7, 0, v17, s[0:1]
	v_add_u32_e32 v16, v7, v16
	v_mov_b32_e32 v7, v14
	s_mov_b32 s2, 0xa2f9836e
	v_mad_u64_u32 v[7:8], s[2:3], v15, s2, v[7:8]
	v_cmp_lt_u32_e64 s[2:3], 31, v16
	v_cndmask_b32_e64 v14, 0, v17, s[2:3]
	v_cndmask_b32_e32 v15, v13, v11, vcc
	v_cndmask_b32_e32 v7, v7, v12, vcc
	;; [unrolled: 1-line block ×3, first 2 shown]
	v_add_u32_e32 v14, v14, v16
	v_cndmask_b32_e64 v16, v7, v15, s[0:1]
	v_cndmask_b32_e64 v7, v8, v7, s[0:1]
	v_cndmask_b32_e32 v8, v12, v10, vcc
	v_cndmask_b32_e64 v12, v15, v8, s[0:1]
	v_cndmask_b32_e64 v7, v7, v16, s[2:3]
	;; [unrolled: 1-line block ×3, first 2 shown]
	v_sub_u32_e32 v15, 32, v14
	v_alignbit_b32 v16, v7, v13, v15
	v_cmp_eq_u32_e64 s[4:5], 0, v14
	v_cndmask_b32_e64 v14, v16, v7, s[4:5]
	v_cndmask_b32_e32 v7, v11, v9, vcc
	v_cndmask_b32_e64 v8, v8, v7, s[0:1]
	v_cndmask_b32_e64 v9, v12, v8, s[2:3]
	v_alignbit_b32 v11, v13, v9, v15
	v_cndmask_b32_e32 v6, v10, v6, vcc
	v_cndmask_b32_e64 v11, v11, v13, s[4:5]
	v_bfe_u32 v16, v14, 29, 1
	v_cndmask_b32_e64 v6, v7, v6, s[0:1]
	v_alignbit_b32 v12, v14, v11, 30
	v_sub_u32_e32 v17, 0, v16
	v_cndmask_b32_e64 v6, v8, v6, s[2:3]
	v_xor_b32_e32 v12, v12, v17
	v_alignbit_b32 v7, v9, v6, v15
	v_cndmask_b32_e64 v7, v7, v9, s[4:5]
	v_ffbh_u32_e32 v9, v12
	v_alignbit_b32 v8, v11, v7, 30
	v_min_u32_e32 v9, 32, v9
	v_alignbit_b32 v6, v7, v6, 30
	v_xor_b32_e32 v8, v8, v17
	v_sub_u32_e32 v10, 31, v9
	v_xor_b32_e32 v6, v6, v17
	v_alignbit_b32 v11, v12, v8, v10
	v_alignbit_b32 v6, v8, v6, v10
	;; [unrolled: 1-line block ×3, first 2 shown]
	v_ffbh_u32_e32 v8, v7
	v_min_u32_e32 v8, 32, v8
	v_lshrrev_b32_e32 v13, 29, v14
	v_not_b32_e32 v10, v8
	v_alignbit_b32 v6, v7, v6, v10
	v_lshlrev_b32_e32 v7, 31, v13
	v_or_b32_e32 v10, 0x33000000, v7
	v_add_lshl_u32 v8, v8, v9, 23
	v_lshrrev_b32_e32 v6, 9, v6
	v_sub_u32_e32 v8, v10, v8
	v_or_b32_e32 v7, 0.5, v7
	v_lshlrev_b32_e32 v9, 23, v9
	v_or_b32_e32 v6, v8, v6
	v_lshrrev_b32_e32 v8, 9, v11
	v_sub_u32_e32 v7, v7, v9
	v_or_b32_e32 v7, v8, v7
	s_mov_b32 s0, 0x3fc90fda
	v_mul_f32_e32 v8, 0x3fc90fda, v7
	v_fma_f32 v9, v7, s0, -v8
	v_fmac_f32_e32 v9, 0x33a22168, v7
	v_fmac_f32_e32 v9, 0x3fc90fda, v6
	v_lshrrev_b32_e32 v6, 30, v14
	v_add_f32_e32 v7, v8, v9
	v_add_u32_e32 v6, v16, v6
	s_andn2_saveexec_b64 s[0:1], s[10:11]
	s_cbranch_execz .LBB19_189
	s_branch .LBB19_188
.LBB19_187:
	s_andn2_saveexec_b64 s[0:1], s[10:11]
	s_cbranch_execz .LBB19_189
.LBB19_188:
	s_mov_b32 s2, 0x3f22f983
	v_mul_f32_e64 v6, |v2|, s2
	v_rndne_f32_e32 v8, v6
	s_mov_b32 s2, 0xbfc90fda
	v_cvt_i32_f32_e32 v6, v8
	v_fma_f32 v7, v8, s2, |v2|
	v_fmac_f32_e32 v7, 0xb3a22168, v8
	v_fmac_f32_e32 v7, 0xa7c234c4, v8
.LBB19_189:
	s_or_b64 exec, exec, s[0:1]
                                        ; implicit-def: $vgpr8
                                        ; implicit-def: $vgpr9
	s_and_saveexec_b64 s[0:1], s[8:9]
	s_xor_b64 s[8:9], exec, s[0:1]
	s_cbranch_execz .LBB19_191
; %bb.190:
	v_and_b32_e32 v8, 0x7fffff, v3
	v_or_b32_e32 v17, 0x800000, v8
	s_mov_b32 s0, 0xfe5163ab
	v_mad_u64_u32 v[8:9], s[0:1], v17, s0, 0
	v_mov_b32_e32 v10, 0
	s_mov_b32 s0, 0x3c439041
	v_mad_u64_u32 v[11:12], s[0:1], v17, s0, v[9:10]
	s_mov_b32 s0, 0xdb629599
	v_not_b32_e32 v16, 63
	v_mov_b32_e32 v9, v12
	v_mad_u64_u32 v[12:13], s[0:1], v17, s0, v[9:10]
	s_mov_b32 s0, 0xf534ddc0
	v_not_b32_e32 v19, 31
	v_mov_b32_e32 v9, v13
	v_mad_u64_u32 v[13:14], s[0:1], v17, s0, v[9:10]
	v_lshrrev_b32_e32 v9, 23, v3
	v_add_u32_e32 v18, 0xffffff88, v9
	v_mov_b32_e32 v9, v14
	s_mov_b32 s0, 0xfc2757d1
	v_mad_u64_u32 v[14:15], s[0:1], v17, s0, v[9:10]
	v_cmp_lt_u32_e32 vcc, 63, v18
	v_cndmask_b32_e32 v9, 0, v16, vcc
	v_add_u32_e32 v18, v9, v18
	v_mov_b32_e32 v9, v15
	s_mov_b32 s0, 0x4e441529
	v_mad_u64_u32 v[15:16], s[0:1], v17, s0, v[9:10]
	v_cmp_lt_u32_e64 s[0:1], 31, v18
	v_cndmask_b32_e64 v9, 0, v19, s[0:1]
	v_add_u32_e32 v18, v9, v18
	v_mov_b32_e32 v9, v16
	s_mov_b32 s2, 0xa2f9836e
	v_mad_u64_u32 v[9:10], s[2:3], v17, s2, v[9:10]
	v_cmp_lt_u32_e64 s[2:3], 31, v18
	v_cndmask_b32_e64 v16, 0, v19, s[2:3]
	v_cndmask_b32_e32 v17, v15, v13, vcc
	v_cndmask_b32_e32 v9, v9, v14, vcc
	;; [unrolled: 1-line block ×3, first 2 shown]
	v_add_u32_e32 v16, v16, v18
	v_cndmask_b32_e64 v18, v9, v17, s[0:1]
	v_cndmask_b32_e64 v9, v10, v9, s[0:1]
	v_cndmask_b32_e32 v10, v14, v12, vcc
	v_cndmask_b32_e64 v14, v17, v10, s[0:1]
	v_cndmask_b32_e64 v9, v9, v18, s[2:3]
	;; [unrolled: 1-line block ×3, first 2 shown]
	v_sub_u32_e32 v17, 32, v16
	v_alignbit_b32 v18, v9, v15, v17
	v_cmp_eq_u32_e64 s[4:5], 0, v16
	v_cndmask_b32_e64 v16, v18, v9, s[4:5]
	v_cndmask_b32_e32 v9, v13, v11, vcc
	v_cndmask_b32_e64 v10, v10, v9, s[0:1]
	v_cndmask_b32_e64 v11, v14, v10, s[2:3]
	v_alignbit_b32 v13, v15, v11, v17
	v_cndmask_b32_e32 v8, v12, v8, vcc
	v_cndmask_b32_e64 v13, v13, v15, s[4:5]
	v_bfe_u32 v18, v16, 29, 1
	v_cndmask_b32_e64 v8, v9, v8, s[0:1]
	v_alignbit_b32 v14, v16, v13, 30
	v_sub_u32_e32 v19, 0, v18
	v_cndmask_b32_e64 v8, v10, v8, s[2:3]
	v_xor_b32_e32 v14, v14, v19
	v_alignbit_b32 v9, v11, v8, v17
	v_cndmask_b32_e64 v9, v9, v11, s[4:5]
	v_ffbh_u32_e32 v11, v14
	v_alignbit_b32 v10, v13, v9, 30
	v_min_u32_e32 v11, 32, v11
	v_alignbit_b32 v8, v9, v8, 30
	v_xor_b32_e32 v10, v10, v19
	v_sub_u32_e32 v12, 31, v11
	v_xor_b32_e32 v8, v8, v19
	v_alignbit_b32 v13, v14, v10, v12
	v_alignbit_b32 v8, v10, v8, v12
	;; [unrolled: 1-line block ×3, first 2 shown]
	v_ffbh_u32_e32 v10, v9
	v_min_u32_e32 v10, 32, v10
	v_lshrrev_b32_e32 v15, 29, v16
	v_not_b32_e32 v12, v10
	v_alignbit_b32 v8, v9, v8, v12
	v_lshlrev_b32_e32 v9, 31, v15
	v_or_b32_e32 v12, 0x33000000, v9
	v_add_lshl_u32 v10, v10, v11, 23
	v_lshrrev_b32_e32 v8, 9, v8
	v_sub_u32_e32 v10, v12, v10
	v_or_b32_e32 v9, 0.5, v9
	v_lshlrev_b32_e32 v11, 23, v11
	v_or_b32_e32 v8, v10, v8
	v_lshrrev_b32_e32 v10, 9, v13
	v_sub_u32_e32 v9, v9, v11
	v_or_b32_e32 v9, v10, v9
	s_mov_b32 s0, 0x3fc90fda
	v_mul_f32_e32 v10, 0x3fc90fda, v9
	v_fma_f32 v11, v9, s0, -v10
	v_fmac_f32_e32 v11, 0x33a22168, v9
	v_fmac_f32_e32 v11, 0x3fc90fda, v8
	v_lshrrev_b32_e32 v8, 30, v16
	v_add_f32_e32 v9, v10, v11
	v_add_u32_e32 v8, v18, v8
	s_andn2_saveexec_b64 s[0:1], s[8:9]
	s_cbranch_execnz .LBB19_192
	s_branch .LBB19_193
.LBB19_191:
	s_andn2_saveexec_b64 s[0:1], s[8:9]
	s_cbranch_execz .LBB19_193
.LBB19_192:
	s_mov_b32 s2, 0x3f22f983
	v_mul_f32_e64 v8, |v2|, s2
	v_rndne_f32_e32 v10, v8
	s_mov_b32 s2, 0xbfc90fda
	v_cvt_i32_f32_e32 v8, v10
	v_fma_f32 v9, v10, s2, |v2|
	v_fmac_f32_e32 v9, 0xb3a22168, v10
	v_fmac_f32_e32 v9, 0xa7c234c4, v10
.LBB19_193:
	s_or_b64 exec, exec, s[0:1]
	s_mov_b32 s2, 0x41c80000
	v_div_scale_f32 v10, s[0:1], v5, v5, s2
	v_div_scale_f32 v11, vcc, s2, v5, s2
	v_mov_b32_e32 v12, 0x3a50e985
	v_mov_b32_e32 v14, 0x3da9a586
	;; [unrolled: 1-line block ×9, first 2 shown]
	s_mov_b32 s4, 0xc0a00000
	v_mov_b32_e32 v24, 0xbfa429da
	v_div_scale_f32 v33, s[0:1], v1, v1, s4
	v_rcp_f32_e32 v13, v10
	v_mov_b32_e32 v25, 0xc19c6e80
	v_mov_b32_e32 v26, 0xc2ba697b
	;; [unrolled: 1-line block ×3, first 2 shown]
	v_fma_f32 v17, -v10, v13, 1.0
	v_fmac_f32_e32 v13, v17, v13
	v_mul_f32_e32 v17, v11, v13
	v_fma_f32 v18, -v10, v17, v11
	v_fmac_f32_e32 v17, v18, v13
	v_fma_f32 v10, -v10, v17, v11
	v_div_fmas_f32 v10, v10, v13, v17
	v_mov_b32_e32 v17, 0x3a725406
	v_mov_b32_e32 v18, 0x3daf5e2d
	;; [unrolled: 1-line block ×8, first 2 shown]
	v_div_fixup_f32 v10, v10, v5, s2
	v_fmac_f32_e32 v12, 0, v10
	v_fmac_f32_e32 v17, 0, v10
	;; [unrolled: 1-line block ×12, first 2 shown]
	v_fma_f32 v11, v10, v22, 1.0
	v_fma_f32 v12, v10, v13, 1.0
	v_div_scale_f32 v13, s[0:1], v11, v11, v12
	v_div_scale_f32 v18, vcc, v12, v11, v12
	v_mov_b32_e32 v14, 0x4280a2ba
	v_fmac_f32_e32 v23, 0, v10
	v_mov_b32_e32 v15, 0x44561b86
	v_fmac_f32_e32 v14, 0, v10
	v_fmac_f32_e32 v24, v10, v23
	v_mov_b32_e32 v16, 0x4572a66e
	v_fmac_f32_e32 v15, v10, v14
	;; [unrolled: 3-line block ×3, first 2 shown]
	v_fmac_f32_e32 v26, v10, v25
	v_mov_b32_e32 v19, 0x45b955d1
	v_rcp_f32_e32 v32, v13
	v_fmac_f32_e32 v17, v10, v16
	v_fmac_f32_e32 v27, v10, v26
	v_mov_b32_e32 v20, 0x4500e17e
	v_fma_f32 v35, -v13, v32, 1.0
	v_fmac_f32_e32 v32, v35, v32
	v_mul_f32_e32 v35, v18, v32
	v_fma_f32 v36, -v13, v35, v18
	v_fmac_f32_e32 v35, v36, v32
	v_fma_f32 v13, -v13, v35, v18
	v_div_fmas_f32 v13, v13, v32, v35
	v_fmac_f32_e32 v19, v10, v17
	v_fmac_f32_e32 v28, v10, v27
	v_mov_b32_e32 v5, 0xc0c19ac7
	v_mov_b32_e32 v21, 0x43720178
	v_div_scale_f32 v34, s[0:1], s4, v1, s4
	v_fmac_f32_e32 v20, v10, v19
	v_fmac_f32_e32 v29, v10, v28
	;; [unrolled: 1-line block ×4, first 2 shown]
	v_rcp_f32_e32 v15, v33
	s_mov_b64 vcc, s[0:1]
	v_mul_f32_e32 v22, v7, v7
	v_fmac_f32_e32 v31, 0xb94c1982, v22
	v_fma_f32 v18, -v33, v15, 1.0
	v_div_fixup_f32 v10, v13, v11, v12
	v_div_scale_f32 v12, s[2:3], v21, v21, v5
	v_div_scale_f32 v14, s[2:3], v5, v21, v5
	v_fmac_f32_e32 v15, v18, v15
	v_mul_f32_e32 v18, v34, v15
	v_fma_f32 v19, -v33, v18, v34
	v_fmac_f32_e32 v18, v19, v15
	v_fma_f32 v20, -v33, v18, v34
	v_div_fmas_f32 v15, v20, v15, v18
	s_mov_b64 vcc, s[2:3]
	v_mov_b32_e32 v11, 0xbe2aaa9d
	v_fma_f32 v13, v22, v31, v11
	v_mul_f32_e32 v13, v22, v13
	v_fmac_f32_e32 v7, v7, v13
	v_mov_b32_e32 v13, 0xbab64f3b
	v_rcp_f32_e32 v19, v12
	v_mov_b32_e32 v16, 0xbab64f3b
	v_fmac_f32_e32 v16, 0x37d75334, v22
	v_mov_b32_e32 v17, 0x3d2aabf7
	v_fma_f32 v18, -v12, v19, 1.0
	v_fmac_f32_e32 v19, v18, v19
	v_mul_f32_e32 v18, v14, v19
	v_fma_f32 v20, -v12, v18, v14
	v_fmac_f32_e32 v18, v20, v19
	v_fma_f32 v12, -v12, v18, v14
	v_div_fmas_f32 v12, v12, v19, v18
	v_fma_f32 v14, v22, v16, v17
	v_mov_b32_e32 v16, 0xbf000004
	v_fma_f32 v14, v22, v14, v16
	v_and_b32_e32 v18, 1, v6
	v_fma_f32 v14, v22, v14, 1.0
	v_cmp_eq_u32_e32 vcc, 0, v18
	s_movk_i32 s0, 0x1f8
	v_cndmask_b32_e64 v7, -v7, v14, vcc
	v_lshlrev_b32_e32 v6, 30, v6
	v_cmp_class_f32_e64 vcc, v2, s0
	v_xor_b32_e32 v2, v3, v2
	v_and_b32_e32 v6, 0x80000000, v6
	v_xor_b32_e32 v6, v6, v7
	v_mov_b32_e32 v7, 0x7fc00000
	v_cndmask_b32_e32 v6, v7, v6, vcc
	v_div_fixup_f32 v5, v12, v21, v5
	v_mul_f32_e32 v12, v9, v9
	v_fmac_f32_e32 v30, 0xb94c1982, v12
	v_fmac_f32_e32 v13, 0x37d75334, v12
	;; [unrolled: 1-line block ×4, first 2 shown]
	v_mul_f32_e32 v11, v12, v11
	v_fmac_f32_e32 v16, v12, v17
	v_fmac_f32_e32 v9, v9, v11
	v_fma_f32 v11, v12, v16, 1.0
	v_and_b32_e32 v12, 1, v8
	v_lshlrev_b32_e32 v8, 30, v8
	v_cmp_eq_u32_e64 s[0:1], 0, v12
	v_and_b32_e32 v8, 0x80000000, v8
	v_cndmask_b32_e64 v9, v11, v9, s[0:1]
	v_xor_b32_e32 v2, v2, v8
	v_xor_b32_e32 v2, v2, v9
	s_mov_b32 s0, 0xf800000
	v_cndmask_b32_e32 v2, v7, v2, vcc
	v_mul_f32_e32 v3, 0x4f800000, v1
	v_cmp_gt_f32_e32 vcc, s0, v1
	v_div_fixup_f32 v14, v15, v1, s4
	v_cndmask_b32_e32 v1, v1, v3, vcc
	v_sqrt_f32_e32 v3, v1
	v_mul_f32_e32 v5, v14, v5
	v_mul_f32_e32 v2, v5, v2
	v_fmac_f32_e32 v2, v10, v6
	v_add_u32_e32 v5, -1, v3
	v_fma_f32 v6, -v5, v3, v1
	v_cmp_ge_f32_e64 s[0:1], 0, v6
	v_add_u32_e32 v6, 1, v3
	v_cndmask_b32_e64 v5, v3, v5, s[0:1]
	v_fma_f32 v3, -v6, v3, v1
	v_cmp_lt_f32_e64 s[0:1], 0, v3
	v_cndmask_b32_e64 v3, v5, v6, s[0:1]
	v_mul_f32_e32 v5, 0x37800000, v3
	v_cndmask_b32_e32 v3, v3, v5, vcc
	v_mov_b32_e32 v5, 0x260
	v_cmp_class_f32_e32 vcc, v1, v5
	v_mul_f32_e32 v2, 0x3f4c422a, v2
	v_cndmask_b32_e32 v1, v3, v1, vcc
	v_div_scale_f32 v3, s[0:1], v1, v1, v2
	v_div_scale_f32 v5, vcc, v2, v1, v2
	v_rcp_f32_e32 v6, v3
	v_fma_f32 v7, -v3, v6, 1.0
	v_fmac_f32_e32 v6, v7, v6
	v_mul_f32_e32 v7, v5, v6
	v_fma_f32 v8, -v3, v7, v5
	v_fmac_f32_e32 v7, v8, v6
	v_fma_f32 v3, -v3, v7, v5
	v_div_fmas_f32 v3, v3, v6, v7
	v_div_fixup_f32 v2, v3, v1, v2
.LBB19_194:
	s_or_b64 exec, exec, s[6:7]
	v_add_u32_e32 v4, 0x80, v4
	global_store_dword v0, v2, s[16:17]
	s_or_b64 exec, exec, s[48:49]
	v_cmp_gt_i32_e32 vcc, s55, v4
	s_and_saveexec_b64 s[48:49], vcc
	s_cbranch_execnz .LBB19_164
.LBB19_195:
	s_or_b64 exec, exec, s[48:49]
	v_cmp_gt_i32_e32 vcc, s55, v4
	s_and_saveexec_b64 s[48:49], vcc
	s_cbranch_execnz .LBB19_222
.LBB19_196:
	s_or_b64 exec, exec, s[48:49]
                                        ; implicit-def: $vgpr13
                                        ; implicit-def: $vgpr4
	s_andn2_saveexec_b64 s[0:1], s[38:39]
	s_cbranch_execnz .LBB19_8
.LBB19_197:
	s_endpgm
.LBB19_198:
	s_mov_b32 s57, 0
	v_mov_b32_e32 v0, 0
	v_mov_b32_e32 v2, 0
	;; [unrolled: 1-line block ×3, first 2 shown]
.LBB19_199:
	s_and_b32 s4, s58, 3
	s_cmp_eq_u32 s4, 0
	s_cbranch_scc1 .LBB19_202
; %bb.200:
	s_lshl_b32 s0, s57, 3
	s_add_u32 s0, s34, s0
	s_addc_u32 s1, s35, 0
	s_add_u32 s0, s0, 0xc4
	s_addc_u32 s1, s1, 0
	s_mul_i32 s2, s57, 12
	s_add_u32 s2, s34, s2
	s_addc_u32 s3, s35, 0
.LBB19_201:                             ; =>This Inner Loop Header: Depth=1
	s_load_dwordx2 s[6:7], s[2:3], 0x4
	s_load_dword s5, s[2:3], 0xc
	s_load_dwordx2 s[8:9], s[0:1], 0x0
	s_add_u32 s2, s2, 12
	s_addc_u32 s3, s3, 0
	s_waitcnt lgkmcnt(0)
	v_mul_hi_u32 v3, s7, v1
	s_add_u32 s0, s0, 8
	s_addc_u32 s1, s1, 0
	s_add_i32 s4, s4, -1
	v_add_u32_e32 v3, v1, v3
	v_lshrrev_b32_e32 v5, s5, v3
	v_mul_lo_u32 v3, v5, s6
	s_cmp_lg_u32 s4, 0
	v_sub_u32_e32 v3, v1, v3
	v_mad_u64_u32 v[0:1], s[6:7], v3, s8, v[0:1]
	v_mad_u64_u32 v[2:3], s[6:7], v3, s9, v[2:3]
	v_mov_b32_e32 v1, v5
	s_cbranch_scc1 .LBB19_201
.LBB19_202:
	s_cbranch_execnz .LBB19_205
.LBB19_203:
	s_waitcnt lgkmcnt(0)
	v_mul_hi_u32 v0, s25, v4
	s_andn2_b64 vcc, exec, s[42:43]
	v_add_u32_e32 v0, v4, v0
	v_lshrrev_b32_e32 v1, s26, v0
	v_mul_lo_u32 v0, v1, s24
	v_sub_u32_e32 v2, v4, v0
	v_mul_lo_u32 v0, v2, s20
	v_mul_lo_u32 v2, v2, s21
	s_cbranch_vccnz .LBB19_205
; %bb.204:
	v_mul_hi_u32 v3, s40, v1
	v_add_u32_e32 v3, v1, v3
	v_lshrrev_b32_e32 v3, s41, v3
	v_mul_lo_u32 v3, v3, s27
	v_sub_u32_e32 v3, v1, v3
	v_mad_u64_u32 v[0:1], s[0:1], v3, s22, v[0:1]
	v_mad_u64_u32 v[2:3], s[0:1], v3, s23, v[2:3]
.LBB19_205:
	s_waitcnt lgkmcnt(0)
	global_load_dword v1, v2, s[18:19]
	s_mov_b32 s0, 0x40a00000
                                        ; implicit-def: $vgpr2
	s_waitcnt vmcnt(0)
	v_cmp_gt_f32_e32 vcc, 0, v1
	v_cndmask_b32_e64 v1, v1, -v1, vcc
	v_cmp_ge_f32_e32 vcc, s0, v1
	v_mul_f32_e32 v5, v1, v1
	s_and_saveexec_b64 s[0:1], vcc
	s_xor_b64 s[0:1], exec, s[0:1]
	s_cbranch_execz .LBB19_211
; %bb.206:
	s_mov_b32 s2, 0x3727c5ac
	v_cmp_ngt_f32_e32 vcc, s2, v1
                                        ; implicit-def: $vgpr2
	s_and_saveexec_b64 s[2:3], vcc
	s_xor_b64 s[2:3], exec, s[2:3]
	s_cbranch_execz .LBB19_208
; %bb.207:
	v_mov_b32_e32 v1, 0xcf8ee29d
	v_fmac_f32_e32 v1, 0, v5
	v_mov_b32_e32 v2, 0x53e3ba8e
	v_fmac_f32_e32 v2, v5, v1
	;; [unrolled: 2-line block ×12, first 2 shown]
	v_add_f32_e32 v1, 0xc0b90fdc, v5
	v_add_f32_e32 v5, 0xc1f3c525, v5
	v_mul_f32_e32 v1, v1, v5
	v_mul_f32_e32 v1, v1, v2
	v_div_scale_f32 v2, s[4:5], v3, v3, v1
	v_div_scale_f32 v5, vcc, v1, v3, v1
	v_rcp_f32_e32 v6, v2
	v_fma_f32 v7, -v2, v6, 1.0
	v_fmac_f32_e32 v6, v7, v6
	v_mul_f32_e32 v7, v5, v6
	v_fma_f32 v8, -v2, v7, v5
	v_fmac_f32_e32 v7, v8, v6
	v_fma_f32 v2, -v2, v7, v5
	v_div_fmas_f32 v2, v2, v6, v7
                                        ; implicit-def: $vgpr5
	v_div_fixup_f32 v2, v2, v3, v1
.LBB19_208:
	s_andn2_saveexec_b64 s[2:3], s[2:3]
; %bb.209:
	s_mov_b32 s4, 0xbe800000
	v_fma_f32 v2, v5, s4, 1.0
; %bb.210:
	s_or_b64 exec, exec, s[2:3]
                                        ; implicit-def: $vgpr5
                                        ; implicit-def: $vgpr1
.LBB19_211:
	s_andn2_saveexec_b64 s[6:7], s[0:1]
	s_cbranch_execz .LBB19_221
; %bb.212:
	v_add_f32_e32 v2, 0xbf490fdb, v1
	s_brev_b32 s0, 18
	v_and_b32_e32 v3, 0x7fffffff, v2
	v_cmp_nlt_f32_e64 s[8:9], |v2|, s0
                                        ; implicit-def: $vgpr6
                                        ; implicit-def: $vgpr7
	s_and_saveexec_b64 s[0:1], s[8:9]
	s_xor_b64 s[10:11], exec, s[0:1]
	s_cbranch_execz .LBB19_214
; %bb.213:
	v_and_b32_e32 v6, 0x7fffff, v3
	v_or_b32_e32 v15, 0x800000, v6
	s_mov_b32 s0, 0xfe5163ab
	v_mad_u64_u32 v[6:7], s[0:1], v15, s0, 0
	v_mov_b32_e32 v8, 0
	s_mov_b32 s0, 0x3c439041
	v_mad_u64_u32 v[9:10], s[0:1], v15, s0, v[7:8]
	s_mov_b32 s0, 0xdb629599
	v_not_b32_e32 v14, 63
	v_mov_b32_e32 v7, v10
	v_mad_u64_u32 v[10:11], s[0:1], v15, s0, v[7:8]
	s_mov_b32 s0, 0xf534ddc0
	v_not_b32_e32 v17, 31
	v_mov_b32_e32 v7, v11
	v_mad_u64_u32 v[11:12], s[0:1], v15, s0, v[7:8]
	v_lshrrev_b32_e32 v7, 23, v3
	v_add_u32_e32 v16, 0xffffff88, v7
	v_mov_b32_e32 v7, v12
	s_mov_b32 s0, 0xfc2757d1
	v_mad_u64_u32 v[12:13], s[0:1], v15, s0, v[7:8]
	v_cmp_lt_u32_e32 vcc, 63, v16
	v_cndmask_b32_e32 v7, 0, v14, vcc
	v_add_u32_e32 v16, v7, v16
	v_mov_b32_e32 v7, v13
	s_mov_b32 s0, 0x4e441529
	v_mad_u64_u32 v[13:14], s[0:1], v15, s0, v[7:8]
	v_cmp_lt_u32_e64 s[0:1], 31, v16
	v_cndmask_b32_e64 v7, 0, v17, s[0:1]
	v_add_u32_e32 v16, v7, v16
	v_mov_b32_e32 v7, v14
	s_mov_b32 s2, 0xa2f9836e
	v_mad_u64_u32 v[7:8], s[2:3], v15, s2, v[7:8]
	v_cmp_lt_u32_e64 s[2:3], 31, v16
	v_cndmask_b32_e64 v14, 0, v17, s[2:3]
	v_cndmask_b32_e32 v15, v13, v11, vcc
	v_cndmask_b32_e32 v7, v7, v12, vcc
	;; [unrolled: 1-line block ×3, first 2 shown]
	v_add_u32_e32 v14, v14, v16
	v_cndmask_b32_e64 v16, v7, v15, s[0:1]
	v_cndmask_b32_e64 v7, v8, v7, s[0:1]
	v_cndmask_b32_e32 v8, v12, v10, vcc
	v_cndmask_b32_e64 v12, v15, v8, s[0:1]
	v_cndmask_b32_e64 v7, v7, v16, s[2:3]
	;; [unrolled: 1-line block ×3, first 2 shown]
	v_sub_u32_e32 v15, 32, v14
	v_alignbit_b32 v16, v7, v13, v15
	v_cmp_eq_u32_e64 s[4:5], 0, v14
	v_cndmask_b32_e64 v14, v16, v7, s[4:5]
	v_cndmask_b32_e32 v7, v11, v9, vcc
	v_cndmask_b32_e64 v8, v8, v7, s[0:1]
	v_cndmask_b32_e64 v9, v12, v8, s[2:3]
	v_alignbit_b32 v11, v13, v9, v15
	v_cndmask_b32_e32 v6, v10, v6, vcc
	v_cndmask_b32_e64 v11, v11, v13, s[4:5]
	v_bfe_u32 v16, v14, 29, 1
	v_cndmask_b32_e64 v6, v7, v6, s[0:1]
	v_alignbit_b32 v12, v14, v11, 30
	v_sub_u32_e32 v17, 0, v16
	v_cndmask_b32_e64 v6, v8, v6, s[2:3]
	v_xor_b32_e32 v12, v12, v17
	v_alignbit_b32 v7, v9, v6, v15
	v_cndmask_b32_e64 v7, v7, v9, s[4:5]
	v_ffbh_u32_e32 v9, v12
	v_alignbit_b32 v8, v11, v7, 30
	v_min_u32_e32 v9, 32, v9
	v_alignbit_b32 v6, v7, v6, 30
	v_xor_b32_e32 v8, v8, v17
	v_sub_u32_e32 v10, 31, v9
	v_xor_b32_e32 v6, v6, v17
	v_alignbit_b32 v11, v12, v8, v10
	v_alignbit_b32 v6, v8, v6, v10
	;; [unrolled: 1-line block ×3, first 2 shown]
	v_ffbh_u32_e32 v8, v7
	v_min_u32_e32 v8, 32, v8
	v_lshrrev_b32_e32 v13, 29, v14
	v_not_b32_e32 v10, v8
	v_alignbit_b32 v6, v7, v6, v10
	v_lshlrev_b32_e32 v7, 31, v13
	v_or_b32_e32 v10, 0x33000000, v7
	v_add_lshl_u32 v8, v8, v9, 23
	v_lshrrev_b32_e32 v6, 9, v6
	v_sub_u32_e32 v8, v10, v8
	v_or_b32_e32 v7, 0.5, v7
	v_lshlrev_b32_e32 v9, 23, v9
	v_or_b32_e32 v6, v8, v6
	v_lshrrev_b32_e32 v8, 9, v11
	v_sub_u32_e32 v7, v7, v9
	v_or_b32_e32 v7, v8, v7
	s_mov_b32 s0, 0x3fc90fda
	v_mul_f32_e32 v8, 0x3fc90fda, v7
	v_fma_f32 v9, v7, s0, -v8
	v_fmac_f32_e32 v9, 0x33a22168, v7
	v_fmac_f32_e32 v9, 0x3fc90fda, v6
	v_lshrrev_b32_e32 v6, 30, v14
	v_add_f32_e32 v7, v8, v9
	v_add_u32_e32 v6, v16, v6
	s_andn2_saveexec_b64 s[0:1], s[10:11]
	s_cbranch_execz .LBB19_216
	s_branch .LBB19_215
.LBB19_214:
	s_andn2_saveexec_b64 s[0:1], s[10:11]
	s_cbranch_execz .LBB19_216
.LBB19_215:
	s_mov_b32 s2, 0x3f22f983
	v_mul_f32_e64 v6, |v2|, s2
	v_rndne_f32_e32 v8, v6
	s_mov_b32 s2, 0xbfc90fda
	v_cvt_i32_f32_e32 v6, v8
	v_fma_f32 v7, v8, s2, |v2|
	v_fmac_f32_e32 v7, 0xb3a22168, v8
	v_fmac_f32_e32 v7, 0xa7c234c4, v8
.LBB19_216:
	s_or_b64 exec, exec, s[0:1]
                                        ; implicit-def: $vgpr8
                                        ; implicit-def: $vgpr9
	s_and_saveexec_b64 s[0:1], s[8:9]
	s_xor_b64 s[8:9], exec, s[0:1]
	s_cbranch_execz .LBB19_218
; %bb.217:
	v_and_b32_e32 v8, 0x7fffff, v3
	v_or_b32_e32 v17, 0x800000, v8
	s_mov_b32 s0, 0xfe5163ab
	v_mad_u64_u32 v[8:9], s[0:1], v17, s0, 0
	v_mov_b32_e32 v10, 0
	s_mov_b32 s0, 0x3c439041
	v_mad_u64_u32 v[11:12], s[0:1], v17, s0, v[9:10]
	s_mov_b32 s0, 0xdb629599
	v_not_b32_e32 v16, 63
	v_mov_b32_e32 v9, v12
	v_mad_u64_u32 v[12:13], s[0:1], v17, s0, v[9:10]
	s_mov_b32 s0, 0xf534ddc0
	v_not_b32_e32 v19, 31
	v_mov_b32_e32 v9, v13
	v_mad_u64_u32 v[13:14], s[0:1], v17, s0, v[9:10]
	v_lshrrev_b32_e32 v9, 23, v3
	v_add_u32_e32 v18, 0xffffff88, v9
	v_mov_b32_e32 v9, v14
	s_mov_b32 s0, 0xfc2757d1
	v_mad_u64_u32 v[14:15], s[0:1], v17, s0, v[9:10]
	v_cmp_lt_u32_e32 vcc, 63, v18
	v_cndmask_b32_e32 v9, 0, v16, vcc
	v_add_u32_e32 v18, v9, v18
	v_mov_b32_e32 v9, v15
	s_mov_b32 s0, 0x4e441529
	v_mad_u64_u32 v[15:16], s[0:1], v17, s0, v[9:10]
	v_cmp_lt_u32_e64 s[0:1], 31, v18
	v_cndmask_b32_e64 v9, 0, v19, s[0:1]
	v_add_u32_e32 v18, v9, v18
	v_mov_b32_e32 v9, v16
	s_mov_b32 s2, 0xa2f9836e
	v_mad_u64_u32 v[9:10], s[2:3], v17, s2, v[9:10]
	v_cmp_lt_u32_e64 s[2:3], 31, v18
	v_cndmask_b32_e64 v16, 0, v19, s[2:3]
	v_cndmask_b32_e32 v17, v15, v13, vcc
	v_cndmask_b32_e32 v9, v9, v14, vcc
	;; [unrolled: 1-line block ×3, first 2 shown]
	v_add_u32_e32 v16, v16, v18
	v_cndmask_b32_e64 v18, v9, v17, s[0:1]
	v_cndmask_b32_e64 v9, v10, v9, s[0:1]
	v_cndmask_b32_e32 v10, v14, v12, vcc
	v_cndmask_b32_e64 v14, v17, v10, s[0:1]
	v_cndmask_b32_e64 v9, v9, v18, s[2:3]
	;; [unrolled: 1-line block ×3, first 2 shown]
	v_sub_u32_e32 v17, 32, v16
	v_alignbit_b32 v18, v9, v15, v17
	v_cmp_eq_u32_e64 s[4:5], 0, v16
	v_cndmask_b32_e64 v16, v18, v9, s[4:5]
	v_cndmask_b32_e32 v9, v13, v11, vcc
	v_cndmask_b32_e64 v10, v10, v9, s[0:1]
	v_cndmask_b32_e64 v11, v14, v10, s[2:3]
	v_alignbit_b32 v13, v15, v11, v17
	v_cndmask_b32_e32 v8, v12, v8, vcc
	v_cndmask_b32_e64 v13, v13, v15, s[4:5]
	v_bfe_u32 v18, v16, 29, 1
	v_cndmask_b32_e64 v8, v9, v8, s[0:1]
	v_alignbit_b32 v14, v16, v13, 30
	v_sub_u32_e32 v19, 0, v18
	v_cndmask_b32_e64 v8, v10, v8, s[2:3]
	v_xor_b32_e32 v14, v14, v19
	v_alignbit_b32 v9, v11, v8, v17
	v_cndmask_b32_e64 v9, v9, v11, s[4:5]
	v_ffbh_u32_e32 v11, v14
	v_alignbit_b32 v10, v13, v9, 30
	v_min_u32_e32 v11, 32, v11
	v_alignbit_b32 v8, v9, v8, 30
	v_xor_b32_e32 v10, v10, v19
	v_sub_u32_e32 v12, 31, v11
	v_xor_b32_e32 v8, v8, v19
	v_alignbit_b32 v13, v14, v10, v12
	v_alignbit_b32 v8, v10, v8, v12
	;; [unrolled: 1-line block ×3, first 2 shown]
	v_ffbh_u32_e32 v10, v9
	v_min_u32_e32 v10, 32, v10
	v_lshrrev_b32_e32 v15, 29, v16
	v_not_b32_e32 v12, v10
	v_alignbit_b32 v8, v9, v8, v12
	v_lshlrev_b32_e32 v9, 31, v15
	v_or_b32_e32 v12, 0x33000000, v9
	v_add_lshl_u32 v10, v10, v11, 23
	v_lshrrev_b32_e32 v8, 9, v8
	v_sub_u32_e32 v10, v12, v10
	v_or_b32_e32 v9, 0.5, v9
	v_lshlrev_b32_e32 v11, 23, v11
	v_or_b32_e32 v8, v10, v8
	v_lshrrev_b32_e32 v10, 9, v13
	v_sub_u32_e32 v9, v9, v11
	v_or_b32_e32 v9, v10, v9
	s_mov_b32 s0, 0x3fc90fda
	v_mul_f32_e32 v10, 0x3fc90fda, v9
	v_fma_f32 v11, v9, s0, -v10
	v_fmac_f32_e32 v11, 0x33a22168, v9
	v_fmac_f32_e32 v11, 0x3fc90fda, v8
	v_lshrrev_b32_e32 v8, 30, v16
	v_add_f32_e32 v9, v10, v11
	v_add_u32_e32 v8, v18, v8
	s_andn2_saveexec_b64 s[0:1], s[8:9]
	s_cbranch_execnz .LBB19_219
	s_branch .LBB19_220
.LBB19_218:
	s_andn2_saveexec_b64 s[0:1], s[8:9]
	s_cbranch_execz .LBB19_220
.LBB19_219:
	s_mov_b32 s2, 0x3f22f983
	v_mul_f32_e64 v8, |v2|, s2
	v_rndne_f32_e32 v10, v8
	s_mov_b32 s2, 0xbfc90fda
	v_cvt_i32_f32_e32 v8, v10
	v_fma_f32 v9, v10, s2, |v2|
	v_fmac_f32_e32 v9, 0xb3a22168, v10
	v_fmac_f32_e32 v9, 0xa7c234c4, v10
.LBB19_220:
	s_or_b64 exec, exec, s[0:1]
	s_mov_b32 s2, 0x41c80000
	v_div_scale_f32 v10, s[0:1], v5, v5, s2
	v_div_scale_f32 v11, vcc, s2, v5, s2
	v_mov_b32_e32 v12, 0x3a50e985
	v_mov_b32_e32 v14, 0x3da9a586
	;; [unrolled: 1-line block ×9, first 2 shown]
	s_mov_b32 s4, 0xc0a00000
	v_mov_b32_e32 v24, 0xbfa429da
	v_div_scale_f32 v33, s[0:1], v1, v1, s4
	v_rcp_f32_e32 v13, v10
	v_mov_b32_e32 v25, 0xc19c6e80
	v_mov_b32_e32 v26, 0xc2ba697b
	;; [unrolled: 1-line block ×3, first 2 shown]
	v_fma_f32 v17, -v10, v13, 1.0
	v_fmac_f32_e32 v13, v17, v13
	v_mul_f32_e32 v17, v11, v13
	v_fma_f32 v18, -v10, v17, v11
	v_fmac_f32_e32 v17, v18, v13
	v_fma_f32 v10, -v10, v17, v11
	v_div_fmas_f32 v10, v10, v13, v17
	v_mov_b32_e32 v17, 0x3a725406
	v_mov_b32_e32 v18, 0x3daf5e2d
	;; [unrolled: 1-line block ×8, first 2 shown]
	v_div_fixup_f32 v10, v10, v5, s2
	v_fmac_f32_e32 v12, 0, v10
	v_fmac_f32_e32 v17, 0, v10
	;; [unrolled: 1-line block ×12, first 2 shown]
	v_fma_f32 v11, v10, v22, 1.0
	v_fma_f32 v12, v10, v13, 1.0
	v_div_scale_f32 v13, s[0:1], v11, v11, v12
	v_div_scale_f32 v18, vcc, v12, v11, v12
	v_mov_b32_e32 v14, 0x4280a2ba
	v_fmac_f32_e32 v23, 0, v10
	v_mov_b32_e32 v15, 0x44561b86
	v_fmac_f32_e32 v14, 0, v10
	v_fmac_f32_e32 v24, v10, v23
	v_mov_b32_e32 v16, 0x4572a66e
	v_fmac_f32_e32 v15, v10, v14
	;; [unrolled: 3-line block ×3, first 2 shown]
	v_fmac_f32_e32 v26, v10, v25
	v_mov_b32_e32 v19, 0x45b955d1
	v_rcp_f32_e32 v32, v13
	v_fmac_f32_e32 v17, v10, v16
	v_fmac_f32_e32 v27, v10, v26
	v_mov_b32_e32 v20, 0x4500e17e
	v_fma_f32 v35, -v13, v32, 1.0
	v_fmac_f32_e32 v32, v35, v32
	v_mul_f32_e32 v35, v18, v32
	v_fma_f32 v36, -v13, v35, v18
	v_fmac_f32_e32 v35, v36, v32
	v_fma_f32 v13, -v13, v35, v18
	v_div_fmas_f32 v13, v13, v32, v35
	v_fmac_f32_e32 v19, v10, v17
	v_fmac_f32_e32 v28, v10, v27
	v_mov_b32_e32 v5, 0xc0c19ac7
	v_mov_b32_e32 v21, 0x43720178
	v_div_scale_f32 v34, s[0:1], s4, v1, s4
	v_fmac_f32_e32 v20, v10, v19
	v_fmac_f32_e32 v29, v10, v28
	;; [unrolled: 1-line block ×4, first 2 shown]
	v_rcp_f32_e32 v15, v33
	s_mov_b64 vcc, s[0:1]
	v_mul_f32_e32 v22, v7, v7
	v_fmac_f32_e32 v31, 0xb94c1982, v22
	v_fma_f32 v18, -v33, v15, 1.0
	v_div_fixup_f32 v10, v13, v11, v12
	v_div_scale_f32 v12, s[2:3], v21, v21, v5
	v_div_scale_f32 v14, s[2:3], v5, v21, v5
	v_fmac_f32_e32 v15, v18, v15
	v_mul_f32_e32 v18, v34, v15
	v_fma_f32 v19, -v33, v18, v34
	v_fmac_f32_e32 v18, v19, v15
	v_fma_f32 v20, -v33, v18, v34
	v_div_fmas_f32 v15, v20, v15, v18
	s_mov_b64 vcc, s[2:3]
	v_mov_b32_e32 v11, 0xbe2aaa9d
	v_fma_f32 v13, v22, v31, v11
	v_mul_f32_e32 v13, v22, v13
	v_fmac_f32_e32 v7, v7, v13
	v_mov_b32_e32 v13, 0xbab64f3b
	v_rcp_f32_e32 v19, v12
	v_mov_b32_e32 v16, 0xbab64f3b
	v_fmac_f32_e32 v16, 0x37d75334, v22
	v_mov_b32_e32 v17, 0x3d2aabf7
	v_fma_f32 v18, -v12, v19, 1.0
	v_fmac_f32_e32 v19, v18, v19
	v_mul_f32_e32 v18, v14, v19
	v_fma_f32 v20, -v12, v18, v14
	v_fmac_f32_e32 v18, v20, v19
	v_fma_f32 v12, -v12, v18, v14
	v_div_fmas_f32 v12, v12, v19, v18
	v_fma_f32 v14, v22, v16, v17
	v_mov_b32_e32 v16, 0xbf000004
	v_fma_f32 v14, v22, v14, v16
	v_and_b32_e32 v18, 1, v6
	v_fma_f32 v14, v22, v14, 1.0
	v_cmp_eq_u32_e32 vcc, 0, v18
	s_movk_i32 s0, 0x1f8
	v_cndmask_b32_e64 v7, -v7, v14, vcc
	v_lshlrev_b32_e32 v6, 30, v6
	v_cmp_class_f32_e64 vcc, v2, s0
	v_xor_b32_e32 v2, v3, v2
	v_and_b32_e32 v6, 0x80000000, v6
	v_xor_b32_e32 v6, v6, v7
	v_mov_b32_e32 v7, 0x7fc00000
	v_cndmask_b32_e32 v6, v7, v6, vcc
	v_div_fixup_f32 v5, v12, v21, v5
	v_mul_f32_e32 v12, v9, v9
	v_fmac_f32_e32 v30, 0xb94c1982, v12
	v_fmac_f32_e32 v13, 0x37d75334, v12
	;; [unrolled: 1-line block ×4, first 2 shown]
	v_mul_f32_e32 v11, v12, v11
	v_fmac_f32_e32 v16, v12, v17
	v_fmac_f32_e32 v9, v9, v11
	v_fma_f32 v11, v12, v16, 1.0
	v_and_b32_e32 v12, 1, v8
	v_lshlrev_b32_e32 v8, 30, v8
	v_cmp_eq_u32_e64 s[0:1], 0, v12
	v_and_b32_e32 v8, 0x80000000, v8
	v_cndmask_b32_e64 v9, v11, v9, s[0:1]
	v_xor_b32_e32 v2, v2, v8
	v_xor_b32_e32 v2, v2, v9
	s_mov_b32 s0, 0xf800000
	v_cndmask_b32_e32 v2, v7, v2, vcc
	v_mul_f32_e32 v3, 0x4f800000, v1
	v_cmp_gt_f32_e32 vcc, s0, v1
	v_div_fixup_f32 v14, v15, v1, s4
	v_cndmask_b32_e32 v1, v1, v3, vcc
	v_sqrt_f32_e32 v3, v1
	v_mul_f32_e32 v5, v14, v5
	v_mul_f32_e32 v2, v5, v2
	v_fmac_f32_e32 v2, v10, v6
	v_add_u32_e32 v5, -1, v3
	v_fma_f32 v6, -v5, v3, v1
	v_cmp_ge_f32_e64 s[0:1], 0, v6
	v_add_u32_e32 v6, 1, v3
	v_cndmask_b32_e64 v5, v3, v5, s[0:1]
	v_fma_f32 v3, -v6, v3, v1
	v_cmp_lt_f32_e64 s[0:1], 0, v3
	v_cndmask_b32_e64 v3, v5, v6, s[0:1]
	v_mul_f32_e32 v5, 0x37800000, v3
	v_cndmask_b32_e32 v3, v3, v5, vcc
	v_mov_b32_e32 v5, 0x260
	v_cmp_class_f32_e32 vcc, v1, v5
	v_mul_f32_e32 v2, 0x3f4c422a, v2
	v_cndmask_b32_e32 v1, v3, v1, vcc
	v_div_scale_f32 v3, s[0:1], v1, v1, v2
	v_div_scale_f32 v5, vcc, v2, v1, v2
	v_rcp_f32_e32 v6, v3
	v_fma_f32 v7, -v3, v6, 1.0
	v_fmac_f32_e32 v6, v7, v6
	v_mul_f32_e32 v7, v5, v6
	v_fma_f32 v8, -v3, v7, v5
	v_fmac_f32_e32 v7, v8, v6
	v_fma_f32 v3, -v3, v7, v5
	v_div_fmas_f32 v3, v3, v6, v7
	v_div_fixup_f32 v2, v3, v1, v2
.LBB19_221:
	s_or_b64 exec, exec, s[6:7]
	v_add_u32_e32 v4, 0x80, v4
	global_store_dword v0, v2, s[16:17]
	s_or_b64 exec, exec, s[48:49]
	v_cmp_gt_i32_e32 vcc, s55, v4
	s_and_saveexec_b64 s[48:49], vcc
	s_cbranch_execz .LBB19_196
.LBB19_222:
	s_andn2_b64 vcc, exec, s[36:37]
	s_cbranch_vccnz .LBB19_227
; %bb.223:
	s_andn2_b64 vcc, exec, s[46:47]
	s_cbranch_vccnz .LBB19_228
; %bb.224:
	s_add_i32 s56, s56, 1
	s_cmp_eq_u32 s54, 2
	s_cbranch_scc1 .LBB19_229
; %bb.225:
	s_and_b32 s50, s56, 28
	v_mov_b32_e32 v2, 0
	s_mov_b32 s51, 0
	s_mov_b64 s[46:47], s[34:35]
	v_mov_b32_e32 v0, 0
	v_mov_b32_e32 v1, v4
.LBB19_226:                             ; =>This Inner Loop Header: Depth=1
	s_load_dwordx8 s[8:15], s[46:47], 0x4
	s_load_dwordx4 s[28:31], s[46:47], 0x24
	s_load_dwordx8 s[0:7], s[44:45], 0x0
	s_add_u32 s46, s46, 48
	s_addc_u32 s47, s47, 0
	s_waitcnt lgkmcnt(0)
	v_mul_hi_u32 v3, s9, v1
	s_add_i32 s51, s51, 4
	s_add_u32 s44, s44, 32
	s_addc_u32 s45, s45, 0
	v_add_u32_e32 v3, v1, v3
	v_lshrrev_b32_e32 v3, s10, v3
	v_mul_lo_u32 v5, v3, s8
	v_mul_hi_u32 v6, s12, v3
	s_cmp_eq_u32 s50, s51
	v_sub_u32_e32 v1, v1, v5
	v_add_u32_e32 v5, v3, v6
	v_mul_lo_u32 v6, v1, s0
	v_mul_lo_u32 v7, v1, s1
	v_lshrrev_b32_e32 v1, s13, v5
	v_mul_lo_u32 v5, v1, s11
	v_mul_hi_u32 v8, s15, v1
	v_sub_u32_e32 v3, v3, v5
	v_add_u32_e32 v5, v1, v8
	v_lshrrev_b32_e32 v5, s28, v5
	v_mul_hi_u32 v9, s30, v5
	v_mul_lo_u32 v10, v5, s14
	v_mul_lo_u32 v8, v3, s2
	;; [unrolled: 1-line block ×3, first 2 shown]
	v_sub_u32_e32 v10, v1, v10
	v_add_u32_e32 v1, v5, v9
	v_lshrrev_b32_e32 v1, s31, v1
	v_mul_lo_u32 v9, v1, s29
	v_mul_lo_u32 v11, v10, s4
	;; [unrolled: 1-line block ×3, first 2 shown]
	v_add3_u32 v0, v6, v0, v8
	v_sub_u32_e32 v5, v5, v9
	v_mul_lo_u32 v9, v5, s6
	v_mul_lo_u32 v5, v5, s7
	v_add3_u32 v2, v7, v2, v3
	v_add3_u32 v0, v11, v0, v9
	;; [unrolled: 1-line block ×3, first 2 shown]
	s_cbranch_scc0 .LBB19_226
	s_branch .LBB19_230
.LBB19_227:
                                        ; implicit-def: $vgpr0
                                        ; implicit-def: $vgpr2
	s_branch .LBB19_234
.LBB19_228:
	v_mov_b32_e32 v0, 0
	v_mov_b32_e32 v2, 0
	s_branch .LBB19_233
.LBB19_229:
	s_mov_b32 s50, 0
	v_mov_b32_e32 v0, 0
	v_mov_b32_e32 v2, 0
	;; [unrolled: 1-line block ×3, first 2 shown]
.LBB19_230:
	s_and_b32 s4, s56, 3
	s_cmp_eq_u32 s4, 0
	s_cbranch_scc1 .LBB19_233
; %bb.231:
	s_lshl_b32 s0, s50, 3
	s_add_u32 s0, s34, s0
	s_addc_u32 s1, s35, 0
	s_add_u32 s0, s0, 0xc4
	s_addc_u32 s1, s1, 0
	s_mul_i32 s2, s50, 12
	s_add_u32 s2, s34, s2
	s_addc_u32 s3, s35, 0
.LBB19_232:                             ; =>This Inner Loop Header: Depth=1
	s_load_dwordx2 s[6:7], s[2:3], 0x4
	s_load_dword s5, s[2:3], 0xc
	s_load_dwordx2 s[8:9], s[0:1], 0x0
	s_add_u32 s2, s2, 12
	s_addc_u32 s3, s3, 0
	s_waitcnt lgkmcnt(0)
	v_mul_hi_u32 v3, s7, v1
	s_add_u32 s0, s0, 8
	s_addc_u32 s1, s1, 0
	s_add_i32 s4, s4, -1
	v_add_u32_e32 v3, v1, v3
	v_lshrrev_b32_e32 v5, s5, v3
	v_mul_lo_u32 v3, v5, s6
	s_cmp_lg_u32 s4, 0
	v_sub_u32_e32 v3, v1, v3
	v_mad_u64_u32 v[0:1], s[6:7], v3, s8, v[0:1]
	v_mad_u64_u32 v[2:3], s[6:7], v3, s9, v[2:3]
	v_mov_b32_e32 v1, v5
	s_cbranch_scc1 .LBB19_232
.LBB19_233:
	s_cbranch_execnz .LBB19_236
.LBB19_234:
	s_waitcnt lgkmcnt(0)
	v_mul_hi_u32 v0, s25, v4
	s_andn2_b64 vcc, exec, s[42:43]
	v_add_u32_e32 v0, v4, v0
	v_lshrrev_b32_e32 v1, s26, v0
	v_mul_lo_u32 v0, v1, s24
	v_sub_u32_e32 v2, v4, v0
	v_mul_lo_u32 v0, v2, s20
	v_mul_lo_u32 v2, v2, s21
	s_cbranch_vccnz .LBB19_236
; %bb.235:
	v_mul_hi_u32 v3, s40, v1
	v_add_u32_e32 v3, v1, v3
	v_lshrrev_b32_e32 v3, s41, v3
	v_mul_lo_u32 v3, v3, s27
	v_sub_u32_e32 v3, v1, v3
	v_mad_u64_u32 v[0:1], s[0:1], v3, s22, v[0:1]
	v_mad_u64_u32 v[2:3], s[0:1], v3, s23, v[2:3]
.LBB19_236:
	s_waitcnt lgkmcnt(0)
	global_load_dword v1, v2, s[18:19]
	s_mov_b32 s0, 0x40a00000
                                        ; implicit-def: $vgpr2
	s_waitcnt vmcnt(0)
	v_cmp_gt_f32_e32 vcc, 0, v1
	v_cndmask_b32_e64 v1, v1, -v1, vcc
	v_cmp_ge_f32_e32 vcc, s0, v1
	v_mul_f32_e32 v4, v1, v1
	s_and_saveexec_b64 s[0:1], vcc
	s_xor_b64 s[0:1], exec, s[0:1]
	s_cbranch_execz .LBB19_242
; %bb.237:
	s_mov_b32 s2, 0x3727c5ac
	v_cmp_ngt_f32_e32 vcc, s2, v1
                                        ; implicit-def: $vgpr2
	s_and_saveexec_b64 s[2:3], vcc
	s_xor_b64 s[2:3], exec, s[2:3]
	s_cbranch_execz .LBB19_239
; %bb.238:
	v_mov_b32_e32 v1, 0xcf8ee29d
	v_fmac_f32_e32 v1, 0, v4
	v_mov_b32_e32 v2, 0x53e3ba8e
	v_fmac_f32_e32 v2, v4, v1
	;; [unrolled: 2-line block ×12, first 2 shown]
	v_add_f32_e32 v1, 0xc0b90fdc, v4
	v_add_f32_e32 v4, 0xc1f3c525, v4
	v_mul_f32_e32 v1, v1, v4
	v_mul_f32_e32 v1, v1, v2
	v_div_scale_f32 v2, s[4:5], v3, v3, v1
	v_div_scale_f32 v4, vcc, v1, v3, v1
	v_rcp_f32_e32 v5, v2
	v_fma_f32 v6, -v2, v5, 1.0
	v_fmac_f32_e32 v5, v6, v5
	v_mul_f32_e32 v6, v4, v5
	v_fma_f32 v7, -v2, v6, v4
	v_fmac_f32_e32 v6, v7, v5
	v_fma_f32 v2, -v2, v6, v4
	v_div_fmas_f32 v2, v2, v5, v6
                                        ; implicit-def: $vgpr4
	v_div_fixup_f32 v2, v2, v3, v1
.LBB19_239:
	s_andn2_saveexec_b64 s[2:3], s[2:3]
; %bb.240:
	s_mov_b32 s4, 0xbe800000
	v_fma_f32 v2, v4, s4, 1.0
; %bb.241:
	s_or_b64 exec, exec, s[2:3]
                                        ; implicit-def: $vgpr4
                                        ; implicit-def: $vgpr1
.LBB19_242:
	s_andn2_saveexec_b64 s[6:7], s[0:1]
	s_cbranch_execz .LBB19_252
; %bb.243:
	v_add_f32_e32 v2, 0xbf490fdb, v1
	s_brev_b32 s0, 18
	v_and_b32_e32 v3, 0x7fffffff, v2
	v_cmp_nlt_f32_e64 s[8:9], |v2|, s0
                                        ; implicit-def: $vgpr5
                                        ; implicit-def: $vgpr6
	s_and_saveexec_b64 s[0:1], s[8:9]
	s_xor_b64 s[10:11], exec, s[0:1]
	s_cbranch_execz .LBB19_245
; %bb.244:
	v_and_b32_e32 v5, 0x7fffff, v3
	v_or_b32_e32 v14, 0x800000, v5
	s_mov_b32 s0, 0xfe5163ab
	v_mad_u64_u32 v[5:6], s[0:1], v14, s0, 0
	v_mov_b32_e32 v7, 0
	s_mov_b32 s0, 0x3c439041
	v_mad_u64_u32 v[8:9], s[0:1], v14, s0, v[6:7]
	s_mov_b32 s0, 0xdb629599
	v_not_b32_e32 v13, 63
	v_mov_b32_e32 v6, v9
	v_mad_u64_u32 v[9:10], s[0:1], v14, s0, v[6:7]
	s_mov_b32 s0, 0xf534ddc0
	v_not_b32_e32 v16, 31
	v_mov_b32_e32 v6, v10
	v_mad_u64_u32 v[10:11], s[0:1], v14, s0, v[6:7]
	v_lshrrev_b32_e32 v6, 23, v3
	v_add_u32_e32 v15, 0xffffff88, v6
	v_mov_b32_e32 v6, v11
	s_mov_b32 s0, 0xfc2757d1
	v_mad_u64_u32 v[11:12], s[0:1], v14, s0, v[6:7]
	v_cmp_lt_u32_e32 vcc, 63, v15
	v_cndmask_b32_e32 v6, 0, v13, vcc
	v_add_u32_e32 v15, v6, v15
	v_mov_b32_e32 v6, v12
	s_mov_b32 s0, 0x4e441529
	v_mad_u64_u32 v[12:13], s[0:1], v14, s0, v[6:7]
	v_cmp_lt_u32_e64 s[0:1], 31, v15
	v_cndmask_b32_e64 v6, 0, v16, s[0:1]
	v_add_u32_e32 v15, v6, v15
	v_mov_b32_e32 v6, v13
	s_mov_b32 s2, 0xa2f9836e
	v_mad_u64_u32 v[6:7], s[2:3], v14, s2, v[6:7]
	v_cmp_lt_u32_e64 s[2:3], 31, v15
	v_cndmask_b32_e64 v13, 0, v16, s[2:3]
	v_cndmask_b32_e32 v14, v12, v10, vcc
	v_cndmask_b32_e32 v6, v6, v11, vcc
	;; [unrolled: 1-line block ×3, first 2 shown]
	v_add_u32_e32 v13, v13, v15
	v_cndmask_b32_e64 v15, v6, v14, s[0:1]
	v_cndmask_b32_e64 v6, v7, v6, s[0:1]
	v_cndmask_b32_e32 v7, v11, v9, vcc
	v_cndmask_b32_e64 v11, v14, v7, s[0:1]
	v_cndmask_b32_e64 v6, v6, v15, s[2:3]
	;; [unrolled: 1-line block ×3, first 2 shown]
	v_sub_u32_e32 v14, 32, v13
	v_alignbit_b32 v15, v6, v12, v14
	v_cmp_eq_u32_e64 s[4:5], 0, v13
	v_cndmask_b32_e64 v13, v15, v6, s[4:5]
	v_cndmask_b32_e32 v6, v10, v8, vcc
	v_cndmask_b32_e64 v7, v7, v6, s[0:1]
	v_cndmask_b32_e64 v8, v11, v7, s[2:3]
	v_alignbit_b32 v10, v12, v8, v14
	v_cndmask_b32_e32 v5, v9, v5, vcc
	v_cndmask_b32_e64 v10, v10, v12, s[4:5]
	v_bfe_u32 v15, v13, 29, 1
	v_cndmask_b32_e64 v5, v6, v5, s[0:1]
	v_alignbit_b32 v11, v13, v10, 30
	v_sub_u32_e32 v16, 0, v15
	v_cndmask_b32_e64 v5, v7, v5, s[2:3]
	v_xor_b32_e32 v11, v11, v16
	v_alignbit_b32 v6, v8, v5, v14
	v_cndmask_b32_e64 v6, v6, v8, s[4:5]
	v_ffbh_u32_e32 v8, v11
	v_alignbit_b32 v7, v10, v6, 30
	v_min_u32_e32 v8, 32, v8
	v_alignbit_b32 v5, v6, v5, 30
	v_xor_b32_e32 v7, v7, v16
	v_sub_u32_e32 v9, 31, v8
	v_xor_b32_e32 v5, v5, v16
	v_alignbit_b32 v10, v11, v7, v9
	v_alignbit_b32 v5, v7, v5, v9
	;; [unrolled: 1-line block ×3, first 2 shown]
	v_ffbh_u32_e32 v7, v6
	v_min_u32_e32 v7, 32, v7
	v_lshrrev_b32_e32 v12, 29, v13
	v_not_b32_e32 v9, v7
	v_alignbit_b32 v5, v6, v5, v9
	v_lshlrev_b32_e32 v6, 31, v12
	v_or_b32_e32 v9, 0x33000000, v6
	v_add_lshl_u32 v7, v7, v8, 23
	v_lshrrev_b32_e32 v5, 9, v5
	v_sub_u32_e32 v7, v9, v7
	v_or_b32_e32 v6, 0.5, v6
	v_lshlrev_b32_e32 v8, 23, v8
	v_or_b32_e32 v5, v7, v5
	v_lshrrev_b32_e32 v7, 9, v10
	v_sub_u32_e32 v6, v6, v8
	v_or_b32_e32 v6, v7, v6
	s_mov_b32 s0, 0x3fc90fda
	v_mul_f32_e32 v7, 0x3fc90fda, v6
	v_fma_f32 v8, v6, s0, -v7
	v_fmac_f32_e32 v8, 0x33a22168, v6
	v_fmac_f32_e32 v8, 0x3fc90fda, v5
	v_lshrrev_b32_e32 v5, 30, v13
	v_add_f32_e32 v6, v7, v8
	v_add_u32_e32 v5, v15, v5
	s_andn2_saveexec_b64 s[0:1], s[10:11]
	s_cbranch_execz .LBB19_247
	s_branch .LBB19_246
.LBB19_245:
	s_andn2_saveexec_b64 s[0:1], s[10:11]
	s_cbranch_execz .LBB19_247
.LBB19_246:
	s_mov_b32 s2, 0x3f22f983
	v_mul_f32_e64 v5, |v2|, s2
	v_rndne_f32_e32 v7, v5
	s_mov_b32 s2, 0xbfc90fda
	v_cvt_i32_f32_e32 v5, v7
	v_fma_f32 v6, v7, s2, |v2|
	v_fmac_f32_e32 v6, 0xb3a22168, v7
	v_fmac_f32_e32 v6, 0xa7c234c4, v7
.LBB19_247:
	s_or_b64 exec, exec, s[0:1]
                                        ; implicit-def: $vgpr7
                                        ; implicit-def: $vgpr8
	s_and_saveexec_b64 s[0:1], s[8:9]
	s_xor_b64 s[8:9], exec, s[0:1]
	s_cbranch_execz .LBB19_249
; %bb.248:
	v_and_b32_e32 v7, 0x7fffff, v3
	v_or_b32_e32 v16, 0x800000, v7
	s_mov_b32 s0, 0xfe5163ab
	v_mad_u64_u32 v[7:8], s[0:1], v16, s0, 0
	v_mov_b32_e32 v9, 0
	s_mov_b32 s0, 0x3c439041
	v_mad_u64_u32 v[10:11], s[0:1], v16, s0, v[8:9]
	s_mov_b32 s0, 0xdb629599
	v_not_b32_e32 v15, 63
	v_mov_b32_e32 v8, v11
	v_mad_u64_u32 v[11:12], s[0:1], v16, s0, v[8:9]
	s_mov_b32 s0, 0xf534ddc0
	v_not_b32_e32 v18, 31
	v_mov_b32_e32 v8, v12
	v_mad_u64_u32 v[12:13], s[0:1], v16, s0, v[8:9]
	v_lshrrev_b32_e32 v8, 23, v3
	v_add_u32_e32 v17, 0xffffff88, v8
	v_mov_b32_e32 v8, v13
	s_mov_b32 s0, 0xfc2757d1
	v_mad_u64_u32 v[13:14], s[0:1], v16, s0, v[8:9]
	v_cmp_lt_u32_e32 vcc, 63, v17
	v_cndmask_b32_e32 v8, 0, v15, vcc
	v_add_u32_e32 v17, v8, v17
	v_mov_b32_e32 v8, v14
	s_mov_b32 s0, 0x4e441529
	v_mad_u64_u32 v[14:15], s[0:1], v16, s0, v[8:9]
	v_cmp_lt_u32_e64 s[0:1], 31, v17
	v_cndmask_b32_e64 v8, 0, v18, s[0:1]
	v_add_u32_e32 v17, v8, v17
	v_mov_b32_e32 v8, v15
	s_mov_b32 s2, 0xa2f9836e
	v_mad_u64_u32 v[8:9], s[2:3], v16, s2, v[8:9]
	v_cmp_lt_u32_e64 s[2:3], 31, v17
	v_cndmask_b32_e64 v15, 0, v18, s[2:3]
	v_cndmask_b32_e32 v16, v14, v12, vcc
	v_cndmask_b32_e32 v8, v8, v13, vcc
	;; [unrolled: 1-line block ×3, first 2 shown]
	v_add_u32_e32 v15, v15, v17
	v_cndmask_b32_e64 v17, v8, v16, s[0:1]
	v_cndmask_b32_e64 v8, v9, v8, s[0:1]
	v_cndmask_b32_e32 v9, v13, v11, vcc
	v_cndmask_b32_e64 v13, v16, v9, s[0:1]
	v_cndmask_b32_e64 v8, v8, v17, s[2:3]
	;; [unrolled: 1-line block ×3, first 2 shown]
	v_sub_u32_e32 v16, 32, v15
	v_alignbit_b32 v17, v8, v14, v16
	v_cmp_eq_u32_e64 s[4:5], 0, v15
	v_cndmask_b32_e64 v15, v17, v8, s[4:5]
	v_cndmask_b32_e32 v8, v12, v10, vcc
	v_cndmask_b32_e64 v9, v9, v8, s[0:1]
	v_cndmask_b32_e64 v10, v13, v9, s[2:3]
	v_alignbit_b32 v12, v14, v10, v16
	v_cndmask_b32_e32 v7, v11, v7, vcc
	v_cndmask_b32_e64 v12, v12, v14, s[4:5]
	v_bfe_u32 v17, v15, 29, 1
	v_cndmask_b32_e64 v7, v8, v7, s[0:1]
	v_alignbit_b32 v13, v15, v12, 30
	v_sub_u32_e32 v18, 0, v17
	v_cndmask_b32_e64 v7, v9, v7, s[2:3]
	v_xor_b32_e32 v13, v13, v18
	v_alignbit_b32 v8, v10, v7, v16
	v_cndmask_b32_e64 v8, v8, v10, s[4:5]
	v_ffbh_u32_e32 v10, v13
	v_alignbit_b32 v9, v12, v8, 30
	v_min_u32_e32 v10, 32, v10
	v_alignbit_b32 v7, v8, v7, 30
	v_xor_b32_e32 v9, v9, v18
	v_sub_u32_e32 v11, 31, v10
	v_xor_b32_e32 v7, v7, v18
	v_alignbit_b32 v12, v13, v9, v11
	v_alignbit_b32 v7, v9, v7, v11
	;; [unrolled: 1-line block ×3, first 2 shown]
	v_ffbh_u32_e32 v9, v8
	v_min_u32_e32 v9, 32, v9
	v_lshrrev_b32_e32 v14, 29, v15
	v_not_b32_e32 v11, v9
	v_alignbit_b32 v7, v8, v7, v11
	v_lshlrev_b32_e32 v8, 31, v14
	v_or_b32_e32 v11, 0x33000000, v8
	v_add_lshl_u32 v9, v9, v10, 23
	v_lshrrev_b32_e32 v7, 9, v7
	v_sub_u32_e32 v9, v11, v9
	v_or_b32_e32 v8, 0.5, v8
	v_lshlrev_b32_e32 v10, 23, v10
	v_or_b32_e32 v7, v9, v7
	v_lshrrev_b32_e32 v9, 9, v12
	v_sub_u32_e32 v8, v8, v10
	v_or_b32_e32 v8, v9, v8
	s_mov_b32 s0, 0x3fc90fda
	v_mul_f32_e32 v9, 0x3fc90fda, v8
	v_fma_f32 v10, v8, s0, -v9
	v_fmac_f32_e32 v10, 0x33a22168, v8
	v_fmac_f32_e32 v10, 0x3fc90fda, v7
	v_lshrrev_b32_e32 v7, 30, v15
	v_add_f32_e32 v8, v9, v10
	v_add_u32_e32 v7, v17, v7
	s_andn2_saveexec_b64 s[0:1], s[8:9]
	s_cbranch_execnz .LBB19_250
	s_branch .LBB19_251
.LBB19_249:
	s_andn2_saveexec_b64 s[0:1], s[8:9]
	s_cbranch_execz .LBB19_251
.LBB19_250:
	s_mov_b32 s2, 0x3f22f983
	v_mul_f32_e64 v7, |v2|, s2
	v_rndne_f32_e32 v9, v7
	s_mov_b32 s2, 0xbfc90fda
	v_cvt_i32_f32_e32 v7, v9
	v_fma_f32 v8, v9, s2, |v2|
	v_fmac_f32_e32 v8, 0xb3a22168, v9
	v_fmac_f32_e32 v8, 0xa7c234c4, v9
.LBB19_251:
	s_or_b64 exec, exec, s[0:1]
	s_mov_b32 s2, 0x41c80000
	v_div_scale_f32 v9, s[0:1], v4, v4, s2
	v_div_scale_f32 v10, vcc, s2, v4, s2
	v_mov_b32_e32 v11, 0x3a50e985
	v_mov_b32_e32 v13, 0x3da9a586
	;; [unrolled: 1-line block ×9, first 2 shown]
	s_mov_b32 s4, 0xc0a00000
	v_mov_b32_e32 v23, 0xbfa429da
	v_div_scale_f32 v32, s[0:1], v1, v1, s4
	v_rcp_f32_e32 v12, v9
	v_mov_b32_e32 v24, 0xc19c6e80
	v_mov_b32_e32 v25, 0xc2ba697b
	;; [unrolled: 1-line block ×3, first 2 shown]
	v_fma_f32 v16, -v9, v12, 1.0
	v_fmac_f32_e32 v12, v16, v12
	v_mul_f32_e32 v16, v10, v12
	v_fma_f32 v17, -v9, v16, v10
	v_fmac_f32_e32 v16, v17, v12
	v_fma_f32 v9, -v9, v16, v10
	v_div_fmas_f32 v9, v9, v12, v16
	v_mov_b32_e32 v16, 0x3a725406
	v_mov_b32_e32 v17, 0x3daf5e2d
	;; [unrolled: 1-line block ×8, first 2 shown]
	v_div_fixup_f32 v9, v9, v4, s2
	v_fmac_f32_e32 v11, 0, v9
	v_fmac_f32_e32 v16, 0, v9
	;; [unrolled: 1-line block ×12, first 2 shown]
	v_fma_f32 v10, v9, v21, 1.0
	v_fma_f32 v11, v9, v12, 1.0
	v_div_scale_f32 v12, s[0:1], v10, v10, v11
	v_div_scale_f32 v17, vcc, v11, v10, v11
	v_mov_b32_e32 v13, 0x4280a2ba
	v_fmac_f32_e32 v22, 0, v9
	v_mov_b32_e32 v14, 0x44561b86
	v_fmac_f32_e32 v13, 0, v9
	v_fmac_f32_e32 v23, v9, v22
	v_mov_b32_e32 v15, 0x4572a66e
	v_fmac_f32_e32 v14, v9, v13
	;; [unrolled: 3-line block ×3, first 2 shown]
	v_fmac_f32_e32 v25, v9, v24
	v_mov_b32_e32 v18, 0x45b955d1
	v_rcp_f32_e32 v31, v12
	v_fmac_f32_e32 v16, v9, v15
	v_fmac_f32_e32 v26, v9, v25
	v_mov_b32_e32 v19, 0x4500e17e
	v_fma_f32 v34, -v12, v31, 1.0
	v_fmac_f32_e32 v31, v34, v31
	v_mul_f32_e32 v34, v17, v31
	v_fma_f32 v35, -v12, v34, v17
	v_fmac_f32_e32 v34, v35, v31
	v_fma_f32 v12, -v12, v34, v17
	v_div_fmas_f32 v12, v12, v31, v34
	v_fmac_f32_e32 v18, v9, v16
	v_fmac_f32_e32 v27, v9, v26
	v_mov_b32_e32 v4, 0xc0c19ac7
	v_mov_b32_e32 v20, 0x43720178
	v_div_scale_f32 v33, s[0:1], s4, v1, s4
	v_fmac_f32_e32 v19, v9, v18
	v_fmac_f32_e32 v28, v9, v27
	;; [unrolled: 1-line block ×4, first 2 shown]
	v_rcp_f32_e32 v14, v32
	s_mov_b64 vcc, s[0:1]
	v_mul_f32_e32 v21, v6, v6
	v_fmac_f32_e32 v30, 0xb94c1982, v21
	v_fma_f32 v17, -v32, v14, 1.0
	v_div_fixup_f32 v9, v12, v10, v11
	v_div_scale_f32 v11, s[2:3], v20, v20, v4
	v_div_scale_f32 v13, s[2:3], v4, v20, v4
	v_fmac_f32_e32 v14, v17, v14
	v_mul_f32_e32 v17, v33, v14
	v_fma_f32 v18, -v32, v17, v33
	v_fmac_f32_e32 v17, v18, v14
	v_fma_f32 v19, -v32, v17, v33
	v_div_fmas_f32 v14, v19, v14, v17
	s_mov_b64 vcc, s[2:3]
	v_mov_b32_e32 v10, 0xbe2aaa9d
	v_fma_f32 v12, v21, v30, v10
	v_mul_f32_e32 v12, v21, v12
	v_fmac_f32_e32 v6, v6, v12
	v_mov_b32_e32 v12, 0xbab64f3b
	v_rcp_f32_e32 v18, v11
	v_mov_b32_e32 v15, 0xbab64f3b
	v_fmac_f32_e32 v15, 0x37d75334, v21
	v_mov_b32_e32 v16, 0x3d2aabf7
	v_fma_f32 v17, -v11, v18, 1.0
	v_fmac_f32_e32 v18, v17, v18
	v_mul_f32_e32 v17, v13, v18
	v_fma_f32 v19, -v11, v17, v13
	v_fmac_f32_e32 v17, v19, v18
	v_fma_f32 v11, -v11, v17, v13
	v_div_fmas_f32 v11, v11, v18, v17
	v_fma_f32 v13, v21, v15, v16
	v_mov_b32_e32 v15, 0xbf000004
	v_fma_f32 v13, v21, v13, v15
	v_and_b32_e32 v17, 1, v5
	v_fma_f32 v13, v21, v13, 1.0
	v_cmp_eq_u32_e32 vcc, 0, v17
	s_movk_i32 s0, 0x1f8
	v_cndmask_b32_e64 v6, -v6, v13, vcc
	v_lshlrev_b32_e32 v5, 30, v5
	v_cmp_class_f32_e64 vcc, v2, s0
	v_xor_b32_e32 v2, v3, v2
	v_and_b32_e32 v5, 0x80000000, v5
	v_xor_b32_e32 v5, v5, v6
	v_mov_b32_e32 v6, 0x7fc00000
	v_cndmask_b32_e32 v5, v6, v5, vcc
	v_div_fixup_f32 v4, v11, v20, v4
	v_mul_f32_e32 v11, v8, v8
	v_fmac_f32_e32 v29, 0xb94c1982, v11
	v_fmac_f32_e32 v12, 0x37d75334, v11
	;; [unrolled: 1-line block ×4, first 2 shown]
	v_mul_f32_e32 v10, v11, v10
	v_fmac_f32_e32 v15, v11, v16
	v_fmac_f32_e32 v8, v8, v10
	v_fma_f32 v10, v11, v15, 1.0
	v_and_b32_e32 v11, 1, v7
	v_lshlrev_b32_e32 v7, 30, v7
	v_cmp_eq_u32_e64 s[0:1], 0, v11
	v_and_b32_e32 v7, 0x80000000, v7
	v_cndmask_b32_e64 v8, v10, v8, s[0:1]
	v_xor_b32_e32 v2, v2, v7
	v_xor_b32_e32 v2, v2, v8
	s_mov_b32 s0, 0xf800000
	v_cndmask_b32_e32 v2, v6, v2, vcc
	v_mul_f32_e32 v3, 0x4f800000, v1
	v_cmp_gt_f32_e32 vcc, s0, v1
	v_div_fixup_f32 v13, v14, v1, s4
	v_cndmask_b32_e32 v1, v1, v3, vcc
	v_sqrt_f32_e32 v3, v1
	v_mul_f32_e32 v4, v13, v4
	v_mul_f32_e32 v2, v4, v2
	v_fmac_f32_e32 v2, v9, v5
	v_add_u32_e32 v4, -1, v3
	v_fma_f32 v5, -v4, v3, v1
	v_cmp_ge_f32_e64 s[0:1], 0, v5
	v_add_u32_e32 v5, 1, v3
	v_cndmask_b32_e64 v4, v3, v4, s[0:1]
	v_fma_f32 v3, -v5, v3, v1
	v_cmp_lt_f32_e64 s[0:1], 0, v3
	v_cndmask_b32_e64 v3, v4, v5, s[0:1]
	v_mul_f32_e32 v4, 0x37800000, v3
	v_cndmask_b32_e32 v3, v3, v4, vcc
	v_mov_b32_e32 v4, 0x260
	v_cmp_class_f32_e32 vcc, v1, v4
	v_mul_f32_e32 v2, 0x3f4c422a, v2
	v_cndmask_b32_e32 v1, v3, v1, vcc
	v_div_scale_f32 v3, s[0:1], v1, v1, v2
	v_div_scale_f32 v4, vcc, v2, v1, v2
	v_rcp_f32_e32 v5, v3
	v_fma_f32 v6, -v3, v5, 1.0
	v_fmac_f32_e32 v5, v6, v5
	v_mul_f32_e32 v6, v4, v5
	v_fma_f32 v7, -v3, v6, v4
	v_fmac_f32_e32 v6, v7, v5
	v_fma_f32 v3, -v3, v6, v4
	v_div_fmas_f32 v3, v3, v5, v6
	v_div_fixup_f32 v2, v3, v1, v2
.LBB19_252:
	s_or_b64 exec, exec, s[6:7]
	global_store_dword v0, v2, s[16:17]
	s_or_b64 exec, exec, s[48:49]
                                        ; implicit-def: $vgpr13
                                        ; implicit-def: $vgpr4
	s_andn2_saveexec_b64 s[0:1], s[38:39]
	s_cbranch_execz .LBB19_197
	s_branch .LBB19_8
	.section	.rodata,"a",@progbits
	.p2align	6, 0x0
	.amdhsa_kernel _ZN2at6native32elementwise_kernel_manual_unrollILi128ELi4EZNS0_22gpu_kernel_impl_nocastIZZZNS0_12_GLOBAL__N_121bessel_j0_kernel_cudaERNS_18TensorIteratorBaseEENKUlvE_clEvENKUlvE0_clEvEUlfE_EEvS5_RKT_EUlibE_EEviT1_
		.amdhsa_group_segment_fixed_size 0
		.amdhsa_private_segment_fixed_size 0
		.amdhsa_kernarg_size 360
		.amdhsa_user_sgpr_count 6
		.amdhsa_user_sgpr_private_segment_buffer 1
		.amdhsa_user_sgpr_dispatch_ptr 0
		.amdhsa_user_sgpr_queue_ptr 0
		.amdhsa_user_sgpr_kernarg_segment_ptr 1
		.amdhsa_user_sgpr_dispatch_id 0
		.amdhsa_user_sgpr_flat_scratch_init 0
		.amdhsa_user_sgpr_private_segment_size 0
		.amdhsa_uses_dynamic_stack 0
		.amdhsa_system_sgpr_private_segment_wavefront_offset 0
		.amdhsa_system_sgpr_workgroup_id_x 1
		.amdhsa_system_sgpr_workgroup_id_y 0
		.amdhsa_system_sgpr_workgroup_id_z 0
		.amdhsa_system_sgpr_workgroup_info 0
		.amdhsa_system_vgpr_workitem_id 0
		.amdhsa_next_free_vgpr 41
		.amdhsa_next_free_sgpr 60
		.amdhsa_reserve_vcc 1
		.amdhsa_reserve_flat_scratch 0
		.amdhsa_float_round_mode_32 0
		.amdhsa_float_round_mode_16_64 0
		.amdhsa_float_denorm_mode_32 3
		.amdhsa_float_denorm_mode_16_64 3
		.amdhsa_dx10_clamp 1
		.amdhsa_ieee_mode 1
		.amdhsa_fp16_overflow 0
		.amdhsa_exception_fp_ieee_invalid_op 0
		.amdhsa_exception_fp_denorm_src 0
		.amdhsa_exception_fp_ieee_div_zero 0
		.amdhsa_exception_fp_ieee_overflow 0
		.amdhsa_exception_fp_ieee_underflow 0
		.amdhsa_exception_fp_ieee_inexact 0
		.amdhsa_exception_int_div_zero 0
	.end_amdhsa_kernel
	.section	.text._ZN2at6native32elementwise_kernel_manual_unrollILi128ELi4EZNS0_22gpu_kernel_impl_nocastIZZZNS0_12_GLOBAL__N_121bessel_j0_kernel_cudaERNS_18TensorIteratorBaseEENKUlvE_clEvENKUlvE0_clEvEUlfE_EEvS5_RKT_EUlibE_EEviT1_,"axG",@progbits,_ZN2at6native32elementwise_kernel_manual_unrollILi128ELi4EZNS0_22gpu_kernel_impl_nocastIZZZNS0_12_GLOBAL__N_121bessel_j0_kernel_cudaERNS_18TensorIteratorBaseEENKUlvE_clEvENKUlvE0_clEvEUlfE_EEvS5_RKT_EUlibE_EEviT1_,comdat
.Lfunc_end19:
	.size	_ZN2at6native32elementwise_kernel_manual_unrollILi128ELi4EZNS0_22gpu_kernel_impl_nocastIZZZNS0_12_GLOBAL__N_121bessel_j0_kernel_cudaERNS_18TensorIteratorBaseEENKUlvE_clEvENKUlvE0_clEvEUlfE_EEvS5_RKT_EUlibE_EEviT1_, .Lfunc_end19-_ZN2at6native32elementwise_kernel_manual_unrollILi128ELi4EZNS0_22gpu_kernel_impl_nocastIZZZNS0_12_GLOBAL__N_121bessel_j0_kernel_cudaERNS_18TensorIteratorBaseEENKUlvE_clEvENKUlvE0_clEvEUlfE_EEvS5_RKT_EUlibE_EEviT1_
                                        ; -- End function
	.set _ZN2at6native32elementwise_kernel_manual_unrollILi128ELi4EZNS0_22gpu_kernel_impl_nocastIZZZNS0_12_GLOBAL__N_121bessel_j0_kernel_cudaERNS_18TensorIteratorBaseEENKUlvE_clEvENKUlvE0_clEvEUlfE_EEvS5_RKT_EUlibE_EEviT1_.num_vgpr, 41
	.set _ZN2at6native32elementwise_kernel_manual_unrollILi128ELi4EZNS0_22gpu_kernel_impl_nocastIZZZNS0_12_GLOBAL__N_121bessel_j0_kernel_cudaERNS_18TensorIteratorBaseEENKUlvE_clEvENKUlvE0_clEvEUlfE_EEvS5_RKT_EUlibE_EEviT1_.num_agpr, 0
	.set _ZN2at6native32elementwise_kernel_manual_unrollILi128ELi4EZNS0_22gpu_kernel_impl_nocastIZZZNS0_12_GLOBAL__N_121bessel_j0_kernel_cudaERNS_18TensorIteratorBaseEENKUlvE_clEvENKUlvE0_clEvEUlfE_EEvS5_RKT_EUlibE_EEviT1_.numbered_sgpr, 60
	.set _ZN2at6native32elementwise_kernel_manual_unrollILi128ELi4EZNS0_22gpu_kernel_impl_nocastIZZZNS0_12_GLOBAL__N_121bessel_j0_kernel_cudaERNS_18TensorIteratorBaseEENKUlvE_clEvENKUlvE0_clEvEUlfE_EEvS5_RKT_EUlibE_EEviT1_.num_named_barrier, 0
	.set _ZN2at6native32elementwise_kernel_manual_unrollILi128ELi4EZNS0_22gpu_kernel_impl_nocastIZZZNS0_12_GLOBAL__N_121bessel_j0_kernel_cudaERNS_18TensorIteratorBaseEENKUlvE_clEvENKUlvE0_clEvEUlfE_EEvS5_RKT_EUlibE_EEviT1_.private_seg_size, 0
	.set _ZN2at6native32elementwise_kernel_manual_unrollILi128ELi4EZNS0_22gpu_kernel_impl_nocastIZZZNS0_12_GLOBAL__N_121bessel_j0_kernel_cudaERNS_18TensorIteratorBaseEENKUlvE_clEvENKUlvE0_clEvEUlfE_EEvS5_RKT_EUlibE_EEviT1_.uses_vcc, 1
	.set _ZN2at6native32elementwise_kernel_manual_unrollILi128ELi4EZNS0_22gpu_kernel_impl_nocastIZZZNS0_12_GLOBAL__N_121bessel_j0_kernel_cudaERNS_18TensorIteratorBaseEENKUlvE_clEvENKUlvE0_clEvEUlfE_EEvS5_RKT_EUlibE_EEviT1_.uses_flat_scratch, 0
	.set _ZN2at6native32elementwise_kernel_manual_unrollILi128ELi4EZNS0_22gpu_kernel_impl_nocastIZZZNS0_12_GLOBAL__N_121bessel_j0_kernel_cudaERNS_18TensorIteratorBaseEENKUlvE_clEvENKUlvE0_clEvEUlfE_EEvS5_RKT_EUlibE_EEviT1_.has_dyn_sized_stack, 0
	.set _ZN2at6native32elementwise_kernel_manual_unrollILi128ELi4EZNS0_22gpu_kernel_impl_nocastIZZZNS0_12_GLOBAL__N_121bessel_j0_kernel_cudaERNS_18TensorIteratorBaseEENKUlvE_clEvENKUlvE0_clEvEUlfE_EEvS5_RKT_EUlibE_EEviT1_.has_recursion, 0
	.set _ZN2at6native32elementwise_kernel_manual_unrollILi128ELi4EZNS0_22gpu_kernel_impl_nocastIZZZNS0_12_GLOBAL__N_121bessel_j0_kernel_cudaERNS_18TensorIteratorBaseEENKUlvE_clEvENKUlvE0_clEvEUlfE_EEvS5_RKT_EUlibE_EEviT1_.has_indirect_call, 0
	.section	.AMDGPU.csdata,"",@progbits
; Kernel info:
; codeLenInByte = 28544
; TotalNumSgprs: 64
; NumVgprs: 41
; ScratchSize: 0
; MemoryBound: 0
; FloatMode: 240
; IeeeMode: 1
; LDSByteSize: 0 bytes/workgroup (compile time only)
; SGPRBlocks: 7
; VGPRBlocks: 10
; NumSGPRsForWavesPerEU: 64
; NumVGPRsForWavesPerEU: 41
; Occupancy: 5
; WaveLimiterHint : 1
; COMPUTE_PGM_RSRC2:SCRATCH_EN: 0
; COMPUTE_PGM_RSRC2:USER_SGPR: 6
; COMPUTE_PGM_RSRC2:TRAP_HANDLER: 0
; COMPUTE_PGM_RSRC2:TGID_X_EN: 1
; COMPUTE_PGM_RSRC2:TGID_Y_EN: 0
; COMPUTE_PGM_RSRC2:TGID_Z_EN: 0
; COMPUTE_PGM_RSRC2:TIDIG_COMP_CNT: 0
	.section	.text._ZN2at6native32elementwise_kernel_manual_unrollILi128ELi4EZNS0_15gpu_kernel_implIZZZNS0_12_GLOBAL__N_121bessel_j0_kernel_cudaERNS_18TensorIteratorBaseEENKUlvE_clEvENKUlvE0_clEvEUlfE_EEvS5_RKT_EUlibE_EEviT1_,"axG",@progbits,_ZN2at6native32elementwise_kernel_manual_unrollILi128ELi4EZNS0_15gpu_kernel_implIZZZNS0_12_GLOBAL__N_121bessel_j0_kernel_cudaERNS_18TensorIteratorBaseEENKUlvE_clEvENKUlvE0_clEvEUlfE_EEvS5_RKT_EUlibE_EEviT1_,comdat
	.globl	_ZN2at6native32elementwise_kernel_manual_unrollILi128ELi4EZNS0_15gpu_kernel_implIZZZNS0_12_GLOBAL__N_121bessel_j0_kernel_cudaERNS_18TensorIteratorBaseEENKUlvE_clEvENKUlvE0_clEvEUlfE_EEvS5_RKT_EUlibE_EEviT1_ ; -- Begin function _ZN2at6native32elementwise_kernel_manual_unrollILi128ELi4EZNS0_15gpu_kernel_implIZZZNS0_12_GLOBAL__N_121bessel_j0_kernel_cudaERNS_18TensorIteratorBaseEENKUlvE_clEvENKUlvE0_clEvEUlfE_EEvS5_RKT_EUlibE_EEviT1_
	.p2align	8
	.type	_ZN2at6native32elementwise_kernel_manual_unrollILi128ELi4EZNS0_15gpu_kernel_implIZZZNS0_12_GLOBAL__N_121bessel_j0_kernel_cudaERNS_18TensorIteratorBaseEENKUlvE_clEvENKUlvE0_clEvEUlfE_EEvS5_RKT_EUlibE_EEviT1_,@function
_ZN2at6native32elementwise_kernel_manual_unrollILi128ELi4EZNS0_15gpu_kernel_implIZZZNS0_12_GLOBAL__N_121bessel_j0_kernel_cudaERNS_18TensorIteratorBaseEENKUlvE_clEvENKUlvE0_clEvEUlfE_EEvS5_RKT_EUlibE_EEviT1_: ; @_ZN2at6native32elementwise_kernel_manual_unrollILi128ELi4EZNS0_15gpu_kernel_implIZZZNS0_12_GLOBAL__N_121bessel_j0_kernel_cudaERNS_18TensorIteratorBaseEENKUlvE_clEvENKUlvE0_clEvEUlfE_EEvS5_RKT_EUlibE_EEviT1_
; %bb.0:
	v_mov_b32_e32 v1, 0
	global_load_ushort v1, v1, s[4:5] offset:33
	s_load_dwordx4 s[8:11], s[4:5], 0x8
	s_load_dwordx2 s[12:13], s[4:5], 0x18
	s_load_dword s40, s[4:5], 0x0
	v_lshl_or_b32 v7, s6, 9, v0
	v_or_b32_e32 v5, 0x180, v7
	s_mov_b64 s[14:15], 0
	s_mov_b64 s[16:17], 0
	s_waitcnt lgkmcnt(0)
	v_cmp_le_i32_e32 vcc, s40, v5
	s_waitcnt vmcnt(0)
	v_readfirstlane_b32 s33, v1
	s_and_b32 s0, 0xffff, s33
	s_lshr_b32 s42, s0, 8
	s_and_saveexec_b64 s[0:1], vcc
	s_xor_b64 s[6:7], exec, s[0:1]
	s_cbranch_execz .LBB20_1090
; %bb.1:
	v_cmp_gt_i32_e32 vcc, s40, v7
	s_mov_b64 s[2:3], -1
	s_mov_b64 s[24:25], 0
	s_mov_b64 s[18:19], 0
	s_and_saveexec_b64 s[20:21], vcc
	s_cbranch_execz .LBB20_267
; %bb.2:
	v_mul_lo_u32 v0, v7, s13
	v_mov_b32_e32 v1, s11
	s_and_b32 s16, 0xffff, s42
	s_cmp_lt_i32 s16, 11
	v_ashrrev_i32_e32 v2, 31, v0
	v_add_co_u32_e32 v0, vcc, s10, v0
	v_addc_co_u32_e32 v1, vcc, v1, v2, vcc
	s_cbranch_scc1 .LBB20_9
; %bb.3:
	s_cmp_gt_i32 s16, 25
	s_cbranch_scc0 .LBB20_20
; %bb.4:
	s_cmp_gt_i32 s16, 28
	s_cbranch_scc0 .LBB20_38
	;; [unrolled: 3-line block ×4, first 2 shown]
; %bb.7:
	s_cmp_eq_u32 s16, 46
	s_mov_b64 s[2:3], 0
	s_cbranch_scc0 .LBB20_43
; %bb.8:
	global_load_dword v2, v[0:1], off
	s_mov_b64 s[0:1], -1
	s_waitcnt vmcnt(0)
	v_lshlrev_b32_e32 v2, 16, v2
	s_branch .LBB20_45
.LBB20_9:
                                        ; implicit-def: $vgpr2
	s_mov_b64 s[0:1], 0
	s_and_b64 vcc, exec, s[2:3]
	s_cbranch_vccnz .LBB20_218
.LBB20_10:
	s_andn2_b64 vcc, exec, s[0:1]
	s_cbranch_vccnz .LBB20_265
.LBB20_11:
	s_waitcnt vmcnt(0)
	v_cmp_gt_f32_e32 vcc, 0, v2
	v_cndmask_b32_e64 v1, v2, -v2, vcc
	s_mov_b32 s0, 0x40a00000
	v_cmp_ge_f32_e32 vcc, s0, v1
	v_mul_f32_e32 v3, v1, v1
                                        ; implicit-def: $vgpr0
	s_and_saveexec_b64 s[0:1], vcc
	s_xor_b64 s[0:1], exec, s[0:1]
	s_cbranch_execz .LBB20_17
; %bb.12:
	s_mov_b32 s2, 0x3727c5ac
	v_cmp_ngt_f32_e32 vcc, s2, v1
                                        ; implicit-def: $vgpr0
	s_and_saveexec_b64 s[2:3], vcc
	s_xor_b64 s[2:3], exec, s[2:3]
	s_cbranch_execz .LBB20_14
; %bb.13:
	v_mov_b32_e32 v0, 0xcf8ee29d
	v_fmac_f32_e32 v0, 0, v3
	v_mov_b32_e32 v1, 0x53e3ba8e
	v_fmac_f32_e32 v1, v3, v0
	;; [unrolled: 2-line block ×12, first 2 shown]
	v_add_f32_e32 v0, 0xc0b90fdc, v3
	v_add_f32_e32 v3, 0xc1f3c525, v3
	v_mul_f32_e32 v0, v0, v3
	v_mul_f32_e32 v0, v0, v1
	v_div_scale_f32 v1, s[4:5], v2, v2, v0
	v_div_scale_f32 v3, vcc, v0, v2, v0
	v_rcp_f32_e32 v4, v1
	v_fma_f32 v5, -v1, v4, 1.0
	v_fmac_f32_e32 v4, v5, v4
	v_mul_f32_e32 v5, v3, v4
	v_fma_f32 v6, -v1, v5, v3
	v_fmac_f32_e32 v5, v6, v4
	v_fma_f32 v1, -v1, v5, v3
	v_div_fmas_f32 v1, v1, v4, v5
                                        ; implicit-def: $vgpr3
	v_div_fixup_f32 v0, v1, v2, v0
.LBB20_14:
	s_andn2_saveexec_b64 s[2:3], s[2:3]
; %bb.15:
	s_mov_b32 s4, 0xbe800000
	v_fma_f32 v0, v3, s4, 1.0
; %bb.16:
	s_or_b64 exec, exec, s[2:3]
                                        ; implicit-def: $vgpr3
                                        ; implicit-def: $vgpr1
.LBB20_17:
	s_andn2_saveexec_b64 s[16:17], s[0:1]
	s_cbranch_execz .LBB20_28
; %bb.18:
	v_add_f32_e32 v0, 0xbf490fdb, v1
	v_and_b32_e32 v2, 0x7fffffff, v0
	s_brev_b32 s0, 18
	v_cmp_nlt_f32_e64 s[22:23], |v0|, s0
	v_lshrrev_b32_e32 v9, 23, v2
                                        ; implicit-def: $vgpr4
                                        ; implicit-def: $vgpr5
	s_and_saveexec_b64 s[0:1], s[22:23]
	s_xor_b64 s[26:27], exec, s[0:1]
	s_cbranch_execz .LBB20_21
; %bb.19:
	v_and_b32_e32 v4, 0x7fffff, v2
	v_or_b32_e32 v8, 0x800000, v4
	s_mov_b32 s0, 0xfe5163ab
	v_mad_u64_u32 v[4:5], s[0:1], v8, s0, 0
	v_mov_b32_e32 v6, 0
	s_mov_b32 s0, 0x3c439041
	v_mad_u64_u32 v[10:11], s[0:1], v8, s0, v[5:6]
	s_mov_b32 s0, 0xdb629599
	v_add_u32_e32 v15, 0xffffff88, v9
	v_mov_b32_e32 v5, v11
	v_mad_u64_u32 v[11:12], s[0:1], v8, s0, v[5:6]
	s_mov_b32 s0, 0xf534ddc0
	v_not_b32_e32 v16, 63
	v_mov_b32_e32 v5, v12
	v_mad_u64_u32 v[12:13], s[0:1], v8, s0, v[5:6]
	s_mov_b32 s0, 0xfc2757d1
	v_cmp_lt_u32_e32 vcc, 63, v15
	v_mov_b32_e32 v5, v13
	v_mad_u64_u32 v[13:14], s[0:1], v8, s0, v[5:6]
	v_cndmask_b32_e32 v5, 0, v16, vcc
	v_add_u32_e32 v16, v5, v15
	v_mov_b32_e32 v5, v14
	s_mov_b32 s0, 0x4e441529
	v_mad_u64_u32 v[14:15], s[0:1], v8, s0, v[5:6]
	v_not_b32_e32 v17, 31
	v_cmp_lt_u32_e64 s[0:1], 31, v16
	v_cndmask_b32_e64 v5, 0, v17, s[0:1]
	v_add_u32_e32 v16, v5, v16
	v_mov_b32_e32 v5, v15
	s_mov_b32 s2, 0xa2f9836e
	v_mad_u64_u32 v[5:6], s[2:3], v8, s2, v[5:6]
	v_cmp_lt_u32_e64 s[2:3], 31, v16
	v_cndmask_b32_e64 v8, 0, v17, s[2:3]
	v_cndmask_b32_e32 v15, v14, v12, vcc
	v_cndmask_b32_e32 v5, v5, v13, vcc
	;; [unrolled: 1-line block ×3, first 2 shown]
	v_add_u32_e32 v8, v8, v16
	v_cndmask_b32_e64 v16, v5, v15, s[0:1]
	v_cndmask_b32_e64 v5, v6, v5, s[0:1]
	v_cndmask_b32_e32 v6, v13, v11, vcc
	v_cndmask_b32_e64 v13, v15, v6, s[0:1]
	v_cndmask_b32_e64 v5, v5, v16, s[2:3]
	;; [unrolled: 1-line block ×3, first 2 shown]
	v_sub_u32_e32 v15, 32, v8
	v_alignbit_b32 v16, v5, v14, v15
	v_cmp_eq_u32_e64 s[4:5], 0, v8
	v_cndmask_b32_e64 v8, v16, v5, s[4:5]
	v_cndmask_b32_e32 v5, v12, v10, vcc
	v_cndmask_b32_e64 v6, v6, v5, s[0:1]
	v_cndmask_b32_e64 v10, v13, v6, s[2:3]
	v_alignbit_b32 v12, v14, v10, v15
	v_cndmask_b32_e32 v4, v11, v4, vcc
	v_cndmask_b32_e64 v12, v12, v14, s[4:5]
	v_bfe_u32 v16, v8, 29, 1
	v_cndmask_b32_e64 v4, v5, v4, s[0:1]
	v_alignbit_b32 v13, v8, v12, 30
	v_sub_u32_e32 v17, 0, v16
	v_cndmask_b32_e64 v4, v6, v4, s[2:3]
	v_xor_b32_e32 v13, v13, v17
	v_alignbit_b32 v5, v10, v4, v15
	v_cndmask_b32_e64 v5, v5, v10, s[4:5]
	v_ffbh_u32_e32 v10, v13
	v_alignbit_b32 v6, v12, v5, 30
	v_min_u32_e32 v10, 32, v10
	v_alignbit_b32 v4, v5, v4, 30
	v_xor_b32_e32 v6, v6, v17
	v_sub_u32_e32 v11, 31, v10
	v_xor_b32_e32 v4, v4, v17
	v_alignbit_b32 v12, v13, v6, v11
	v_alignbit_b32 v4, v6, v4, v11
	v_alignbit_b32 v5, v12, v4, 9
	v_ffbh_u32_e32 v6, v5
	v_min_u32_e32 v6, 32, v6
	v_lshrrev_b32_e32 v14, 29, v8
	v_not_b32_e32 v11, v6
	v_alignbit_b32 v4, v5, v4, v11
	v_lshlrev_b32_e32 v5, 31, v14
	v_or_b32_e32 v11, 0x33000000, v5
	v_add_lshl_u32 v6, v6, v10, 23
	v_lshrrev_b32_e32 v4, 9, v4
	v_sub_u32_e32 v6, v11, v6
	v_or_b32_e32 v5, 0.5, v5
	v_lshlrev_b32_e32 v10, 23, v10
	v_or_b32_e32 v4, v6, v4
	v_lshrrev_b32_e32 v6, 9, v12
	v_sub_u32_e32 v5, v5, v10
	v_or_b32_e32 v5, v6, v5
	s_mov_b32 s0, 0x3fc90fda
	v_mul_f32_e32 v6, 0x3fc90fda, v5
	v_fma_f32 v10, v5, s0, -v6
	v_fmac_f32_e32 v10, 0x33a22168, v5
	v_fmac_f32_e32 v10, 0x3fc90fda, v4
	v_lshrrev_b32_e32 v4, 30, v8
	v_add_f32_e32 v5, v6, v10
	v_add_u32_e32 v4, v16, v4
	s_andn2_saveexec_b64 s[0:1], s[26:27]
	s_cbranch_execz .LBB20_23
	s_branch .LBB20_22
.LBB20_20:
	s_mov_b64 s[0:1], 0
                                        ; implicit-def: $vgpr2
	s_and_b64 vcc, exec, s[2:3]
	s_cbranch_vccnz .LBB20_183
	s_branch .LBB20_217
.LBB20_21:
	s_andn2_saveexec_b64 s[0:1], s[26:27]
	s_cbranch_execz .LBB20_23
.LBB20_22:
	s_mov_b32 s2, 0x3f22f983
	v_mul_f32_e64 v4, |v0|, s2
	v_rndne_f32_e32 v6, v4
	s_mov_b32 s2, 0xbfc90fda
	v_cvt_i32_f32_e32 v4, v6
	v_fma_f32 v5, v6, s2, |v0|
	v_fmac_f32_e32 v5, 0xb3a22168, v6
	v_fmac_f32_e32 v5, 0xa7c234c4, v6
.LBB20_23:
	s_or_b64 exec, exec, s[0:1]
                                        ; implicit-def: $vgpr6
                                        ; implicit-def: $vgpr8
	s_and_saveexec_b64 s[0:1], s[22:23]
	s_xor_b64 s[22:23], exec, s[0:1]
	s_cbranch_execz .LBB20_25
; %bb.24:
	v_and_b32_e32 v6, 0x7fffff, v2
	v_or_b32_e32 v6, 0x800000, v6
	s_mov_b32 s0, 0xfe5163ab
	v_mad_u64_u32 v[10:11], s[0:1], v6, s0, 0
	v_mov_b32_e32 v12, 0
	s_mov_b32 s0, 0x3c439041
	v_mad_u64_u32 v[13:14], s[0:1], v6, s0, v[11:12]
	s_mov_b32 s0, 0xdb629599
	v_add_u32_e32 v17, 0xffffff88, v9
	v_mov_b32_e32 v11, v14
	v_mad_u64_u32 v[14:15], s[0:1], v6, s0, v[11:12]
	s_mov_b32 s0, 0xf534ddc0
	v_not_b32_e32 v18, 63
	v_mov_b32_e32 v11, v15
	v_mad_u64_u32 v[15:16], s[0:1], v6, s0, v[11:12]
	s_mov_b32 s0, 0xfc2757d1
	v_cmp_lt_u32_e32 vcc, 63, v17
	v_mov_b32_e32 v11, v16
	v_mad_u64_u32 v[8:9], s[0:1], v6, s0, v[11:12]
	v_cndmask_b32_e32 v11, 0, v18, vcc
	v_add_u32_e32 v18, v11, v17
	v_mov_b32_e32 v11, v9
	s_mov_b32 s0, 0x4e441529
	v_mad_u64_u32 v[16:17], s[0:1], v6, s0, v[11:12]
	v_not_b32_e32 v19, 31
	v_cmp_lt_u32_e64 s[0:1], 31, v18
	v_mov_b32_e32 v11, v17
	s_mov_b32 s2, 0xa2f9836e
	v_cndmask_b32_e64 v9, 0, v19, s[0:1]
	v_mad_u64_u32 v[11:12], s[2:3], v6, s2, v[11:12]
	v_add_u32_e32 v9, v9, v18
	v_cmp_lt_u32_e64 s[2:3], 31, v9
	v_cndmask_b32_e64 v6, 0, v19, s[2:3]
	v_add_u32_e32 v6, v6, v9
	v_cndmask_b32_e32 v9, v16, v15, vcc
	v_cndmask_b32_e32 v11, v11, v8, vcc
	;; [unrolled: 1-line block ×4, first 2 shown]
	v_cndmask_b32_e64 v17, v11, v9, s[0:1]
	v_cndmask_b32_e64 v11, v12, v11, s[0:1]
	;; [unrolled: 1-line block ×5, first 2 shown]
	v_sub_u32_e32 v16, 32, v6
	v_alignbit_b32 v17, v11, v12, v16
	v_cmp_eq_u32_e64 s[4:5], 0, v6
	v_cndmask_b32_e64 v6, v17, v11, s[4:5]
	v_cndmask_b32_e32 v11, v15, v13, vcc
	v_cndmask_b32_e64 v8, v8, v11, s[0:1]
	v_cndmask_b32_e64 v9, v9, v8, s[2:3]
	v_alignbit_b32 v13, v12, v9, v16
	v_cndmask_b32_e32 v10, v14, v10, vcc
	v_cndmask_b32_e64 v12, v13, v12, s[4:5]
	v_bfe_u32 v17, v6, 29, 1
	v_cndmask_b32_e64 v10, v11, v10, s[0:1]
	v_alignbit_b32 v13, v6, v12, 30
	v_sub_u32_e32 v18, 0, v17
	v_cndmask_b32_e64 v8, v8, v10, s[2:3]
	v_xor_b32_e32 v13, v13, v18
	v_alignbit_b32 v10, v9, v8, v16
	v_cndmask_b32_e64 v9, v10, v9, s[4:5]
	v_ffbh_u32_e32 v11, v13
	v_alignbit_b32 v10, v12, v9, 30
	v_min_u32_e32 v11, 32, v11
	v_alignbit_b32 v8, v9, v8, 30
	v_xor_b32_e32 v10, v10, v18
	v_sub_u32_e32 v12, 31, v11
	v_xor_b32_e32 v8, v8, v18
	v_alignbit_b32 v13, v13, v10, v12
	v_alignbit_b32 v8, v10, v8, v12
	v_alignbit_b32 v9, v13, v8, 9
	v_ffbh_u32_e32 v10, v9
	v_min_u32_e32 v10, 32, v10
	v_lshrrev_b32_e32 v15, 29, v6
	v_not_b32_e32 v12, v10
	v_alignbit_b32 v8, v9, v8, v12
	v_lshlrev_b32_e32 v9, 31, v15
	v_or_b32_e32 v12, 0x33000000, v9
	v_add_lshl_u32 v10, v10, v11, 23
	v_lshrrev_b32_e32 v8, 9, v8
	v_sub_u32_e32 v10, v12, v10
	v_or_b32_e32 v9, 0.5, v9
	v_lshlrev_b32_e32 v11, 23, v11
	v_or_b32_e32 v8, v10, v8
	v_lshrrev_b32_e32 v10, 9, v13
	v_sub_u32_e32 v9, v9, v11
	v_or_b32_e32 v9, v10, v9
	s_mov_b32 s0, 0x3fc90fda
	v_mul_f32_e32 v10, 0x3fc90fda, v9
	v_fma_f32 v11, v9, s0, -v10
	v_fmac_f32_e32 v11, 0x33a22168, v9
	v_fmac_f32_e32 v11, 0x3fc90fda, v8
	v_lshrrev_b32_e32 v6, 30, v6
	v_add_f32_e32 v8, v10, v11
	v_add_u32_e32 v6, v17, v6
	s_andn2_saveexec_b64 s[0:1], s[22:23]
	s_cbranch_execnz .LBB20_26
	s_branch .LBB20_27
.LBB20_25:
	s_andn2_saveexec_b64 s[0:1], s[22:23]
	s_cbranch_execz .LBB20_27
.LBB20_26:
	s_mov_b32 s2, 0x3f22f983
	v_mul_f32_e64 v6, |v0|, s2
	v_rndne_f32_e32 v9, v6
	s_mov_b32 s2, 0xbfc90fda
	v_cvt_i32_f32_e32 v6, v9
	v_fma_f32 v8, v9, s2, |v0|
	v_fmac_f32_e32 v8, 0xb3a22168, v9
	v_fmac_f32_e32 v8, 0xa7c234c4, v9
.LBB20_27:
	s_or_b64 exec, exec, s[0:1]
	s_mov_b32 s2, 0x41c80000
	v_div_scale_f32 v10, s[0:1], v3, v3, s2
	v_div_scale_f32 v11, vcc, s2, v3, s2
	v_mov_b32_e32 v9, 0x3a50e985
	v_mov_b32_e32 v18, 0x3a725406
	;; [unrolled: 1-line block ×10, first 2 shown]
	s_mov_b32 s4, 0xc0a00000
	v_mov_b32_e32 v24, 0xc19c6e80
	v_rcp_f32_e32 v12, v10
	v_mov_b32_e32 v25, 0xc2ba697b
	v_mov_b32_e32 v26, 0x4500e17e
	;; [unrolled: 1-line block ×3, first 2 shown]
	v_fma_f32 v13, -v10, v12, 1.0
	v_fmac_f32_e32 v12, v13, v12
	v_mul_f32_e32 v13, v11, v12
	v_fma_f32 v14, -v10, v13, v11
	v_fmac_f32_e32 v13, v14, v12
	v_fma_f32 v10, -v10, v13, v11
	v_div_fmas_f32 v14, v10, v12, v13
	v_mov_b32_e32 v11, 0x3da9a586
	v_mov_b32_e32 v13, 0x3f9ea90a
	;; [unrolled: 1-line block ×5, first 2 shown]
	v_div_fixup_f32 v3, v14, v3, s2
	v_fmac_f32_e32 v9, 0, v3
	v_fmac_f32_e32 v18, 0, v3
	;; [unrolled: 1-line block ×12, first 2 shown]
	v_fma_f32 v9, v3, v23, 1.0
	v_fma_f32 v11, v3, v17, 1.0
	v_div_scale_f32 v13, s[0:1], v9, v9, v11
	v_div_scale_f32 v18, vcc, v11, v9, v11
	v_div_scale_f32 v19, s[0:1], v1, v1, s4
	v_mov_b32_e32 v15, 0x4280a2ba
	v_fmac_f32_e32 v12, 0, v3
	v_mov_b32_e32 v16, 0x44561b86
	v_fmac_f32_e32 v15, 0, v3
	v_fmac_f32_e32 v10, v3, v12
	v_mov_b32_e32 v20, 0x4572a66e
	v_fmac_f32_e32 v16, v3, v15
	v_fmac_f32_e32 v24, v3, v10
	v_mov_b32_e32 v14, 0xc331ae61
	v_mov_b32_e32 v21, 0x45e243be
	v_rcp_f32_e32 v28, v13
	v_fmac_f32_e32 v20, v3, v16
	v_fmac_f32_e32 v25, v3, v24
	v_mov_b32_e32 v17, 0xc31313d7
	v_fma_f32 v31, -v13, v28, 1.0
	v_fmac_f32_e32 v28, v31, v28
	v_mul_f32_e32 v31, v18, v28
	v_fma_f32 v32, -v13, v31, v18
	v_fmac_f32_e32 v31, v32, v28
	v_fma_f32 v13, -v13, v31, v18
	v_div_fmas_f32 v13, v13, v28, v31
	v_mov_b32_e32 v23, 0x45b955d1
	v_fmac_f32_e32 v21, v3, v20
	v_fmac_f32_e32 v14, v3, v25
	v_mov_b32_e32 v22, 0xc24da463
	v_div_scale_f32 v30, s[0:1], s4, v1, s4
	v_fmac_f32_e32 v23, v3, v21
	v_fmac_f32_e32 v17, v3, v14
	;; [unrolled: 1-line block ×6, first 2 shown]
	v_div_scale_f32 v3, s[2:3], v29, v29, v27
	v_div_scale_f32 v10, s[2:3], v27, v29, v27
	v_rcp_f32_e32 v32, v19
	v_div_fixup_f32 v9, v13, v9, v11
	v_mov_b32_e32 v14, 0x3c0881c4
	s_mov_b64 vcc, s[0:1]
	v_fma_f32 v11, -v19, v32, 1.0
	v_fmac_f32_e32 v32, v11, v32
	v_mul_f32_e32 v11, v30, v32
	v_fma_f32 v12, -v19, v11, v30
	v_fmac_f32_e32 v11, v12, v32
	v_mul_f32_e32 v12, v5, v5
	v_fma_f32 v13, -v19, v11, v30
	v_fmac_f32_e32 v14, 0xb94c1982, v12
	v_rcp_f32_e32 v15, v3
	v_div_fmas_f32 v11, v13, v32, v11
	v_mov_b32_e32 v13, 0xbe2aaa9d
	v_fma_f32 v14, v12, v14, v13
	v_mul_f32_e32 v14, v12, v14
	v_fmac_f32_e32 v5, v5, v14
	v_fma_f32 v14, -v3, v15, 1.0
	v_fmac_f32_e32 v15, v14, v15
	v_mul_f32_e32 v14, v10, v15
	v_fma_f32 v16, -v3, v14, v10
	v_fmac_f32_e32 v14, v16, v15
	v_fma_f32 v3, -v3, v14, v10
	s_mov_b64 vcc, s[2:3]
	v_div_fmas_f32 v3, v3, v15, v14
	v_mov_b32_e32 v10, 0xbab64f3b
	v_fmac_f32_e32 v10, 0x37d75334, v12
	v_mov_b32_e32 v14, 0x3d2aabf7
	v_fma_f32 v10, v12, v10, v14
	v_mov_b32_e32 v15, 0xbf000004
	v_fma_f32 v10, v12, v10, v15
	v_fma_f32 v10, v12, v10, 1.0
	v_and_b32_e32 v12, 1, v4
	v_cmp_eq_u32_e32 vcc, 0, v12
	v_div_fixup_f32 v11, v11, v1, s4
	v_cndmask_b32_e64 v5, -v5, v10, vcc
	v_mov_b32_e32 v10, 0xbab64f3b
	v_mov_b32_e32 v16, 0x3c0881c4
	s_movk_i32 s0, 0x1f8
	v_lshlrev_b32_e32 v4, 30, v4
	v_div_fixup_f32 v3, v3, v29, v27
	v_mul_f32_e32 v3, v11, v3
	v_mul_f32_e32 v11, v8, v8
	v_fmac_f32_e32 v10, 0x37d75334, v11
	v_fmac_f32_e32 v16, 0xb94c1982, v11
	;; [unrolled: 1-line block ×5, first 2 shown]
	v_mul_f32_e32 v12, v11, v13
	v_fma_f32 v10, v11, v15, 1.0
	v_and_b32_e32 v11, 1, v6
	v_lshlrev_b32_e32 v6, 30, v6
	v_cmp_class_f32_e64 vcc, v0, s0
	v_fmac_f32_e32 v8, v8, v12
	v_cmp_eq_u32_e64 s[0:1], 0, v11
	v_and_b32_e32 v6, 0x80000000, v6
	v_xor_b32_e32 v0, v2, v0
	v_and_b32_e32 v4, 0x80000000, v4
	v_cndmask_b32_e64 v8, v10, v8, s[0:1]
	v_xor_b32_e32 v0, v0, v6
	v_xor_b32_e32 v4, v4, v5
	v_mov_b32_e32 v5, 0x7fc00000
	v_xor_b32_e32 v0, v0, v8
	s_mov_b32 s0, 0xf800000
	v_cndmask_b32_e32 v4, v5, v4, vcc
	v_cndmask_b32_e32 v0, v5, v0, vcc
	v_mul_f32_e32 v2, 0x4f800000, v1
	v_cmp_gt_f32_e32 vcc, s0, v1
	v_cndmask_b32_e32 v1, v1, v2, vcc
	v_sqrt_f32_e32 v2, v1
	v_mul_f32_e32 v0, v3, v0
	v_fmac_f32_e32 v0, v9, v4
	v_mul_f32_e32 v0, 0x3f4c422a, v0
	v_add_u32_e32 v3, -1, v2
	v_fma_f32 v4, -v3, v2, v1
	v_cmp_ge_f32_e64 s[0:1], 0, v4
	v_add_u32_e32 v4, 1, v2
	v_cndmask_b32_e64 v3, v2, v3, s[0:1]
	v_fma_f32 v2, -v4, v2, v1
	v_cmp_lt_f32_e64 s[0:1], 0, v2
	v_cndmask_b32_e64 v2, v3, v4, s[0:1]
	v_mul_f32_e32 v3, 0x37800000, v2
	v_cndmask_b32_e32 v2, v2, v3, vcc
	v_mov_b32_e32 v3, 0x260
	v_cmp_class_f32_e32 vcc, v1, v3
	v_cndmask_b32_e32 v1, v2, v1, vcc
	v_div_scale_f32 v2, s[0:1], v1, v1, v0
	v_div_scale_f32 v3, vcc, v0, v1, v0
	v_rcp_f32_e32 v4, v2
	v_fma_f32 v5, -v2, v4, 1.0
	v_fmac_f32_e32 v4, v5, v4
	v_mul_f32_e32 v5, v3, v4
	v_fma_f32 v6, -v2, v5, v3
	v_fmac_f32_e32 v5, v6, v4
	v_fma_f32 v2, -v2, v5, v3
	v_div_fmas_f32 v2, v2, v4, v5
	v_div_fixup_f32 v0, v2, v1, v0
.LBB20_28:
	s_or_b64 exec, exec, s[16:17]
	v_mul_lo_u32 v1, v7, s12
	v_mov_b32_e32 v3, s9
	s_and_b32 s22, s33, 0xff
	s_cmp_lt_i32 s22, 11
	v_ashrrev_i32_e32 v4, 31, v1
	v_add_co_u32_e32 v2, vcc, s8, v1
	v_addc_co_u32_e32 v3, vcc, v3, v4, vcc
	s_cbranch_scc1 .LBB20_35
; %bb.29:
	s_and_b32 s23, 0xffff, s22
	s_cmp_gt_i32 s23, 25
	s_cbranch_scc0 .LBB20_39
; %bb.30:
	s_cmp_gt_i32 s23, 28
	s_cbranch_scc0 .LBB20_41
; %bb.31:
	;; [unrolled: 3-line block ×4, first 2 shown]
	s_mov_b64 s[4:5], 0
	s_mov_b64 s[0:1], -1
	s_cmp_eq_u32 s23, 46
	s_mov_b64 s[2:3], 0
	s_cbranch_scc0 .LBB20_49
; %bb.34:
	v_bfe_u32 v1, v0, 16, 1
	s_movk_i32 s0, 0x7fff
	v_add3_u32 v1, v0, v1, s0
	v_cmp_o_f32_e32 vcc, v0, v0
	v_mov_b32_e32 v4, 0x7fc0
	v_cndmask_b32_sdwa v1, v4, v1, vcc dst_sel:DWORD dst_unused:UNUSED_PAD src0_sel:DWORD src1_sel:WORD_1
	global_store_dword v[2:3], v1, off
	s_mov_b64 s[2:3], -1
	s_mov_b64 s[0:1], 0
	s_branch .LBB20_49
.LBB20_35:
	s_mov_b64 s[0:1], 0
	s_mov_b64 s[2:3], 0
	s_cbranch_execnz .LBB20_118
.LBB20_36:
	s_andn2_b64 vcc, exec, s[2:3]
	s_cbranch_vccnz .LBB20_156
.LBB20_37:
	v_add_u32_e32 v7, 0x80, v7
	s_mov_b64 s[2:3], -1
	s_branch .LBB20_266
.LBB20_38:
	s_mov_b64 s[0:1], 0
                                        ; implicit-def: $vgpr2
	s_branch .LBB20_164
.LBB20_39:
	s_mov_b64 s[4:5], -1
	s_mov_b64 s[0:1], 0
	s_mov_b64 s[2:3], 0
	s_branch .LBB20_76
.LBB20_40:
	s_mov_b64 s[0:1], 0
                                        ; implicit-def: $vgpr2
	s_branch .LBB20_159
.LBB20_41:
	s_mov_b64 s[4:5], -1
	s_mov_b64 s[0:1], 0
	s_mov_b64 s[2:3], 0
	s_branch .LBB20_59
.LBB20_42:
	s_mov_b64 s[4:5], -1
	s_mov_b64 s[0:1], 0
	s_mov_b64 s[2:3], 0
	s_branch .LBB20_55
.LBB20_43:
	s_mov_b64 s[18:19], -1
.LBB20_44:
	s_mov_b64 s[0:1], 0
                                        ; implicit-def: $vgpr2
.LBB20_45:
	s_and_b64 vcc, exec, s[2:3]
	s_cbranch_vccz .LBB20_158
; %bb.46:
	s_cmp_eq_u32 s16, 44
	s_cbranch_scc0 .LBB20_157
; %bb.47:
	global_load_ubyte v2, v[0:1], off
	s_movk_i32 s2, 0xff
	v_mov_b32_e32 v3, 0x7f800001
	v_mov_b32_e32 v4, 0x400000
	s_mov_b64 s[0:1], -1
	s_mov_b64 s[18:19], 0
	s_waitcnt vmcnt(0)
	v_lshlrev_b32_e32 v5, 23, v2
	v_cmp_ne_u32_e32 vcc, s2, v2
	v_cndmask_b32_e32 v3, v3, v5, vcc
	v_cmp_ne_u32_e32 vcc, 0, v2
	v_cndmask_b32_e32 v2, v4, v3, vcc
	s_branch .LBB20_158
.LBB20_48:
	s_mov_b64 s[4:5], -1
	s_mov_b64 s[0:1], 0
	s_mov_b64 s[2:3], 0
.LBB20_49:
	s_and_b64 vcc, exec, s[4:5]
	s_cbranch_vccz .LBB20_54
; %bb.50:
	s_cmp_eq_u32 s23, 44
	s_mov_b64 s[0:1], -1
	s_cbranch_scc0 .LBB20_54
; %bb.51:
	v_bfe_u32 v1, v0, 23, 8
	s_movk_i32 s0, 0xff
	v_cmp_ne_u32_e32 vcc, s0, v1
	v_mov_b32_e32 v4, 0xff
	s_and_saveexec_b64 s[2:3], vcc
; %bb.52:
	s_mov_b32 s0, 0x3fffff
	v_and_b32_e32 v5, 0x400000, v0
	v_and_or_b32 v1, v0, s0, v1
	v_cmp_ne_u32_e32 vcc, 0, v5
	v_cmp_ne_u32_e64 s[0:1], 0, v1
	s_and_b64 s[0:1], vcc, s[0:1]
	v_lshrrev_b32_e32 v4, 23, v0
	v_cndmask_b32_e64 v1, 0, 1, s[0:1]
	v_add_u32_e32 v4, v4, v1
; %bb.53:
	s_or_b64 exec, exec, s[2:3]
	s_mov_b64 s[2:3], -1
	s_mov_b64 s[0:1], 0
	global_store_byte v[2:3], v4, off
.LBB20_54:
	s_mov_b64 s[4:5], 0
.LBB20_55:
	s_and_b64 vcc, exec, s[4:5]
	s_cbranch_vccz .LBB20_58
; %bb.56:
	s_cmp_eq_u32 s23, 29
	s_mov_b64 s[0:1], -1
	s_cbranch_scc0 .LBB20_58
; %bb.57:
	v_trunc_f32_e32 v1, v0
	v_mul_f32_e32 v4, 0x2f800000, v1
	v_floor_f32_e32 v4, v4
	v_fmac_f32_e32 v1, 0xcf800000, v4
	v_cvt_u32_f32_e32 v5, v4
	v_cvt_u32_f32_e32 v4, v1
	s_mov_b64 s[2:3], -1
	s_mov_b64 s[0:1], 0
	s_mov_b64 s[4:5], 0
	global_store_dwordx2 v[2:3], v[4:5], off
	s_branch .LBB20_59
.LBB20_58:
	s_mov_b64 s[4:5], 0
.LBB20_59:
	s_and_b64 vcc, exec, s[4:5]
	s_cbranch_vccz .LBB20_75
; %bb.60:
	s_cmp_lt_i32 s23, 27
	s_mov_b64 s[2:3], -1
	s_cbranch_scc1 .LBB20_66
; %bb.61:
	v_cvt_u32_f32_e32 v1, v0
	s_cmp_gt_i32 s23, 27
	s_cbranch_scc0 .LBB20_63
; %bb.62:
	s_mov_b64 s[2:3], 0
	global_store_dword v[2:3], v1, off
.LBB20_63:
	s_andn2_b64 vcc, exec, s[2:3]
	s_cbranch_vccnz .LBB20_65
; %bb.64:
	global_store_short v[2:3], v1, off
.LBB20_65:
	s_mov_b64 s[2:3], 0
.LBB20_66:
	s_andn2_b64 vcc, exec, s[2:3]
	s_cbranch_vccnz .LBB20_74
; %bb.67:
	v_and_b32_e32 v1, 0x7fffffff, v0
	s_mov_b32 s2, 0x43800000
	v_cmp_gt_u32_e32 vcc, s2, v1
	v_mov_b32_e32 v4, 0x80
	s_and_saveexec_b64 s[2:3], vcc
	s_cbranch_execz .LBB20_73
; %bb.68:
	s_mov_b32 s4, 0x3bffffff
	v_cmp_lt_u32_e32 vcc, s4, v1
	s_mov_b64 s[4:5], 0
                                        ; implicit-def: $vgpr1
	s_and_saveexec_b64 s[16:17], vcc
	s_xor_b64 s[16:17], exec, s[16:17]
	s_cbranch_execz .LBB20_310
; %bb.69:
	v_bfe_u32 v1, v0, 20, 1
	s_mov_b32 s26, 0x487ffff
	v_add3_u32 v1, v0, v1, s26
	s_mov_b64 s[4:5], exec
	v_lshrrev_b32_e32 v1, 20, v1
	s_andn2_saveexec_b64 s[16:17], s[16:17]
	s_cbranch_execnz .LBB20_311
.LBB20_70:
	s_or_b64 exec, exec, s[16:17]
	v_mov_b32_e32 v4, 0
	s_and_saveexec_b64 s[16:17], s[4:5]
.LBB20_71:
	v_lshrrev_b32_e32 v4, 24, v0
	s_movk_i32 s4, 0x80
	v_and_or_b32 v4, v4, s4, v1
.LBB20_72:
	s_or_b64 exec, exec, s[16:17]
.LBB20_73:
	s_or_b64 exec, exec, s[2:3]
	global_store_byte v[2:3], v4, off
.LBB20_74:
	s_mov_b64 s[2:3], -1
.LBB20_75:
	s_mov_b64 s[4:5], 0
.LBB20_76:
	s_and_b64 vcc, exec, s[4:5]
	s_cbranch_vccz .LBB20_117
; %bb.77:
	s_cmp_gt_i32 s23, 22
	s_mov_b64 s[4:5], -1
	s_cbranch_scc0 .LBB20_109
; %bb.78:
	s_cmp_lt_i32 s23, 24
	s_mov_b64 s[2:3], -1
	s_cbranch_scc1 .LBB20_98
; %bb.79:
	s_cmp_gt_i32 s23, 24
	s_cbranch_scc0 .LBB20_87
; %bb.80:
	v_and_b32_e32 v1, 0x7fffffff, v0
	s_mov_b32 s2, 0x47800000
	v_cmp_gt_u32_e32 vcc, s2, v1
	v_mov_b32_e32 v4, 0x80
	s_and_saveexec_b64 s[2:3], vcc
	s_cbranch_execz .LBB20_86
; %bb.81:
	s_mov_b32 s4, 0x37ffffff
	v_cmp_lt_u32_e32 vcc, s4, v1
	s_mov_b64 s[4:5], 0
                                        ; implicit-def: $vgpr1
	s_and_saveexec_b64 s[16:17], vcc
	s_xor_b64 s[16:17], exec, s[16:17]
	s_cbranch_execz .LBB20_314
; %bb.82:
	v_bfe_u32 v1, v0, 21, 1
	s_mov_b32 s26, 0x88fffff
	v_add3_u32 v1, v0, v1, s26
	s_mov_b64 s[4:5], exec
	v_lshrrev_b32_e32 v1, 21, v1
	s_andn2_saveexec_b64 s[16:17], s[16:17]
	s_cbranch_execnz .LBB20_315
.LBB20_83:
	s_or_b64 exec, exec, s[16:17]
	v_mov_b32_e32 v4, 0
	s_and_saveexec_b64 s[16:17], s[4:5]
.LBB20_84:
	v_lshrrev_b32_e32 v4, 24, v0
	s_movk_i32 s4, 0x80
	v_and_or_b32 v4, v4, s4, v1
.LBB20_85:
	s_or_b64 exec, exec, s[16:17]
.LBB20_86:
	s_or_b64 exec, exec, s[2:3]
	s_mov_b64 s[2:3], 0
	global_store_byte v[2:3], v4, off
.LBB20_87:
	s_and_b64 vcc, exec, s[2:3]
	s_cbranch_vccz .LBB20_97
; %bb.88:
	v_and_b32_e32 v4, 0x7fffffff, v0
	s_mov_b32 s2, 0x43f00000
	v_cmp_gt_u32_e32 vcc, s2, v4
                                        ; implicit-def: $vgpr1
	s_and_saveexec_b64 s[2:3], vcc
	s_xor_b64 s[2:3], exec, s[2:3]
	s_cbranch_execz .LBB20_94
; %bb.89:
	s_mov_b32 s4, 0x3c7fffff
	v_cmp_lt_u32_e32 vcc, s4, v4
                                        ; implicit-def: $vgpr1
	s_and_saveexec_b64 s[4:5], vcc
	s_xor_b64 s[4:5], exec, s[4:5]
; %bb.90:
	v_bfe_u32 v1, v0, 20, 1
	s_mov_b32 s16, 0x407ffff
	v_add3_u32 v1, v0, v1, s16
	v_lshrrev_b32_e32 v4, 20, v1
	v_and_b32_e32 v1, 0xff00000, v1
	s_mov_b32 s16, 0x7f00000
	v_mov_b32_e32 v5, 0x7e
	v_cmp_ne_u32_e32 vcc, s16, v1
	v_cndmask_b32_e32 v1, v5, v4, vcc
; %bb.91:
	s_andn2_saveexec_b64 s[4:5], s[4:5]
; %bb.92:
	s_mov_b32 s16, 0x46800000
	v_add_f32_e64 v1, |v0|, s16
; %bb.93:
	s_or_b64 exec, exec, s[4:5]
                                        ; implicit-def: $vgpr4
.LBB20_94:
	s_andn2_saveexec_b64 s[2:3], s[2:3]
; %bb.95:
	s_mov_b32 s4, 0x7f800000
	v_mov_b32_e32 v1, 0x7e
	v_mov_b32_e32 v5, 0x7f
	v_cmp_lt_u32_e32 vcc, s4, v4
	v_cndmask_b32_e32 v1, v1, v5, vcc
; %bb.96:
	s_or_b64 exec, exec, s[2:3]
	v_lshrrev_b32_e32 v4, 24, v0
	s_movk_i32 s2, 0x80
	v_and_or_b32 v1, v4, s2, v1
	global_store_byte v[2:3], v1, off
.LBB20_97:
	s_mov_b64 s[2:3], 0
.LBB20_98:
	s_andn2_b64 vcc, exec, s[2:3]
	s_cbranch_vccnz .LBB20_108
; %bb.99:
	v_and_b32_e32 v4, 0x7fffffff, v0
	s_mov_b32 s2, 0x47800000
	v_cmp_gt_u32_e32 vcc, s2, v4
                                        ; implicit-def: $vgpr1
	s_and_saveexec_b64 s[2:3], vcc
	s_xor_b64 s[2:3], exec, s[2:3]
	s_cbranch_execz .LBB20_105
; %bb.100:
	s_mov_b32 s4, 0x387fffff
	v_cmp_lt_u32_e32 vcc, s4, v4
                                        ; implicit-def: $vgpr1
	s_and_saveexec_b64 s[4:5], vcc
	s_xor_b64 s[4:5], exec, s[4:5]
; %bb.101:
	v_bfe_u32 v1, v0, 21, 1
	s_mov_b32 s16, 0x80fffff
	v_add3_u32 v1, v0, v1, s16
	v_lshrrev_b32_e32 v1, 21, v1
; %bb.102:
	s_andn2_saveexec_b64 s[4:5], s[4:5]
; %bb.103:
	s_mov_b32 s16, 0x43000000
	v_add_f32_e64 v1, |v0|, s16
; %bb.104:
	s_or_b64 exec, exec, s[4:5]
                                        ; implicit-def: $vgpr4
.LBB20_105:
	s_andn2_saveexec_b64 s[2:3], s[2:3]
; %bb.106:
	s_mov_b32 s4, 0x7f800000
	v_mov_b32_e32 v1, 0x7c
	v_mov_b32_e32 v5, 0x7f
	v_cmp_lt_u32_e32 vcc, s4, v4
	v_cndmask_b32_e32 v1, v1, v5, vcc
; %bb.107:
	s_or_b64 exec, exec, s[2:3]
	v_lshrrev_b32_e32 v4, 24, v0
	s_movk_i32 s2, 0x80
	v_and_or_b32 v1, v4, s2, v1
	global_store_byte v[2:3], v1, off
.LBB20_108:
	s_mov_b64 s[4:5], 0
	s_mov_b64 s[2:3], -1
.LBB20_109:
	s_andn2_b64 vcc, exec, s[4:5]
	s_cbranch_vccnz .LBB20_117
; %bb.110:
	s_cmp_gt_i32 s23, 14
	s_mov_b64 s[4:5], -1
	s_cbranch_scc0 .LBB20_114
; %bb.111:
	s_cmp_eq_u32 s23, 15
	s_mov_b64 s[0:1], -1
	s_cbranch_scc0 .LBB20_113
; %bb.112:
	v_bfe_u32 v1, v0, 16, 1
	s_movk_i32 s0, 0x7fff
	v_add3_u32 v1, v0, v1, s0
	v_cmp_o_f32_e32 vcc, v0, v0
	v_mov_b32_e32 v4, 0x7fc0
	v_cndmask_b32_sdwa v1, v4, v1, vcc dst_sel:DWORD dst_unused:UNUSED_PAD src0_sel:DWORD src1_sel:WORD_1
	global_store_short v[2:3], v1, off
	s_mov_b64 s[2:3], -1
	s_mov_b64 s[0:1], 0
.LBB20_113:
	s_mov_b64 s[4:5], 0
.LBB20_114:
	s_and_b64 vcc, exec, s[4:5]
	s_cbranch_vccz .LBB20_117
; %bb.115:
	s_cmp_eq_u32 s23, 11
	s_mov_b64 s[0:1], -1
	s_cbranch_scc0 .LBB20_117
; %bb.116:
	v_cmp_neq_f32_e32 vcc, 0, v0
	v_cndmask_b32_e64 v1, 0, 1, vcc
	s_mov_b64 s[2:3], -1
	s_mov_b64 s[0:1], 0
	global_store_byte v[2:3], v1, off
.LBB20_117:
	s_branch .LBB20_36
.LBB20_118:
	s_and_b32 s4, 0xffff, s22
	s_cmp_lt_i32 s4, 5
	s_mov_b64 s[2:3], -1
	s_cbranch_scc1 .LBB20_139
; %bb.119:
	s_cmp_lt_i32 s4, 8
	s_cbranch_scc1 .LBB20_129
; %bb.120:
	s_cmp_lt_i32 s4, 9
	s_cbranch_scc1 .LBB20_126
; %bb.121:
	s_cmp_gt_i32 s4, 9
	s_cbranch_scc0 .LBB20_123
; %bb.122:
	v_cvt_f64_f32_e32 v[8:9], v0
	v_mov_b32_e32 v10, 0
	v_mov_b32_e32 v11, v10
	s_mov_b64 s[2:3], 0
	global_store_dwordx4 v[2:3], v[8:11], off
.LBB20_123:
	s_andn2_b64 vcc, exec, s[2:3]
	s_cbranch_vccnz .LBB20_125
; %bb.124:
	v_mov_b32_e32 v1, 0
	global_store_dwordx2 v[2:3], v[0:1], off
.LBB20_125:
	s_mov_b64 s[2:3], 0
.LBB20_126:
	s_andn2_b64 vcc, exec, s[2:3]
	s_cbranch_vccnz .LBB20_128
; %bb.127:
	v_cvt_f16_f32_e32 v1, v0
	global_store_dword v[2:3], v1, off
.LBB20_128:
	s_mov_b64 s[2:3], 0
.LBB20_129:
	s_andn2_b64 vcc, exec, s[2:3]
	s_cbranch_vccnz .LBB20_138
; %bb.130:
	s_cmp_lt_i32 s4, 6
	s_mov_b64 s[2:3], -1
	s_cbranch_scc1 .LBB20_136
; %bb.131:
	s_cmp_gt_i32 s4, 6
	s_cbranch_scc0 .LBB20_133
; %bb.132:
	v_cvt_f64_f32_e32 v[4:5], v0
	s_mov_b64 s[2:3], 0
	global_store_dwordx2 v[2:3], v[4:5], off
.LBB20_133:
	s_andn2_b64 vcc, exec, s[2:3]
	s_cbranch_vccnz .LBB20_135
; %bb.134:
	global_store_dword v[2:3], v0, off
.LBB20_135:
	s_mov_b64 s[2:3], 0
.LBB20_136:
	s_andn2_b64 vcc, exec, s[2:3]
	s_cbranch_vccnz .LBB20_138
; %bb.137:
	v_cvt_f16_f32_e32 v1, v0
	global_store_short v[2:3], v1, off
.LBB20_138:
	s_mov_b64 s[2:3], 0
.LBB20_139:
	s_andn2_b64 vcc, exec, s[2:3]
	s_cbranch_vccnz .LBB20_155
; %bb.140:
	s_cmp_lt_i32 s4, 2
	s_mov_b64 s[2:3], -1
	s_cbranch_scc1 .LBB20_150
; %bb.141:
	s_cmp_lt_i32 s4, 3
	s_cbranch_scc1 .LBB20_147
; %bb.142:
	s_cmp_gt_i32 s4, 3
	s_cbranch_scc0 .LBB20_144
; %bb.143:
	v_trunc_f32_e32 v1, v0
	s_mov_b32 s2, 0x2f800000
	v_mul_f32_e64 v4, |v1|, s2
	v_floor_f32_e32 v4, v4
	s_mov_b32 s2, 0xcf800000
	v_cvt_u32_f32_e32 v5, v4
	v_fma_f32 v4, v4, s2, |v1|
	v_cvt_u32_f32_e32 v4, v4
	v_ashrrev_i32_e32 v1, 31, v1
	v_xor_b32_e32 v5, v5, v1
	s_mov_b64 s[2:3], 0
	v_xor_b32_e32 v4, v4, v1
	v_sub_co_u32_e32 v4, vcc, v4, v1
	v_subb_co_u32_e32 v5, vcc, v5, v1, vcc
	global_store_dwordx2 v[2:3], v[4:5], off
.LBB20_144:
	s_andn2_b64 vcc, exec, s[2:3]
	s_cbranch_vccnz .LBB20_146
; %bb.145:
	v_cvt_i32_f32_e32 v1, v0
	global_store_dword v[2:3], v1, off
.LBB20_146:
	s_mov_b64 s[2:3], 0
.LBB20_147:
	s_andn2_b64 vcc, exec, s[2:3]
	s_cbranch_vccnz .LBB20_149
; %bb.148:
	v_cvt_i32_f32_e32 v1, v0
	global_store_short v[2:3], v1, off
.LBB20_149:
	s_mov_b64 s[2:3], 0
.LBB20_150:
	s_andn2_b64 vcc, exec, s[2:3]
	s_cbranch_vccnz .LBB20_155
; %bb.151:
	s_cmp_gt_i32 s4, 0
	s_mov_b64 s[2:3], -1
	s_cbranch_scc0 .LBB20_153
; %bb.152:
	v_cvt_i32_f32_e32 v1, v0
	s_mov_b64 s[2:3], 0
	global_store_byte v[2:3], v1, off
.LBB20_153:
	s_andn2_b64 vcc, exec, s[2:3]
	s_cbranch_vccnz .LBB20_155
; %bb.154:
	v_trunc_f32_e32 v0, v0
	s_mov_b32 s2, 0x2f800000
	v_mul_f32_e64 v1, |v0|, s2
	v_floor_f32_e32 v1, v1
	s_mov_b32 s2, 0xcf800000
	v_fma_f32 v1, v1, s2, |v0|
	v_cvt_u32_f32_e32 v1, v1
	v_ashrrev_i32_e32 v0, 31, v0
	v_xor_b32_e32 v1, v1, v0
	v_sub_u32_e32 v0, v1, v0
	global_store_byte v[2:3], v0, off
.LBB20_155:
	s_branch .LBB20_37
.LBB20_156:
	s_mov_b64 s[2:3], 0
                                        ; implicit-def: $vgpr7
	s_branch .LBB20_266
.LBB20_157:
	s_mov_b64 s[18:19], -1
                                        ; implicit-def: $vgpr2
.LBB20_158:
	s_mov_b64 s[2:3], 0
.LBB20_159:
	s_and_b64 vcc, exec, s[2:3]
	s_cbranch_vccz .LBB20_163
; %bb.160:
	s_cmp_eq_u32 s16, 29
	s_cbranch_scc0 .LBB20_162
; %bb.161:
	global_load_dwordx2 v[2:3], v[0:1], off
	s_mov_b64 s[0:1], -1
	s_mov_b64 s[18:19], 0
	s_mov_b64 s[2:3], 0
	s_waitcnt vmcnt(0)
	v_ffbh_u32_e32 v4, v3
	v_min_u32_e32 v4, 32, v4
	v_lshlrev_b64 v[2:3], v4, v[2:3]
	v_min_u32_e32 v2, 1, v2
	v_or_b32_e32 v2, v3, v2
	v_cvt_f32_u32_e32 v2, v2
	v_sub_u32_e32 v3, 32, v4
	v_ldexp_f32 v2, v2, v3
	s_branch .LBB20_164
.LBB20_162:
	s_mov_b64 s[18:19], -1
                                        ; implicit-def: $vgpr2
.LBB20_163:
	s_mov_b64 s[2:3], 0
.LBB20_164:
	s_and_b64 vcc, exec, s[2:3]
	s_cbranch_vccz .LBB20_182
; %bb.165:
	s_cmp_lt_i32 s16, 27
	s_cbranch_scc1 .LBB20_168
; %bb.166:
	s_cmp_gt_i32 s16, 27
	s_cbranch_scc0 .LBB20_169
; %bb.167:
	global_load_dword v2, v[0:1], off
	s_mov_b64 s[0:1], 0
	s_waitcnt vmcnt(0)
	v_cvt_f32_u32_e32 v2, v2
	s_branch .LBB20_170
.LBB20_168:
	s_mov_b64 s[0:1], -1
                                        ; implicit-def: $vgpr2
	s_branch .LBB20_173
.LBB20_169:
	s_mov_b64 s[0:1], -1
                                        ; implicit-def: $vgpr2
.LBB20_170:
	s_andn2_b64 vcc, exec, s[0:1]
	s_cbranch_vccnz .LBB20_172
; %bb.171:
	global_load_ushort v2, v[0:1], off
	s_waitcnt vmcnt(0)
	v_cvt_f32_u32_e32 v2, v2
.LBB20_172:
	s_mov_b64 s[0:1], 0
.LBB20_173:
	s_andn2_b64 vcc, exec, s[0:1]
	s_cbranch_vccnz .LBB20_181
; %bb.174:
	global_load_ubyte v3, v[0:1], off
	s_movk_i32 s0, 0x7f
	s_waitcnt vmcnt(0)
	v_cmp_lt_i16_e32 vcc, s0, v3
	s_mov_b64 s[0:1], 0
	s_and_saveexec_b64 s[2:3], vcc
	s_xor_b64 s[2:3], exec, s[2:3]
	s_cbranch_execz .LBB20_194
; %bb.175:
	s_movk_i32 s0, 0x80
	v_cmp_eq_u16_e32 vcc, s0, v3
	s_mov_b64 s[0:1], -1
	s_and_saveexec_b64 s[4:5], vcc
; %bb.176:
	s_xor_b64 s[0:1], exec, -1
; %bb.177:
	s_or_b64 exec, exec, s[4:5]
	s_and_b64 s[0:1], s[0:1], exec
	s_or_saveexec_b64 s[2:3], s[2:3]
	v_mov_b32_e32 v2, 0x7f800001
	s_xor_b64 exec, exec, s[2:3]
	s_cbranch_execnz .LBB20_195
.LBB20_178:
	s_or_b64 exec, exec, s[2:3]
	s_and_saveexec_b64 s[2:3], s[0:1]
	s_cbranch_execz .LBB20_180
.LBB20_179:
	v_lshlrev_b32_e32 v2, 24, v3
	v_and_b32_e32 v3, 0xffff, v3
	v_and_b32_e32 v4, 7, v3
	v_ffbh_u32_e32 v6, v4
	v_min_u32_e32 v6, 32, v6
	v_subrev_u32_e32 v8, 28, v6
	v_bfe_u32 v5, v3, 3, 4
	v_lshlrev_b32_e32 v3, v8, v3
	v_sub_u32_e32 v6, 29, v6
	v_and_b32_e32 v3, 7, v3
	v_cmp_eq_u32_e32 vcc, 0, v5
	v_cndmask_b32_e32 v5, v5, v6, vcc
	v_cndmask_b32_e32 v3, v4, v3, vcc
	v_mov_b32_e32 v4, 0x3b800000
	v_lshlrev_b32_e32 v3, 20, v3
	v_and_b32_e32 v2, 0x80000000, v2
	v_lshl_add_u32 v4, v5, 23, v4
	v_or3_b32 v2, v2, v4, v3
.LBB20_180:
	s_or_b64 exec, exec, s[2:3]
.LBB20_181:
	s_mov_b64 s[0:1], -1
.LBB20_182:
	s_branch .LBB20_217
.LBB20_183:
	s_cmp_gt_i32 s16, 22
	s_cbranch_scc0 .LBB20_193
; %bb.184:
	s_cmp_lt_i32 s16, 24
	s_cbranch_scc1 .LBB20_196
; %bb.185:
	s_cmp_gt_i32 s16, 24
	s_cbranch_scc0 .LBB20_197
; %bb.186:
	global_load_ubyte v3, v[0:1], off
	s_movk_i32 s0, 0x7f
	s_waitcnt vmcnt(0)
	v_cmp_lt_i16_e32 vcc, s0, v3
	s_mov_b64 s[0:1], 0
	s_and_saveexec_b64 s[2:3], vcc
	s_xor_b64 s[2:3], exec, s[2:3]
	s_cbranch_execz .LBB20_209
; %bb.187:
	s_movk_i32 s0, 0x80
	v_cmp_eq_u16_e32 vcc, s0, v3
	s_mov_b64 s[0:1], -1
	s_and_saveexec_b64 s[4:5], vcc
; %bb.188:
	s_xor_b64 s[0:1], exec, -1
; %bb.189:
	s_or_b64 exec, exec, s[4:5]
	s_and_b64 s[0:1], s[0:1], exec
	s_or_saveexec_b64 s[2:3], s[2:3]
	v_mov_b32_e32 v2, 0x7f800001
	s_xor_b64 exec, exec, s[2:3]
	s_cbranch_execnz .LBB20_210
.LBB20_190:
	s_or_b64 exec, exec, s[2:3]
	s_and_saveexec_b64 s[2:3], s[0:1]
	s_cbranch_execz .LBB20_192
.LBB20_191:
	v_lshlrev_b32_e32 v2, 24, v3
	v_and_b32_e32 v3, 0xffff, v3
	v_and_b32_e32 v4, 3, v3
	v_ffbh_u32_e32 v6, v4
	v_min_u32_e32 v6, 32, v6
	v_subrev_u32_e32 v8, 29, v6
	v_bfe_u32 v5, v3, 2, 5
	v_lshlrev_b32_e32 v3, v8, v3
	v_sub_u32_e32 v6, 30, v6
	v_and_b32_e32 v3, 3, v3
	v_cmp_eq_u32_e32 vcc, 0, v5
	v_cndmask_b32_e32 v5, v5, v6, vcc
	v_cndmask_b32_e32 v3, v4, v3, vcc
	v_mov_b32_e32 v4, 0x37800000
	v_lshlrev_b32_e32 v3, 21, v3
	v_and_b32_e32 v2, 0x80000000, v2
	v_lshl_add_u32 v4, v5, 23, v4
	v_or3_b32 v2, v2, v4, v3
.LBB20_192:
	s_or_b64 exec, exec, s[2:3]
	s_mov_b64 s[0:1], 0
	s_branch .LBB20_198
.LBB20_193:
	s_mov_b64 s[2:3], -1
                                        ; implicit-def: $vgpr2
	s_branch .LBB20_204
.LBB20_194:
	s_or_saveexec_b64 s[2:3], s[2:3]
	v_mov_b32_e32 v2, 0x7f800001
	s_xor_b64 exec, exec, s[2:3]
	s_cbranch_execz .LBB20_178
.LBB20_195:
	v_cmp_ne_u16_e32 vcc, 0, v3
	s_andn2_b64 s[0:1], s[0:1], exec
	s_and_b64 s[4:5], vcc, exec
	v_mov_b32_e32 v2, 0
	s_or_b64 s[0:1], s[0:1], s[4:5]
	s_or_b64 exec, exec, s[2:3]
	s_and_saveexec_b64 s[2:3], s[0:1]
	s_cbranch_execnz .LBB20_179
	s_branch .LBB20_180
.LBB20_196:
	s_mov_b64 s[0:1], -1
                                        ; implicit-def: $vgpr2
	s_branch .LBB20_201
.LBB20_197:
	s_mov_b64 s[0:1], -1
                                        ; implicit-def: $vgpr2
.LBB20_198:
	s_and_b64 vcc, exec, s[0:1]
	s_cbranch_vccz .LBB20_200
; %bb.199:
	global_load_ubyte v2, v[0:1], off
	s_mov_b32 s0, 0x7f800000
	s_waitcnt vmcnt(0)
	v_lshlrev_b32_e32 v2, 24, v2
	v_and_b32_e32 v3, 0x7f000000, v2
	v_ffbh_u32_e32 v4, v3
	v_min_u32_e32 v4, 32, v4
	v_sub_u32_e64 v4, v4, 4 clamp
	v_lshlrev_b32_e32 v6, v4, v3
	v_lshlrev_b32_e32 v4, 23, v4
	v_lshrrev_b32_e32 v6, 4, v6
	v_add_u32_e32 v5, 0x1000000, v3
	v_sub_u32_e32 v4, v6, v4
	v_ashrrev_i32_e32 v5, 8, v5
	v_add_u32_e32 v4, 0x3c000000, v4
	v_and_or_b32 v4, v5, s0, v4
	v_cmp_ne_u32_e32 vcc, 0, v3
	v_cndmask_b32_e32 v3, 0, v4, vcc
	s_brev_b32 s0, 1
	v_and_or_b32 v2, v2, s0, v3
.LBB20_200:
	s_mov_b64 s[0:1], 0
.LBB20_201:
	s_andn2_b64 vcc, exec, s[0:1]
	s_cbranch_vccnz .LBB20_203
; %bb.202:
	global_load_ubyte v2, v[0:1], off
	s_movk_i32 s0, 0x7f00
	s_brev_b32 s1, 16
	s_waitcnt vmcnt(0)
	v_lshlrev_b16_e32 v3, 8, v2
	v_lshlrev_b32_e32 v2, 25, v2
	v_lshrrev_b32_e32 v4, 4, v2
	v_and_or_b32 v5, v3, s0, 0.5
	v_or_b32_e32 v4, 0x70000000, v4
	v_add_f32_e32 v5, -0.5, v5
	v_mul_f32_e32 v4, 0x7800000, v4
	v_cmp_gt_u32_e32 vcc, s1, v2
	v_bfe_i32 v3, v3, 0, 16
	v_cndmask_b32_e32 v2, v4, v5, vcc
	s_brev_b32 s0, 1
	v_and_or_b32 v2, v3, s0, v2
.LBB20_203:
	s_mov_b64 s[2:3], 0
	s_mov_b64 s[0:1], -1
.LBB20_204:
	s_andn2_b64 vcc, exec, s[2:3]
	s_cbranch_vccnz .LBB20_217
; %bb.205:
	s_cmp_gt_i32 s16, 14
	s_cbranch_scc0 .LBB20_208
; %bb.206:
	s_cmp_eq_u32 s16, 15
	s_cbranch_scc0 .LBB20_211
; %bb.207:
	global_load_ushort v2, v[0:1], off
	s_mov_b64 s[0:1], -1
	s_mov_b64 s[18:19], 0
	s_waitcnt vmcnt(0)
	v_lshlrev_b32_e32 v2, 16, v2
	s_branch .LBB20_212
.LBB20_208:
	s_mov_b64 s[2:3], -1
                                        ; implicit-def: $vgpr2
	s_branch .LBB20_213
.LBB20_209:
	s_or_saveexec_b64 s[2:3], s[2:3]
	v_mov_b32_e32 v2, 0x7f800001
	s_xor_b64 exec, exec, s[2:3]
	s_cbranch_execz .LBB20_190
.LBB20_210:
	v_cmp_ne_u16_e32 vcc, 0, v3
	s_andn2_b64 s[0:1], s[0:1], exec
	s_and_b64 s[4:5], vcc, exec
	v_mov_b32_e32 v2, 0
	s_or_b64 s[0:1], s[0:1], s[4:5]
	s_or_b64 exec, exec, s[2:3]
	s_and_saveexec_b64 s[2:3], s[0:1]
	s_cbranch_execnz .LBB20_191
	s_branch .LBB20_192
.LBB20_211:
	s_mov_b64 s[18:19], -1
                                        ; implicit-def: $vgpr2
.LBB20_212:
	s_mov_b64 s[2:3], 0
.LBB20_213:
	s_and_b64 vcc, exec, s[2:3]
	s_cbranch_vccz .LBB20_217
; %bb.214:
	s_cmp_eq_u32 s16, 11
	s_cbranch_scc0 .LBB20_216
; %bb.215:
	global_load_ubyte v2, v[0:1], off
	s_mov_b64 s[0:1], -1
	s_mov_b64 s[18:19], 0
	s_waitcnt vmcnt(0)
	v_cmp_ne_u16_e32 vcc, 0, v2
	v_cndmask_b32_e64 v2, 0, 1.0, vcc
	s_branch .LBB20_217
.LBB20_216:
	s_mov_b64 s[18:19], -1
                                        ; implicit-def: $vgpr2
.LBB20_217:
	s_branch .LBB20_10
.LBB20_218:
	s_cmp_lt_i32 s16, 5
	s_cbranch_scc1 .LBB20_223
; %bb.219:
	s_cmp_lt_i32 s16, 8
	s_cbranch_scc1 .LBB20_224
; %bb.220:
	;; [unrolled: 3-line block ×3, first 2 shown]
	s_cmp_gt_i32 s16, 9
	s_cbranch_scc0 .LBB20_226
; %bb.222:
	global_load_dwordx2 v[2:3], v[0:1], off
	s_mov_b64 s[0:1], 0
	s_waitcnt vmcnt(0)
	v_cvt_f32_f64_e32 v2, v[2:3]
	s_branch .LBB20_227
.LBB20_223:
                                        ; implicit-def: $vgpr2
	s_branch .LBB20_245
.LBB20_224:
	s_mov_b64 s[0:1], -1
                                        ; implicit-def: $vgpr2
	s_branch .LBB20_233
.LBB20_225:
	s_mov_b64 s[0:1], -1
                                        ; implicit-def: $vgpr2
	s_branch .LBB20_230
.LBB20_226:
	s_mov_b64 s[0:1], -1
                                        ; implicit-def: $vgpr2
.LBB20_227:
	s_andn2_b64 vcc, exec, s[0:1]
	s_cbranch_vccnz .LBB20_229
; %bb.228:
	global_load_dword v2, v[0:1], off
.LBB20_229:
	s_mov_b64 s[0:1], 0
.LBB20_230:
	s_andn2_b64 vcc, exec, s[0:1]
	s_cbranch_vccnz .LBB20_232
; %bb.231:
	global_load_dword v2, v[0:1], off
	s_waitcnt vmcnt(0)
	v_cvt_f32_f16_e32 v2, v2
.LBB20_232:
	s_mov_b64 s[0:1], 0
.LBB20_233:
	s_andn2_b64 vcc, exec, s[0:1]
	s_cbranch_vccnz .LBB20_244
; %bb.234:
	s_cmp_lt_i32 s16, 6
	s_cbranch_scc1 .LBB20_237
; %bb.235:
	s_cmp_gt_i32 s16, 6
	s_cbranch_scc0 .LBB20_238
; %bb.236:
	global_load_dwordx2 v[2:3], v[0:1], off
	s_mov_b64 s[0:1], 0
	s_waitcnt vmcnt(0)
	v_cvt_f32_f64_e32 v2, v[2:3]
	s_branch .LBB20_239
.LBB20_237:
	s_mov_b64 s[0:1], -1
                                        ; implicit-def: $vgpr2
	s_branch .LBB20_242
.LBB20_238:
	s_mov_b64 s[0:1], -1
                                        ; implicit-def: $vgpr2
.LBB20_239:
	s_andn2_b64 vcc, exec, s[0:1]
	s_cbranch_vccnz .LBB20_241
; %bb.240:
	global_load_dword v2, v[0:1], off
.LBB20_241:
	s_mov_b64 s[0:1], 0
.LBB20_242:
	s_andn2_b64 vcc, exec, s[0:1]
	s_cbranch_vccnz .LBB20_244
; %bb.243:
	global_load_ushort v2, v[0:1], off
	s_waitcnt vmcnt(0)
	v_cvt_f32_f16_e32 v2, v2
.LBB20_244:
	s_cbranch_execnz .LBB20_264
.LBB20_245:
	s_cmp_lt_i32 s16, 2
	s_cbranch_scc1 .LBB20_249
; %bb.246:
	s_cmp_lt_i32 s16, 3
	s_cbranch_scc1 .LBB20_250
; %bb.247:
	s_cmp_gt_i32 s16, 3
	s_cbranch_scc0 .LBB20_251
; %bb.248:
	global_load_dwordx2 v[2:3], v[0:1], off
	s_mov_b64 s[0:1], 0
	s_waitcnt vmcnt(0)
	v_xor_b32_e32 v5, v2, v3
	v_ffbh_i32_e32 v4, v3
	v_ashrrev_i32_e32 v5, 31, v5
	v_add_u32_e32 v4, -1, v4
	v_add_u32_e32 v5, 32, v5
	v_min_u32_e32 v4, v4, v5
	v_lshlrev_b64 v[2:3], v4, v[2:3]
	v_min_u32_e32 v2, 1, v2
	v_or_b32_e32 v2, v3, v2
	v_cvt_f32_i32_e32 v2, v2
	v_sub_u32_e32 v3, 32, v4
	v_ldexp_f32 v2, v2, v3
	s_branch .LBB20_252
.LBB20_249:
	s_mov_b64 s[0:1], -1
                                        ; implicit-def: $vgpr2
	s_branch .LBB20_258
.LBB20_250:
	s_mov_b64 s[0:1], -1
                                        ; implicit-def: $vgpr2
	s_branch .LBB20_255
.LBB20_251:
	s_mov_b64 s[0:1], -1
                                        ; implicit-def: $vgpr2
.LBB20_252:
	s_andn2_b64 vcc, exec, s[0:1]
	s_cbranch_vccnz .LBB20_254
; %bb.253:
	global_load_dword v2, v[0:1], off
	s_waitcnt vmcnt(0)
	v_cvt_f32_i32_e32 v2, v2
.LBB20_254:
	s_mov_b64 s[0:1], 0
.LBB20_255:
	s_andn2_b64 vcc, exec, s[0:1]
	s_cbranch_vccnz .LBB20_257
; %bb.256:
	global_load_sshort v2, v[0:1], off
	s_waitcnt vmcnt(0)
	v_cvt_f32_i32_e32 v2, v2
.LBB20_257:
	s_mov_b64 s[0:1], 0
.LBB20_258:
	s_andn2_b64 vcc, exec, s[0:1]
	s_cbranch_vccnz .LBB20_264
; %bb.259:
	s_cmp_gt_i32 s16, 0
	s_cbranch_scc0 .LBB20_261
; %bb.260:
	global_load_sbyte v2, v[0:1], off
	s_mov_b64 s[0:1], 0
	s_waitcnt vmcnt(0)
	v_cvt_f32_i32_e32 v2, v2
	s_branch .LBB20_262
.LBB20_261:
	s_mov_b64 s[0:1], -1
                                        ; implicit-def: $vgpr2
.LBB20_262:
	s_andn2_b64 vcc, exec, s[0:1]
	s_cbranch_vccnz .LBB20_264
; %bb.263:
	global_load_ubyte v0, v[0:1], off
	s_waitcnt vmcnt(0)
	v_cvt_f32_ubyte0_e32 v2, v0
.LBB20_264:
	s_branch .LBB20_11
.LBB20_265:
	s_mov_b64 s[0:1], 0
                                        ; implicit-def: $vgpr7
	s_mov_b64 s[2:3], 0
.LBB20_266:
	s_and_b64 s[16:17], s[0:1], exec
	s_and_b64 s[18:19], s[18:19], exec
	s_orn2_b64 s[2:3], s[2:3], exec
.LBB20_267:
	s_or_b64 exec, exec, s[20:21]
	s_mov_b64 s[4:5], 0
	s_mov_b64 s[0:1], 0
                                        ; implicit-def: $vgpr0_vgpr1
                                        ; implicit-def: $vgpr4
	s_and_saveexec_b64 s[20:21], s[2:3]
	s_cbranch_execz .LBB20_276
; %bb.268:
	v_cmp_gt_i32_e32 vcc, s40, v7
	s_mov_b64 s[0:1], -1
	s_mov_b64 s[22:23], s[18:19]
	s_mov_b64 s[24:25], s[16:17]
	s_and_saveexec_b64 s[26:27], vcc
	s_cbranch_execz .LBB20_544
; %bb.269:
	v_mul_lo_u32 v0, v7, s13
	v_mov_b32_e32 v1, s11
	s_and_b32 s24, 0xffff, s42
	s_cmp_lt_i32 s24, 11
	s_waitcnt vmcnt(0)
	v_ashrrev_i32_e32 v2, 31, v0
	v_add_co_u32_e32 v0, vcc, s10, v0
	v_addc_co_u32_e32 v1, vcc, v1, v2, vcc
	s_cbranch_scc1 .LBB20_279
; %bb.270:
	s_cmp_gt_i32 s24, 25
	s_cbranch_scc0 .LBB20_290
; %bb.271:
	s_cmp_gt_i32 s24, 28
	s_cbranch_scc0 .LBB20_306
	;; [unrolled: 3-line block ×4, first 2 shown]
; %bb.274:
	s_cmp_eq_u32 s24, 46
	s_mov_b64 s[2:3], 0
	s_cbranch_scc0 .LBB20_316
; %bb.275:
	global_load_dword v2, v[0:1], off
	s_mov_b64 s[22:23], 0
	s_waitcnt vmcnt(0)
	v_lshlrev_b32_e32 v2, 16, v2
	s_branch .LBB20_317
.LBB20_276:
	s_or_b64 exec, exec, s[20:21]
	s_mov_b64 s[20:21], 0
	s_and_saveexec_b64 s[2:3], s[18:19]
	s_cbranch_execnz .LBB20_906
.LBB20_277:
	s_or_b64 exec, exec, s[2:3]
	s_and_saveexec_b64 s[2:3], s[24:25]
	s_xor_b64 s[2:3], exec, s[2:3]
	s_cbranch_execz .LBB20_907
.LBB20_278:
	global_load_ubyte v2, v[0:1], off
	s_or_b64 s[0:1], s[0:1], exec
	s_waitcnt vmcnt(0)
	v_cmp_ne_u16_e32 vcc, 0, v2
	v_cndmask_b32_e64 v4, 0, 1.0, vcc
	s_or_b64 exec, exec, s[2:3]
	s_and_saveexec_b64 s[2:3], s[4:5]
	s_cbranch_execz .LBB20_953
	s_branch .LBB20_908
.LBB20_279:
	s_mov_b64 s[0:1], 0
                                        ; implicit-def: $vgpr2
	s_mov_b64 s[22:23], s[18:19]
	s_cbranch_execnz .LBB20_494
.LBB20_280:
	s_andn2_b64 vcc, exec, s[0:1]
	s_cbranch_vccnz .LBB20_542
.LBB20_281:
	s_waitcnt vmcnt(0)
	v_cmp_gt_f32_e32 vcc, 0, v2
	v_cndmask_b32_e64 v1, v2, -v2, vcc
	s_mov_b32 s0, 0x40a00000
	v_cmp_ge_f32_e32 vcc, s0, v1
	v_mul_f32_e32 v3, v1, v1
                                        ; implicit-def: $vgpr0
	s_and_saveexec_b64 s[0:1], vcc
	s_xor_b64 s[0:1], exec, s[0:1]
	s_cbranch_execz .LBB20_287
; %bb.282:
	s_mov_b32 s2, 0x3727c5ac
	v_cmp_ngt_f32_e32 vcc, s2, v1
                                        ; implicit-def: $vgpr0
	s_and_saveexec_b64 s[2:3], vcc
	s_xor_b64 s[2:3], exec, s[2:3]
	s_cbranch_execz .LBB20_284
; %bb.283:
	v_mov_b32_e32 v0, 0xcf8ee29d
	v_fmac_f32_e32 v0, 0, v3
	v_mov_b32_e32 v1, 0x53e3ba8e
	v_fmac_f32_e32 v1, v3, v0
	;; [unrolled: 2-line block ×12, first 2 shown]
	v_add_f32_e32 v0, 0xc0b90fdc, v3
	v_add_f32_e32 v3, 0xc1f3c525, v3
	v_mul_f32_e32 v0, v0, v3
	v_mul_f32_e32 v0, v0, v1
	v_div_scale_f32 v1, s[4:5], v2, v2, v0
	v_div_scale_f32 v3, vcc, v0, v2, v0
	v_rcp_f32_e32 v4, v1
	v_fma_f32 v5, -v1, v4, 1.0
	v_fmac_f32_e32 v4, v5, v4
	v_mul_f32_e32 v5, v3, v4
	v_fma_f32 v6, -v1, v5, v3
	v_fmac_f32_e32 v5, v6, v4
	v_fma_f32 v1, -v1, v5, v3
	v_div_fmas_f32 v1, v1, v4, v5
                                        ; implicit-def: $vgpr3
	v_div_fixup_f32 v0, v1, v2, v0
.LBB20_284:
	s_andn2_saveexec_b64 s[2:3], s[2:3]
; %bb.285:
	s_mov_b32 s4, 0xbe800000
	v_fma_f32 v0, v3, s4, 1.0
; %bb.286:
	s_or_b64 exec, exec, s[2:3]
                                        ; implicit-def: $vgpr3
                                        ; implicit-def: $vgpr1
.LBB20_287:
	s_andn2_saveexec_b64 s[24:25], s[0:1]
	s_cbranch_execz .LBB20_298
; %bb.288:
	v_add_f32_e32 v0, 0xbf490fdb, v1
	v_and_b32_e32 v2, 0x7fffffff, v0
	s_brev_b32 s0, 18
	v_cmp_nlt_f32_e64 s[28:29], |v0|, s0
	v_lshrrev_b32_e32 v9, 23, v2
                                        ; implicit-def: $vgpr4
                                        ; implicit-def: $vgpr5
	s_and_saveexec_b64 s[0:1], s[28:29]
	s_xor_b64 s[30:31], exec, s[0:1]
	s_cbranch_execz .LBB20_291
; %bb.289:
	v_and_b32_e32 v4, 0x7fffff, v2
	v_or_b32_e32 v8, 0x800000, v4
	s_mov_b32 s0, 0xfe5163ab
	v_mad_u64_u32 v[4:5], s[0:1], v8, s0, 0
	v_mov_b32_e32 v6, 0
	s_mov_b32 s0, 0x3c439041
	v_mad_u64_u32 v[10:11], s[0:1], v8, s0, v[5:6]
	s_mov_b32 s0, 0xdb629599
	v_add_u32_e32 v15, 0xffffff88, v9
	v_mov_b32_e32 v5, v11
	v_mad_u64_u32 v[11:12], s[0:1], v8, s0, v[5:6]
	s_mov_b32 s0, 0xf534ddc0
	v_not_b32_e32 v16, 63
	v_mov_b32_e32 v5, v12
	v_mad_u64_u32 v[12:13], s[0:1], v8, s0, v[5:6]
	s_mov_b32 s0, 0xfc2757d1
	v_cmp_lt_u32_e32 vcc, 63, v15
	v_mov_b32_e32 v5, v13
	v_mad_u64_u32 v[13:14], s[0:1], v8, s0, v[5:6]
	v_cndmask_b32_e32 v5, 0, v16, vcc
	v_add_u32_e32 v16, v5, v15
	v_mov_b32_e32 v5, v14
	s_mov_b32 s0, 0x4e441529
	v_mad_u64_u32 v[14:15], s[0:1], v8, s0, v[5:6]
	v_not_b32_e32 v17, 31
	v_cmp_lt_u32_e64 s[0:1], 31, v16
	v_cndmask_b32_e64 v5, 0, v17, s[0:1]
	v_add_u32_e32 v16, v5, v16
	v_mov_b32_e32 v5, v15
	s_mov_b32 s2, 0xa2f9836e
	v_mad_u64_u32 v[5:6], s[2:3], v8, s2, v[5:6]
	v_cmp_lt_u32_e64 s[2:3], 31, v16
	v_cndmask_b32_e64 v8, 0, v17, s[2:3]
	v_cndmask_b32_e32 v15, v14, v12, vcc
	v_cndmask_b32_e32 v5, v5, v13, vcc
	;; [unrolled: 1-line block ×3, first 2 shown]
	v_add_u32_e32 v8, v8, v16
	v_cndmask_b32_e64 v16, v5, v15, s[0:1]
	v_cndmask_b32_e64 v5, v6, v5, s[0:1]
	v_cndmask_b32_e32 v6, v13, v11, vcc
	v_cndmask_b32_e64 v13, v15, v6, s[0:1]
	v_cndmask_b32_e64 v5, v5, v16, s[2:3]
	;; [unrolled: 1-line block ×3, first 2 shown]
	v_sub_u32_e32 v15, 32, v8
	v_alignbit_b32 v16, v5, v14, v15
	v_cmp_eq_u32_e64 s[4:5], 0, v8
	v_cndmask_b32_e64 v8, v16, v5, s[4:5]
	v_cndmask_b32_e32 v5, v12, v10, vcc
	v_cndmask_b32_e64 v6, v6, v5, s[0:1]
	v_cndmask_b32_e64 v10, v13, v6, s[2:3]
	v_alignbit_b32 v12, v14, v10, v15
	v_cndmask_b32_e32 v4, v11, v4, vcc
	v_cndmask_b32_e64 v12, v12, v14, s[4:5]
	v_bfe_u32 v16, v8, 29, 1
	v_cndmask_b32_e64 v4, v5, v4, s[0:1]
	v_alignbit_b32 v13, v8, v12, 30
	v_sub_u32_e32 v17, 0, v16
	v_cndmask_b32_e64 v4, v6, v4, s[2:3]
	v_xor_b32_e32 v13, v13, v17
	v_alignbit_b32 v5, v10, v4, v15
	v_cndmask_b32_e64 v5, v5, v10, s[4:5]
	v_ffbh_u32_e32 v10, v13
	v_alignbit_b32 v6, v12, v5, 30
	v_min_u32_e32 v10, 32, v10
	v_alignbit_b32 v4, v5, v4, 30
	v_xor_b32_e32 v6, v6, v17
	v_sub_u32_e32 v11, 31, v10
	v_xor_b32_e32 v4, v4, v17
	v_alignbit_b32 v12, v13, v6, v11
	v_alignbit_b32 v4, v6, v4, v11
	;; [unrolled: 1-line block ×3, first 2 shown]
	v_ffbh_u32_e32 v6, v5
	v_min_u32_e32 v6, 32, v6
	v_lshrrev_b32_e32 v14, 29, v8
	v_not_b32_e32 v11, v6
	v_alignbit_b32 v4, v5, v4, v11
	v_lshlrev_b32_e32 v5, 31, v14
	v_or_b32_e32 v11, 0x33000000, v5
	v_add_lshl_u32 v6, v6, v10, 23
	v_lshrrev_b32_e32 v4, 9, v4
	v_sub_u32_e32 v6, v11, v6
	v_or_b32_e32 v5, 0.5, v5
	v_lshlrev_b32_e32 v10, 23, v10
	v_or_b32_e32 v4, v6, v4
	v_lshrrev_b32_e32 v6, 9, v12
	v_sub_u32_e32 v5, v5, v10
	v_or_b32_e32 v5, v6, v5
	s_mov_b32 s0, 0x3fc90fda
	v_mul_f32_e32 v6, 0x3fc90fda, v5
	v_fma_f32 v10, v5, s0, -v6
	v_fmac_f32_e32 v10, 0x33a22168, v5
	v_fmac_f32_e32 v10, 0x3fc90fda, v4
	v_lshrrev_b32_e32 v4, 30, v8
	v_add_f32_e32 v5, v6, v10
	v_add_u32_e32 v4, v16, v4
	s_andn2_saveexec_b64 s[0:1], s[30:31]
	s_cbranch_execz .LBB20_293
	s_branch .LBB20_292
.LBB20_290:
	s_mov_b64 s[2:3], -1
	s_mov_b64 s[0:1], 0
	s_mov_b64 s[22:23], s[18:19]
                                        ; implicit-def: $vgpr2
	s_branch .LBB20_458
.LBB20_291:
	s_andn2_saveexec_b64 s[0:1], s[30:31]
	s_cbranch_execz .LBB20_293
.LBB20_292:
	s_mov_b32 s2, 0x3f22f983
	v_mul_f32_e64 v4, |v0|, s2
	v_rndne_f32_e32 v6, v4
	s_mov_b32 s2, 0xbfc90fda
	v_cvt_i32_f32_e32 v4, v6
	v_fma_f32 v5, v6, s2, |v0|
	v_fmac_f32_e32 v5, 0xb3a22168, v6
	v_fmac_f32_e32 v5, 0xa7c234c4, v6
.LBB20_293:
	s_or_b64 exec, exec, s[0:1]
                                        ; implicit-def: $vgpr6
                                        ; implicit-def: $vgpr8
	s_and_saveexec_b64 s[0:1], s[28:29]
	s_xor_b64 s[28:29], exec, s[0:1]
	s_cbranch_execz .LBB20_295
; %bb.294:
	v_and_b32_e32 v6, 0x7fffff, v2
	v_or_b32_e32 v6, 0x800000, v6
	s_mov_b32 s0, 0xfe5163ab
	v_mad_u64_u32 v[10:11], s[0:1], v6, s0, 0
	v_mov_b32_e32 v12, 0
	s_mov_b32 s0, 0x3c439041
	v_mad_u64_u32 v[13:14], s[0:1], v6, s0, v[11:12]
	s_mov_b32 s0, 0xdb629599
	v_add_u32_e32 v17, 0xffffff88, v9
	v_mov_b32_e32 v11, v14
	v_mad_u64_u32 v[14:15], s[0:1], v6, s0, v[11:12]
	s_mov_b32 s0, 0xf534ddc0
	v_not_b32_e32 v18, 63
	v_mov_b32_e32 v11, v15
	v_mad_u64_u32 v[15:16], s[0:1], v6, s0, v[11:12]
	s_mov_b32 s0, 0xfc2757d1
	v_cmp_lt_u32_e32 vcc, 63, v17
	v_mov_b32_e32 v11, v16
	v_mad_u64_u32 v[8:9], s[0:1], v6, s0, v[11:12]
	v_cndmask_b32_e32 v11, 0, v18, vcc
	v_add_u32_e32 v18, v11, v17
	v_mov_b32_e32 v11, v9
	s_mov_b32 s0, 0x4e441529
	v_mad_u64_u32 v[16:17], s[0:1], v6, s0, v[11:12]
	v_not_b32_e32 v19, 31
	v_cmp_lt_u32_e64 s[0:1], 31, v18
	v_mov_b32_e32 v11, v17
	s_mov_b32 s2, 0xa2f9836e
	v_cndmask_b32_e64 v9, 0, v19, s[0:1]
	v_mad_u64_u32 v[11:12], s[2:3], v6, s2, v[11:12]
	v_add_u32_e32 v9, v9, v18
	v_cmp_lt_u32_e64 s[2:3], 31, v9
	v_cndmask_b32_e64 v6, 0, v19, s[2:3]
	v_add_u32_e32 v6, v6, v9
	v_cndmask_b32_e32 v9, v16, v15, vcc
	v_cndmask_b32_e32 v11, v11, v8, vcc
	;; [unrolled: 1-line block ×4, first 2 shown]
	v_cndmask_b32_e64 v17, v11, v9, s[0:1]
	v_cndmask_b32_e64 v11, v12, v11, s[0:1]
	;; [unrolled: 1-line block ×5, first 2 shown]
	v_sub_u32_e32 v16, 32, v6
	v_alignbit_b32 v17, v11, v12, v16
	v_cmp_eq_u32_e64 s[4:5], 0, v6
	v_cndmask_b32_e64 v6, v17, v11, s[4:5]
	v_cndmask_b32_e32 v11, v15, v13, vcc
	v_cndmask_b32_e64 v8, v8, v11, s[0:1]
	v_cndmask_b32_e64 v9, v9, v8, s[2:3]
	v_alignbit_b32 v13, v12, v9, v16
	v_cndmask_b32_e32 v10, v14, v10, vcc
	v_cndmask_b32_e64 v12, v13, v12, s[4:5]
	v_bfe_u32 v17, v6, 29, 1
	v_cndmask_b32_e64 v10, v11, v10, s[0:1]
	v_alignbit_b32 v13, v6, v12, 30
	v_sub_u32_e32 v18, 0, v17
	v_cndmask_b32_e64 v8, v8, v10, s[2:3]
	v_xor_b32_e32 v13, v13, v18
	v_alignbit_b32 v10, v9, v8, v16
	v_cndmask_b32_e64 v9, v10, v9, s[4:5]
	v_ffbh_u32_e32 v11, v13
	v_alignbit_b32 v10, v12, v9, 30
	v_min_u32_e32 v11, 32, v11
	v_alignbit_b32 v8, v9, v8, 30
	v_xor_b32_e32 v10, v10, v18
	v_sub_u32_e32 v12, 31, v11
	v_xor_b32_e32 v8, v8, v18
	v_alignbit_b32 v13, v13, v10, v12
	v_alignbit_b32 v8, v10, v8, v12
	;; [unrolled: 1-line block ×3, first 2 shown]
	v_ffbh_u32_e32 v10, v9
	v_min_u32_e32 v10, 32, v10
	v_lshrrev_b32_e32 v15, 29, v6
	v_not_b32_e32 v12, v10
	v_alignbit_b32 v8, v9, v8, v12
	v_lshlrev_b32_e32 v9, 31, v15
	v_or_b32_e32 v12, 0x33000000, v9
	v_add_lshl_u32 v10, v10, v11, 23
	v_lshrrev_b32_e32 v8, 9, v8
	v_sub_u32_e32 v10, v12, v10
	v_or_b32_e32 v9, 0.5, v9
	v_lshlrev_b32_e32 v11, 23, v11
	v_or_b32_e32 v8, v10, v8
	v_lshrrev_b32_e32 v10, 9, v13
	v_sub_u32_e32 v9, v9, v11
	v_or_b32_e32 v9, v10, v9
	s_mov_b32 s0, 0x3fc90fda
	v_mul_f32_e32 v10, 0x3fc90fda, v9
	v_fma_f32 v11, v9, s0, -v10
	v_fmac_f32_e32 v11, 0x33a22168, v9
	v_fmac_f32_e32 v11, 0x3fc90fda, v8
	v_lshrrev_b32_e32 v6, 30, v6
	v_add_f32_e32 v8, v10, v11
	v_add_u32_e32 v6, v17, v6
	s_andn2_saveexec_b64 s[0:1], s[28:29]
	s_cbranch_execnz .LBB20_296
	s_branch .LBB20_297
.LBB20_295:
	s_andn2_saveexec_b64 s[0:1], s[28:29]
	s_cbranch_execz .LBB20_297
.LBB20_296:
	s_mov_b32 s2, 0x3f22f983
	v_mul_f32_e64 v6, |v0|, s2
	v_rndne_f32_e32 v9, v6
	s_mov_b32 s2, 0xbfc90fda
	v_cvt_i32_f32_e32 v6, v9
	v_fma_f32 v8, v9, s2, |v0|
	v_fmac_f32_e32 v8, 0xb3a22168, v9
	v_fmac_f32_e32 v8, 0xa7c234c4, v9
.LBB20_297:
	s_or_b64 exec, exec, s[0:1]
	s_mov_b32 s2, 0x41c80000
	v_div_scale_f32 v10, s[0:1], v3, v3, s2
	v_div_scale_f32 v11, vcc, s2, v3, s2
	v_mov_b32_e32 v9, 0x3a50e985
	v_mov_b32_e32 v18, 0x3a725406
	;; [unrolled: 1-line block ×10, first 2 shown]
	s_mov_b32 s4, 0xc0a00000
	v_mov_b32_e32 v24, 0xc19c6e80
	v_rcp_f32_e32 v12, v10
	v_mov_b32_e32 v25, 0xc2ba697b
	v_mov_b32_e32 v26, 0x4500e17e
	;; [unrolled: 1-line block ×3, first 2 shown]
	v_fma_f32 v13, -v10, v12, 1.0
	v_fmac_f32_e32 v12, v13, v12
	v_mul_f32_e32 v13, v11, v12
	v_fma_f32 v14, -v10, v13, v11
	v_fmac_f32_e32 v13, v14, v12
	v_fma_f32 v10, -v10, v13, v11
	v_div_fmas_f32 v14, v10, v12, v13
	v_mov_b32_e32 v11, 0x3da9a586
	v_mov_b32_e32 v13, 0x3f9ea90a
	;; [unrolled: 1-line block ×5, first 2 shown]
	v_div_fixup_f32 v3, v14, v3, s2
	v_fmac_f32_e32 v9, 0, v3
	v_fmac_f32_e32 v18, 0, v3
	;; [unrolled: 1-line block ×12, first 2 shown]
	v_fma_f32 v9, v3, v23, 1.0
	v_fma_f32 v11, v3, v17, 1.0
	v_div_scale_f32 v13, s[0:1], v9, v9, v11
	v_div_scale_f32 v18, vcc, v11, v9, v11
	v_div_scale_f32 v19, s[0:1], v1, v1, s4
	v_mov_b32_e32 v15, 0x4280a2ba
	v_fmac_f32_e32 v12, 0, v3
	v_mov_b32_e32 v16, 0x44561b86
	v_fmac_f32_e32 v15, 0, v3
	v_fmac_f32_e32 v10, v3, v12
	v_mov_b32_e32 v20, 0x4572a66e
	v_fmac_f32_e32 v16, v3, v15
	v_fmac_f32_e32 v24, v3, v10
	v_mov_b32_e32 v14, 0xc331ae61
	v_mov_b32_e32 v21, 0x45e243be
	v_rcp_f32_e32 v28, v13
	v_fmac_f32_e32 v20, v3, v16
	v_fmac_f32_e32 v25, v3, v24
	v_mov_b32_e32 v17, 0xc31313d7
	v_fma_f32 v31, -v13, v28, 1.0
	v_fmac_f32_e32 v28, v31, v28
	v_mul_f32_e32 v31, v18, v28
	v_fma_f32 v32, -v13, v31, v18
	v_fmac_f32_e32 v31, v32, v28
	v_fma_f32 v13, -v13, v31, v18
	v_div_fmas_f32 v13, v13, v28, v31
	v_mov_b32_e32 v23, 0x45b955d1
	v_fmac_f32_e32 v21, v3, v20
	v_fmac_f32_e32 v14, v3, v25
	v_mov_b32_e32 v22, 0xc24da463
	v_div_scale_f32 v30, s[0:1], s4, v1, s4
	v_fmac_f32_e32 v23, v3, v21
	v_fmac_f32_e32 v17, v3, v14
	;; [unrolled: 1-line block ×6, first 2 shown]
	v_div_scale_f32 v3, s[2:3], v29, v29, v27
	v_div_scale_f32 v10, s[2:3], v27, v29, v27
	v_rcp_f32_e32 v32, v19
	v_div_fixup_f32 v9, v13, v9, v11
	v_mov_b32_e32 v14, 0x3c0881c4
	s_mov_b64 vcc, s[0:1]
	v_fma_f32 v11, -v19, v32, 1.0
	v_fmac_f32_e32 v32, v11, v32
	v_mul_f32_e32 v11, v30, v32
	v_fma_f32 v12, -v19, v11, v30
	v_fmac_f32_e32 v11, v12, v32
	v_mul_f32_e32 v12, v5, v5
	v_fma_f32 v13, -v19, v11, v30
	v_fmac_f32_e32 v14, 0xb94c1982, v12
	v_rcp_f32_e32 v15, v3
	v_div_fmas_f32 v11, v13, v32, v11
	v_mov_b32_e32 v13, 0xbe2aaa9d
	v_fma_f32 v14, v12, v14, v13
	v_mul_f32_e32 v14, v12, v14
	v_fmac_f32_e32 v5, v5, v14
	v_fma_f32 v14, -v3, v15, 1.0
	v_fmac_f32_e32 v15, v14, v15
	v_mul_f32_e32 v14, v10, v15
	v_fma_f32 v16, -v3, v14, v10
	v_fmac_f32_e32 v14, v16, v15
	v_fma_f32 v3, -v3, v14, v10
	s_mov_b64 vcc, s[2:3]
	v_div_fmas_f32 v3, v3, v15, v14
	v_mov_b32_e32 v10, 0xbab64f3b
	v_fmac_f32_e32 v10, 0x37d75334, v12
	v_mov_b32_e32 v14, 0x3d2aabf7
	v_fma_f32 v10, v12, v10, v14
	v_mov_b32_e32 v15, 0xbf000004
	v_fma_f32 v10, v12, v10, v15
	v_fma_f32 v10, v12, v10, 1.0
	v_and_b32_e32 v12, 1, v4
	v_cmp_eq_u32_e32 vcc, 0, v12
	v_div_fixup_f32 v11, v11, v1, s4
	v_cndmask_b32_e64 v5, -v5, v10, vcc
	v_mov_b32_e32 v10, 0xbab64f3b
	v_mov_b32_e32 v16, 0x3c0881c4
	s_movk_i32 s0, 0x1f8
	v_lshlrev_b32_e32 v4, 30, v4
	v_div_fixup_f32 v3, v3, v29, v27
	v_mul_f32_e32 v3, v11, v3
	v_mul_f32_e32 v11, v8, v8
	v_fmac_f32_e32 v10, 0x37d75334, v11
	v_fmac_f32_e32 v16, 0xb94c1982, v11
	;; [unrolled: 1-line block ×5, first 2 shown]
	v_mul_f32_e32 v12, v11, v13
	v_fma_f32 v10, v11, v15, 1.0
	v_and_b32_e32 v11, 1, v6
	v_lshlrev_b32_e32 v6, 30, v6
	v_cmp_class_f32_e64 vcc, v0, s0
	v_fmac_f32_e32 v8, v8, v12
	v_cmp_eq_u32_e64 s[0:1], 0, v11
	v_and_b32_e32 v6, 0x80000000, v6
	v_xor_b32_e32 v0, v2, v0
	v_and_b32_e32 v4, 0x80000000, v4
	v_cndmask_b32_e64 v8, v10, v8, s[0:1]
	v_xor_b32_e32 v0, v0, v6
	v_xor_b32_e32 v4, v4, v5
	v_mov_b32_e32 v5, 0x7fc00000
	v_xor_b32_e32 v0, v0, v8
	s_mov_b32 s0, 0xf800000
	v_cndmask_b32_e32 v4, v5, v4, vcc
	v_cndmask_b32_e32 v0, v5, v0, vcc
	v_mul_f32_e32 v2, 0x4f800000, v1
	v_cmp_gt_f32_e32 vcc, s0, v1
	v_cndmask_b32_e32 v1, v1, v2, vcc
	v_sqrt_f32_e32 v2, v1
	v_mul_f32_e32 v0, v3, v0
	v_fmac_f32_e32 v0, v9, v4
	v_mul_f32_e32 v0, 0x3f4c422a, v0
	v_add_u32_e32 v3, -1, v2
	v_fma_f32 v4, -v3, v2, v1
	v_cmp_ge_f32_e64 s[0:1], 0, v4
	v_add_u32_e32 v4, 1, v2
	v_cndmask_b32_e64 v3, v2, v3, s[0:1]
	v_fma_f32 v2, -v4, v2, v1
	v_cmp_lt_f32_e64 s[0:1], 0, v2
	v_cndmask_b32_e64 v2, v3, v4, s[0:1]
	v_mul_f32_e32 v3, 0x37800000, v2
	v_cndmask_b32_e32 v2, v2, v3, vcc
	v_mov_b32_e32 v3, 0x260
	v_cmp_class_f32_e32 vcc, v1, v3
	v_cndmask_b32_e32 v1, v2, v1, vcc
	v_div_scale_f32 v2, s[0:1], v1, v1, v0
	v_div_scale_f32 v3, vcc, v0, v1, v0
	v_rcp_f32_e32 v4, v2
	v_fma_f32 v5, -v2, v4, 1.0
	v_fmac_f32_e32 v4, v5, v4
	v_mul_f32_e32 v5, v3, v4
	v_fma_f32 v6, -v2, v5, v3
	v_fmac_f32_e32 v5, v6, v4
	v_fma_f32 v2, -v2, v5, v3
	v_div_fmas_f32 v2, v2, v4, v5
	v_div_fixup_f32 v0, v2, v1, v0
.LBB20_298:
	s_or_b64 exec, exec, s[24:25]
	v_mul_lo_u32 v1, v7, s12
	v_mov_b32_e32 v3, s9
	s_and_b32 s28, s33, 0xff
	s_cmp_lt_i32 s28, 11
	v_ashrrev_i32_e32 v4, 31, v1
	v_add_co_u32_e32 v2, vcc, s8, v1
	v_addc_co_u32_e32 v3, vcc, v3, v4, vcc
	s_cbranch_scc1 .LBB20_305
; %bb.299:
	s_and_b32 s29, 0xffff, s28
	s_cmp_gt_i32 s29, 25
	s_cbranch_scc0 .LBB20_307
; %bb.300:
	s_cmp_gt_i32 s29, 28
	s_cbranch_scc0 .LBB20_309
; %bb.301:
	s_cmp_gt_i32 s29, 43
	s_cbranch_scc0 .LBB20_313
; %bb.302:
	s_cmp_gt_i32 s29, 45
	s_cbranch_scc0 .LBB20_320
; %bb.303:
	s_mov_b64 s[4:5], 0
	s_mov_b64 s[0:1], -1
	s_cmp_eq_u32 s29, 46
	s_mov_b64 s[2:3], 0
	s_cbranch_scc0 .LBB20_321
; %bb.304:
	v_bfe_u32 v1, v0, 16, 1
	s_movk_i32 s0, 0x7fff
	v_add3_u32 v1, v0, v1, s0
	v_cmp_o_f32_e32 vcc, v0, v0
	v_mov_b32_e32 v4, 0x7fc0
	v_cndmask_b32_sdwa v1, v4, v1, vcc dst_sel:DWORD dst_unused:UNUSED_PAD src0_sel:DWORD src1_sel:WORD_1
	global_store_dword v[2:3], v1, off
	s_mov_b64 s[2:3], -1
	s_mov_b64 s[0:1], 0
	s_branch .LBB20_321
.LBB20_305:
	s_mov_b64 s[4:5], -1
	s_mov_b64 s[2:3], 0
	s_mov_b64 s[0:1], s[16:17]
	s_branch .LBB20_390
.LBB20_306:
	s_mov_b64 s[2:3], -1
	s_mov_b64 s[0:1], 0
	s_mov_b64 s[22:23], s[18:19]
                                        ; implicit-def: $vgpr2
	s_branch .LBB20_439
.LBB20_307:
	s_mov_b64 s[4:5], -1
	s_mov_b64 s[2:3], 0
	s_mov_b64 s[0:1], s[16:17]
	s_branch .LBB20_348
.LBB20_308:
	s_mov_b64 s[2:3], -1
	s_mov_b64 s[0:1], 0
	s_mov_b64 s[22:23], s[18:19]
                                        ; implicit-def: $vgpr2
	s_branch .LBB20_434
.LBB20_309:
	s_mov_b64 s[4:5], -1
	s_mov_b64 s[2:3], 0
	s_mov_b64 s[0:1], s[16:17]
	s_branch .LBB20_331
.LBB20_310:
	s_andn2_saveexec_b64 s[16:17], s[16:17]
	s_cbranch_execz .LBB20_70
.LBB20_311:
	s_mov_b32 s26, 0x46000000
	v_add_f32_e64 v1, |v0|, s26
	v_and_b32_e32 v1, 0xff, v1
	v_cmp_ne_u32_e32 vcc, 0, v1
	s_andn2_b64 s[4:5], s[4:5], exec
	s_and_b64 s[26:27], vcc, exec
	s_or_b64 s[4:5], s[4:5], s[26:27]
	s_or_b64 exec, exec, s[16:17]
	v_mov_b32_e32 v4, 0
	s_and_saveexec_b64 s[16:17], s[4:5]
	s_cbranch_execnz .LBB20_71
	s_branch .LBB20_72
.LBB20_312:
	s_mov_b64 s[2:3], -1
	s_mov_b64 s[0:1], 0
	s_mov_b64 s[22:23], s[18:19]
                                        ; implicit-def: $vgpr2
	s_branch .LBB20_317
.LBB20_313:
	s_mov_b64 s[4:5], -1
	s_mov_b64 s[2:3], 0
	s_mov_b64 s[0:1], s[16:17]
	s_branch .LBB20_327
.LBB20_314:
	s_andn2_saveexec_b64 s[16:17], s[16:17]
	s_cbranch_execz .LBB20_83
.LBB20_315:
	s_mov_b32 s26, 0x42800000
	v_add_f32_e64 v1, |v0|, s26
	v_and_b32_e32 v1, 0xff, v1
	v_cmp_ne_u32_e32 vcc, 0, v1
	s_andn2_b64 s[4:5], s[4:5], exec
	s_and_b64 s[26:27], vcc, exec
	s_or_b64 s[4:5], s[4:5], s[26:27]
	s_or_b64 exec, exec, s[16:17]
	v_mov_b32_e32 v4, 0
	s_and_saveexec_b64 s[16:17], s[4:5]
	s_cbranch_execnz .LBB20_84
	s_branch .LBB20_85
.LBB20_316:
	s_mov_b64 s[22:23], -1
                                        ; implicit-def: $vgpr2
	s_mov_b64 s[0:1], 0
.LBB20_317:
	s_and_b64 vcc, exec, s[2:3]
	s_cbranch_vccz .LBB20_433
; %bb.318:
	s_cmp_eq_u32 s24, 44
	s_cbranch_scc0 .LBB20_432
; %bb.319:
	global_load_ubyte v2, v[0:1], off
	s_movk_i32 s2, 0xff
	v_mov_b32_e32 v3, 0x7f800001
	v_mov_b32_e32 v4, 0x400000
	s_mov_b64 s[0:1], -1
	s_mov_b64 s[22:23], 0
	s_waitcnt vmcnt(0)
	v_lshlrev_b32_e32 v5, 23, v2
	v_cmp_ne_u32_e32 vcc, s2, v2
	v_cndmask_b32_e32 v3, v3, v5, vcc
	v_cmp_ne_u32_e32 vcc, 0, v2
	v_cndmask_b32_e32 v2, v4, v3, vcc
	s_branch .LBB20_433
.LBB20_320:
	s_mov_b64 s[4:5], -1
	s_mov_b64 s[2:3], 0
	s_mov_b64 s[0:1], s[16:17]
.LBB20_321:
	s_and_b64 vcc, exec, s[4:5]
	s_cbranch_vccz .LBB20_326
; %bb.322:
	s_cmp_eq_u32 s29, 44
	s_mov_b64 s[0:1], -1
	s_cbranch_scc0 .LBB20_326
; %bb.323:
	v_bfe_u32 v1, v0, 23, 8
	s_movk_i32 s0, 0xff
	v_cmp_ne_u32_e32 vcc, s0, v1
	v_mov_b32_e32 v4, 0xff
	s_and_saveexec_b64 s[2:3], vcc
; %bb.324:
	s_mov_b32 s0, 0x3fffff
	v_and_b32_e32 v5, 0x400000, v0
	v_and_or_b32 v1, v0, s0, v1
	v_cmp_ne_u32_e32 vcc, 0, v5
	v_cmp_ne_u32_e64 s[0:1], 0, v1
	s_and_b64 s[0:1], vcc, s[0:1]
	v_lshrrev_b32_e32 v4, 23, v0
	v_cndmask_b32_e64 v1, 0, 1, s[0:1]
	v_add_u32_e32 v4, v4, v1
; %bb.325:
	s_or_b64 exec, exec, s[2:3]
	s_mov_b64 s[2:3], -1
	s_mov_b64 s[0:1], 0
	global_store_byte v[2:3], v4, off
.LBB20_326:
	s_mov_b64 s[4:5], 0
.LBB20_327:
	s_and_b64 vcc, exec, s[4:5]
	s_cbranch_vccz .LBB20_330
; %bb.328:
	s_cmp_eq_u32 s29, 29
	s_mov_b64 s[0:1], -1
	s_cbranch_scc0 .LBB20_330
; %bb.329:
	v_trunc_f32_e32 v1, v0
	v_mul_f32_e32 v4, 0x2f800000, v1
	v_floor_f32_e32 v4, v4
	v_fmac_f32_e32 v1, 0xcf800000, v4
	v_cvt_u32_f32_e32 v5, v4
	v_cvt_u32_f32_e32 v4, v1
	s_mov_b64 s[2:3], -1
	s_mov_b64 s[0:1], 0
	s_mov_b64 s[4:5], 0
	global_store_dwordx2 v[2:3], v[4:5], off
	s_branch .LBB20_331
.LBB20_330:
	s_mov_b64 s[4:5], 0
.LBB20_331:
	s_and_b64 vcc, exec, s[4:5]
	s_cbranch_vccz .LBB20_347
; %bb.332:
	s_cmp_lt_i32 s29, 27
	s_mov_b64 s[2:3], -1
	s_cbranch_scc1 .LBB20_338
; %bb.333:
	v_cvt_u32_f32_e32 v1, v0
	s_cmp_gt_i32 s29, 27
	s_cbranch_scc0 .LBB20_335
; %bb.334:
	s_mov_b64 s[2:3], 0
	global_store_dword v[2:3], v1, off
.LBB20_335:
	s_andn2_b64 vcc, exec, s[2:3]
	s_cbranch_vccnz .LBB20_337
; %bb.336:
	global_store_short v[2:3], v1, off
.LBB20_337:
	s_mov_b64 s[2:3], 0
.LBB20_338:
	s_andn2_b64 vcc, exec, s[2:3]
	s_cbranch_vccnz .LBB20_346
; %bb.339:
	v_and_b32_e32 v1, 0x7fffffff, v0
	s_mov_b32 s2, 0x43800000
	v_cmp_gt_u32_e32 vcc, s2, v1
	v_mov_b32_e32 v4, 0x80
	s_and_saveexec_b64 s[2:3], vcc
	s_cbranch_execz .LBB20_345
; %bb.340:
	s_mov_b32 s4, 0x3bffffff
	v_cmp_lt_u32_e32 vcc, s4, v1
	s_mov_b64 s[4:5], 0
                                        ; implicit-def: $vgpr1
	s_and_saveexec_b64 s[24:25], vcc
	s_xor_b64 s[24:25], exec, s[24:25]
	s_cbranch_execz .LBB20_557
; %bb.341:
	v_bfe_u32 v1, v0, 20, 1
	s_mov_b32 s30, 0x487ffff
	v_add3_u32 v1, v0, v1, s30
	s_mov_b64 s[4:5], exec
	v_lshrrev_b32_e32 v1, 20, v1
	s_andn2_saveexec_b64 s[24:25], s[24:25]
	s_cbranch_execnz .LBB20_558
.LBB20_342:
	s_or_b64 exec, exec, s[24:25]
	v_mov_b32_e32 v4, 0
	s_and_saveexec_b64 s[24:25], s[4:5]
.LBB20_343:
	v_lshrrev_b32_e32 v4, 24, v0
	s_movk_i32 s4, 0x80
	v_and_or_b32 v4, v4, s4, v1
.LBB20_344:
	s_or_b64 exec, exec, s[24:25]
.LBB20_345:
	s_or_b64 exec, exec, s[2:3]
	global_store_byte v[2:3], v4, off
.LBB20_346:
	s_mov_b64 s[2:3], -1
.LBB20_347:
	s_mov_b64 s[4:5], 0
.LBB20_348:
	s_and_b64 vcc, exec, s[4:5]
	s_cbranch_vccz .LBB20_389
; %bb.349:
	s_cmp_gt_i32 s29, 22
	s_mov_b64 s[4:5], -1
	s_cbranch_scc0 .LBB20_381
; %bb.350:
	s_cmp_lt_i32 s29, 24
	s_mov_b64 s[2:3], -1
	s_cbranch_scc1 .LBB20_370
; %bb.351:
	s_cmp_gt_i32 s29, 24
	s_cbranch_scc0 .LBB20_359
; %bb.352:
	v_and_b32_e32 v1, 0x7fffffff, v0
	s_mov_b32 s2, 0x47800000
	v_cmp_gt_u32_e32 vcc, s2, v1
	v_mov_b32_e32 v4, 0x80
	s_and_saveexec_b64 s[2:3], vcc
	s_cbranch_execz .LBB20_358
; %bb.353:
	s_mov_b32 s4, 0x37ffffff
	v_cmp_lt_u32_e32 vcc, s4, v1
	s_mov_b64 s[4:5], 0
                                        ; implicit-def: $vgpr1
	s_and_saveexec_b64 s[24:25], vcc
	s_xor_b64 s[24:25], exec, s[24:25]
	s_cbranch_execz .LBB20_560
; %bb.354:
	v_bfe_u32 v1, v0, 21, 1
	s_mov_b32 s30, 0x88fffff
	v_add3_u32 v1, v0, v1, s30
	s_mov_b64 s[4:5], exec
	v_lshrrev_b32_e32 v1, 21, v1
	s_andn2_saveexec_b64 s[24:25], s[24:25]
	s_cbranch_execnz .LBB20_561
.LBB20_355:
	s_or_b64 exec, exec, s[24:25]
	v_mov_b32_e32 v4, 0
	s_and_saveexec_b64 s[24:25], s[4:5]
.LBB20_356:
	v_lshrrev_b32_e32 v4, 24, v0
	s_movk_i32 s4, 0x80
	v_and_or_b32 v4, v4, s4, v1
.LBB20_357:
	s_or_b64 exec, exec, s[24:25]
.LBB20_358:
	s_or_b64 exec, exec, s[2:3]
	s_mov_b64 s[2:3], 0
	global_store_byte v[2:3], v4, off
.LBB20_359:
	s_and_b64 vcc, exec, s[2:3]
	s_cbranch_vccz .LBB20_369
; %bb.360:
	v_and_b32_e32 v4, 0x7fffffff, v0
	s_mov_b32 s2, 0x43f00000
	v_cmp_gt_u32_e32 vcc, s2, v4
                                        ; implicit-def: $vgpr1
	s_and_saveexec_b64 s[2:3], vcc
	s_xor_b64 s[2:3], exec, s[2:3]
	s_cbranch_execz .LBB20_366
; %bb.361:
	s_mov_b32 s4, 0x3c7fffff
	v_cmp_lt_u32_e32 vcc, s4, v4
                                        ; implicit-def: $vgpr1
	s_and_saveexec_b64 s[4:5], vcc
	s_xor_b64 s[4:5], exec, s[4:5]
; %bb.362:
	v_bfe_u32 v1, v0, 20, 1
	s_mov_b32 s24, 0x407ffff
	v_add3_u32 v1, v0, v1, s24
	v_lshrrev_b32_e32 v4, 20, v1
	v_and_b32_e32 v1, 0xff00000, v1
	s_mov_b32 s24, 0x7f00000
	v_mov_b32_e32 v5, 0x7e
	v_cmp_ne_u32_e32 vcc, s24, v1
	v_cndmask_b32_e32 v1, v5, v4, vcc
; %bb.363:
	s_andn2_saveexec_b64 s[4:5], s[4:5]
; %bb.364:
	s_mov_b32 s24, 0x46800000
	v_add_f32_e64 v1, |v0|, s24
; %bb.365:
	s_or_b64 exec, exec, s[4:5]
                                        ; implicit-def: $vgpr4
.LBB20_366:
	s_andn2_saveexec_b64 s[2:3], s[2:3]
; %bb.367:
	s_mov_b32 s4, 0x7f800000
	v_mov_b32_e32 v1, 0x7e
	v_mov_b32_e32 v5, 0x7f
	v_cmp_lt_u32_e32 vcc, s4, v4
	v_cndmask_b32_e32 v1, v1, v5, vcc
; %bb.368:
	s_or_b64 exec, exec, s[2:3]
	v_lshrrev_b32_e32 v4, 24, v0
	s_movk_i32 s2, 0x80
	v_and_or_b32 v1, v4, s2, v1
	global_store_byte v[2:3], v1, off
.LBB20_369:
	s_mov_b64 s[2:3], 0
.LBB20_370:
	s_andn2_b64 vcc, exec, s[2:3]
	s_cbranch_vccnz .LBB20_380
; %bb.371:
	v_and_b32_e32 v4, 0x7fffffff, v0
	s_mov_b32 s2, 0x47800000
	v_cmp_gt_u32_e32 vcc, s2, v4
                                        ; implicit-def: $vgpr1
	s_and_saveexec_b64 s[2:3], vcc
	s_xor_b64 s[2:3], exec, s[2:3]
	s_cbranch_execz .LBB20_377
; %bb.372:
	s_mov_b32 s4, 0x387fffff
	v_cmp_lt_u32_e32 vcc, s4, v4
                                        ; implicit-def: $vgpr1
	s_and_saveexec_b64 s[4:5], vcc
	s_xor_b64 s[4:5], exec, s[4:5]
; %bb.373:
	v_bfe_u32 v1, v0, 21, 1
	s_mov_b32 s24, 0x80fffff
	v_add3_u32 v1, v0, v1, s24
	v_lshrrev_b32_e32 v1, 21, v1
; %bb.374:
	s_andn2_saveexec_b64 s[4:5], s[4:5]
; %bb.375:
	s_mov_b32 s24, 0x43000000
	v_add_f32_e64 v1, |v0|, s24
; %bb.376:
	s_or_b64 exec, exec, s[4:5]
                                        ; implicit-def: $vgpr4
.LBB20_377:
	s_andn2_saveexec_b64 s[2:3], s[2:3]
; %bb.378:
	s_mov_b32 s4, 0x7f800000
	v_mov_b32_e32 v1, 0x7c
	v_mov_b32_e32 v5, 0x7f
	v_cmp_lt_u32_e32 vcc, s4, v4
	v_cndmask_b32_e32 v1, v1, v5, vcc
; %bb.379:
	s_or_b64 exec, exec, s[2:3]
	v_lshrrev_b32_e32 v4, 24, v0
	s_movk_i32 s2, 0x80
	v_and_or_b32 v1, v4, s2, v1
	global_store_byte v[2:3], v1, off
.LBB20_380:
	s_mov_b64 s[4:5], 0
	s_mov_b64 s[2:3], -1
.LBB20_381:
	s_andn2_b64 vcc, exec, s[4:5]
	s_cbranch_vccnz .LBB20_389
; %bb.382:
	s_cmp_gt_i32 s29, 14
	s_mov_b64 s[4:5], -1
	s_cbranch_scc0 .LBB20_386
; %bb.383:
	s_cmp_eq_u32 s29, 15
	s_mov_b64 s[0:1], -1
	s_cbranch_scc0 .LBB20_385
; %bb.384:
	v_bfe_u32 v1, v0, 16, 1
	s_movk_i32 s0, 0x7fff
	v_add3_u32 v1, v0, v1, s0
	v_cmp_o_f32_e32 vcc, v0, v0
	v_mov_b32_e32 v4, 0x7fc0
	v_cndmask_b32_sdwa v1, v4, v1, vcc dst_sel:DWORD dst_unused:UNUSED_PAD src0_sel:DWORD src1_sel:WORD_1
	global_store_short v[2:3], v1, off
	s_mov_b64 s[2:3], -1
	s_mov_b64 s[0:1], 0
.LBB20_385:
	s_mov_b64 s[4:5], 0
.LBB20_386:
	s_and_b64 vcc, exec, s[4:5]
	s_cbranch_vccz .LBB20_389
; %bb.387:
	s_cmp_eq_u32 s29, 11
	s_mov_b64 s[0:1], -1
	s_cbranch_scc0 .LBB20_389
; %bb.388:
	v_cmp_neq_f32_e32 vcc, 0, v0
	v_cndmask_b32_e64 v1, 0, 1, vcc
	s_mov_b64 s[2:3], -1
	s_mov_b64 s[0:1], 0
	global_store_byte v[2:3], v1, off
.LBB20_389:
	s_mov_b64 s[4:5], 0
.LBB20_390:
	s_and_b64 vcc, exec, s[4:5]
	s_cbranch_vccz .LBB20_429
; %bb.391:
	s_and_b32 s4, 0xffff, s28
	s_cmp_lt_i32 s4, 5
	s_mov_b64 s[2:3], -1
	s_cbranch_scc1 .LBB20_412
; %bb.392:
	s_cmp_lt_i32 s4, 8
	s_cbranch_scc1 .LBB20_402
; %bb.393:
	s_cmp_lt_i32 s4, 9
	s_cbranch_scc1 .LBB20_399
; %bb.394:
	s_cmp_gt_i32 s4, 9
	s_cbranch_scc0 .LBB20_396
; %bb.395:
	v_cvt_f64_f32_e32 v[8:9], v0
	v_mov_b32_e32 v10, 0
	v_mov_b32_e32 v11, v10
	s_mov_b64 s[2:3], 0
	global_store_dwordx4 v[2:3], v[8:11], off
.LBB20_396:
	s_andn2_b64 vcc, exec, s[2:3]
	s_cbranch_vccnz .LBB20_398
; %bb.397:
	v_mov_b32_e32 v1, 0
	global_store_dwordx2 v[2:3], v[0:1], off
.LBB20_398:
	s_mov_b64 s[2:3], 0
.LBB20_399:
	s_andn2_b64 vcc, exec, s[2:3]
	s_cbranch_vccnz .LBB20_401
; %bb.400:
	v_cvt_f16_f32_e32 v1, v0
	global_store_dword v[2:3], v1, off
.LBB20_401:
	s_mov_b64 s[2:3], 0
.LBB20_402:
	s_andn2_b64 vcc, exec, s[2:3]
	s_cbranch_vccnz .LBB20_411
; %bb.403:
	s_cmp_lt_i32 s4, 6
	s_mov_b64 s[2:3], -1
	s_cbranch_scc1 .LBB20_409
; %bb.404:
	s_cmp_gt_i32 s4, 6
	s_cbranch_scc0 .LBB20_406
; %bb.405:
	v_cvt_f64_f32_e32 v[4:5], v0
	s_mov_b64 s[2:3], 0
	global_store_dwordx2 v[2:3], v[4:5], off
.LBB20_406:
	s_andn2_b64 vcc, exec, s[2:3]
	s_cbranch_vccnz .LBB20_408
; %bb.407:
	global_store_dword v[2:3], v0, off
.LBB20_408:
	s_mov_b64 s[2:3], 0
.LBB20_409:
	s_andn2_b64 vcc, exec, s[2:3]
	s_cbranch_vccnz .LBB20_411
; %bb.410:
	v_cvt_f16_f32_e32 v1, v0
	global_store_short v[2:3], v1, off
.LBB20_411:
	s_mov_b64 s[2:3], 0
.LBB20_412:
	s_andn2_b64 vcc, exec, s[2:3]
	s_cbranch_vccnz .LBB20_428
; %bb.413:
	s_cmp_lt_i32 s4, 2
	s_mov_b64 s[2:3], -1
	s_cbranch_scc1 .LBB20_423
; %bb.414:
	s_cmp_lt_i32 s4, 3
	s_cbranch_scc1 .LBB20_420
; %bb.415:
	s_cmp_gt_i32 s4, 3
	s_cbranch_scc0 .LBB20_417
; %bb.416:
	v_trunc_f32_e32 v1, v0
	s_mov_b32 s2, 0x2f800000
	v_mul_f32_e64 v4, |v1|, s2
	v_floor_f32_e32 v4, v4
	s_mov_b32 s2, 0xcf800000
	v_cvt_u32_f32_e32 v5, v4
	v_fma_f32 v4, v4, s2, |v1|
	v_cvt_u32_f32_e32 v4, v4
	v_ashrrev_i32_e32 v1, 31, v1
	v_xor_b32_e32 v5, v5, v1
	s_mov_b64 s[2:3], 0
	v_xor_b32_e32 v4, v4, v1
	v_sub_co_u32_e32 v4, vcc, v4, v1
	v_subb_co_u32_e32 v5, vcc, v5, v1, vcc
	global_store_dwordx2 v[2:3], v[4:5], off
.LBB20_417:
	s_andn2_b64 vcc, exec, s[2:3]
	s_cbranch_vccnz .LBB20_419
; %bb.418:
	v_cvt_i32_f32_e32 v1, v0
	global_store_dword v[2:3], v1, off
.LBB20_419:
	s_mov_b64 s[2:3], 0
.LBB20_420:
	s_andn2_b64 vcc, exec, s[2:3]
	s_cbranch_vccnz .LBB20_422
; %bb.421:
	v_cvt_i32_f32_e32 v1, v0
	global_store_short v[2:3], v1, off
.LBB20_422:
	s_mov_b64 s[2:3], 0
.LBB20_423:
	s_andn2_b64 vcc, exec, s[2:3]
	s_cbranch_vccnz .LBB20_428
; %bb.424:
	s_cmp_gt_i32 s4, 0
	s_mov_b64 s[2:3], -1
	s_cbranch_scc0 .LBB20_426
; %bb.425:
	v_cvt_i32_f32_e32 v1, v0
	s_mov_b64 s[2:3], 0
	global_store_byte v[2:3], v1, off
.LBB20_426:
	s_andn2_b64 vcc, exec, s[2:3]
	s_cbranch_vccnz .LBB20_428
; %bb.427:
	v_trunc_f32_e32 v0, v0
	s_mov_b32 s2, 0x2f800000
	v_mul_f32_e64 v1, |v0|, s2
	v_floor_f32_e32 v1, v1
	s_mov_b32 s2, 0xcf800000
	v_fma_f32 v1, v1, s2, |v0|
	v_cvt_u32_f32_e32 v1, v1
	v_ashrrev_i32_e32 v0, 31, v0
	v_xor_b32_e32 v1, v1, v0
	v_sub_u32_e32 v0, v1, v0
	global_store_byte v[2:3], v0, off
.LBB20_428:
	s_mov_b64 s[2:3], -1
.LBB20_429:
	s_andn2_b64 vcc, exec, s[2:3]
	s_cbranch_vccnz .LBB20_431
; %bb.430:
	v_add_u32_e32 v7, 0x80, v7
	s_mov_b64 s[2:3], -1
	s_branch .LBB20_543
.LBB20_431:
	s_mov_b64 s[2:3], 0
                                        ; implicit-def: $vgpr7
	s_branch .LBB20_543
.LBB20_432:
	s_mov_b64 s[22:23], -1
                                        ; implicit-def: $vgpr2
.LBB20_433:
	s_mov_b64 s[2:3], 0
.LBB20_434:
	s_and_b64 vcc, exec, s[2:3]
	s_cbranch_vccz .LBB20_438
; %bb.435:
	s_cmp_eq_u32 s24, 29
	s_cbranch_scc0 .LBB20_437
; %bb.436:
	global_load_dwordx2 v[2:3], v[0:1], off
	s_mov_b64 s[0:1], -1
	s_mov_b64 s[22:23], 0
	s_mov_b64 s[2:3], 0
	s_waitcnt vmcnt(0)
	v_ffbh_u32_e32 v4, v3
	v_min_u32_e32 v4, 32, v4
	v_lshlrev_b64 v[2:3], v4, v[2:3]
	v_min_u32_e32 v2, 1, v2
	v_or_b32_e32 v2, v3, v2
	v_cvt_f32_u32_e32 v2, v2
	v_sub_u32_e32 v3, 32, v4
	v_ldexp_f32 v2, v2, v3
	s_branch .LBB20_439
.LBB20_437:
	s_mov_b64 s[22:23], -1
                                        ; implicit-def: $vgpr2
.LBB20_438:
	s_mov_b64 s[2:3], 0
.LBB20_439:
	s_and_b64 vcc, exec, s[2:3]
	s_cbranch_vccz .LBB20_457
; %bb.440:
	s_cmp_lt_i32 s24, 27
	s_cbranch_scc1 .LBB20_443
; %bb.441:
	s_cmp_gt_i32 s24, 27
	s_cbranch_scc0 .LBB20_444
; %bb.442:
	global_load_dword v2, v[0:1], off
	s_mov_b64 s[0:1], 0
	s_waitcnt vmcnt(0)
	v_cvt_f32_u32_e32 v2, v2
	s_branch .LBB20_445
.LBB20_443:
	s_mov_b64 s[0:1], -1
                                        ; implicit-def: $vgpr2
	s_branch .LBB20_448
.LBB20_444:
	s_mov_b64 s[0:1], -1
                                        ; implicit-def: $vgpr2
.LBB20_445:
	s_andn2_b64 vcc, exec, s[0:1]
	s_cbranch_vccnz .LBB20_447
; %bb.446:
	global_load_ushort v2, v[0:1], off
	s_waitcnt vmcnt(0)
	v_cvt_f32_u32_e32 v2, v2
.LBB20_447:
	s_mov_b64 s[0:1], 0
.LBB20_448:
	s_andn2_b64 vcc, exec, s[0:1]
	s_cbranch_vccnz .LBB20_456
; %bb.449:
	global_load_ubyte v3, v[0:1], off
	s_movk_i32 s0, 0x7f
	s_waitcnt vmcnt(0)
	v_cmp_lt_i16_e32 vcc, s0, v3
	s_mov_b64 s[0:1], 0
	s_and_saveexec_b64 s[2:3], vcc
	s_xor_b64 s[2:3], exec, s[2:3]
	s_cbranch_execz .LBB20_470
; %bb.450:
	s_movk_i32 s0, 0x80
	v_cmp_eq_u16_e32 vcc, s0, v3
	s_mov_b64 s[0:1], -1
	s_and_saveexec_b64 s[4:5], vcc
; %bb.451:
	s_xor_b64 s[0:1], exec, -1
; %bb.452:
	s_or_b64 exec, exec, s[4:5]
	s_and_b64 s[0:1], s[0:1], exec
	s_or_saveexec_b64 s[2:3], s[2:3]
	v_mov_b32_e32 v2, 0x7f800001
	s_xor_b64 exec, exec, s[2:3]
	s_cbranch_execnz .LBB20_471
.LBB20_453:
	s_or_b64 exec, exec, s[2:3]
	s_and_saveexec_b64 s[2:3], s[0:1]
	s_cbranch_execz .LBB20_455
.LBB20_454:
	v_lshlrev_b32_e32 v2, 24, v3
	v_and_b32_e32 v3, 0xffff, v3
	v_and_b32_e32 v4, 7, v3
	v_ffbh_u32_e32 v6, v4
	v_min_u32_e32 v6, 32, v6
	v_subrev_u32_e32 v8, 28, v6
	v_bfe_u32 v5, v3, 3, 4
	v_lshlrev_b32_e32 v3, v8, v3
	v_sub_u32_e32 v6, 29, v6
	v_and_b32_e32 v3, 7, v3
	v_cmp_eq_u32_e32 vcc, 0, v5
	v_cndmask_b32_e32 v5, v5, v6, vcc
	v_cndmask_b32_e32 v3, v4, v3, vcc
	v_mov_b32_e32 v4, 0x3b800000
	v_lshlrev_b32_e32 v3, 20, v3
	v_and_b32_e32 v2, 0x80000000, v2
	v_lshl_add_u32 v4, v5, 23, v4
	v_or3_b32 v2, v2, v4, v3
.LBB20_455:
	s_or_b64 exec, exec, s[2:3]
.LBB20_456:
	s_mov_b64 s[0:1], -1
.LBB20_457:
	s_mov_b64 s[2:3], 0
.LBB20_458:
	s_and_b64 vcc, exec, s[2:3]
	s_cbranch_vccz .LBB20_493
; %bb.459:
	s_cmp_gt_i32 s24, 22
	s_cbranch_scc0 .LBB20_469
; %bb.460:
	s_cmp_lt_i32 s24, 24
	s_cbranch_scc1 .LBB20_472
; %bb.461:
	s_cmp_gt_i32 s24, 24
	s_cbranch_scc0 .LBB20_473
; %bb.462:
	global_load_ubyte v3, v[0:1], off
	s_movk_i32 s0, 0x7f
	s_waitcnt vmcnt(0)
	v_cmp_lt_i16_e32 vcc, s0, v3
	s_mov_b64 s[0:1], 0
	s_and_saveexec_b64 s[2:3], vcc
	s_xor_b64 s[2:3], exec, s[2:3]
	s_cbranch_execz .LBB20_485
; %bb.463:
	s_movk_i32 s0, 0x80
	v_cmp_eq_u16_e32 vcc, s0, v3
	s_mov_b64 s[0:1], -1
	s_and_saveexec_b64 s[4:5], vcc
; %bb.464:
	s_xor_b64 s[0:1], exec, -1
; %bb.465:
	s_or_b64 exec, exec, s[4:5]
	s_and_b64 s[0:1], s[0:1], exec
	s_or_saveexec_b64 s[2:3], s[2:3]
	v_mov_b32_e32 v2, 0x7f800001
	s_xor_b64 exec, exec, s[2:3]
	s_cbranch_execnz .LBB20_486
.LBB20_466:
	s_or_b64 exec, exec, s[2:3]
	s_and_saveexec_b64 s[2:3], s[0:1]
	s_cbranch_execz .LBB20_468
.LBB20_467:
	v_lshlrev_b32_e32 v2, 24, v3
	v_and_b32_e32 v3, 0xffff, v3
	v_and_b32_e32 v4, 3, v3
	v_ffbh_u32_e32 v6, v4
	v_min_u32_e32 v6, 32, v6
	v_subrev_u32_e32 v8, 29, v6
	v_bfe_u32 v5, v3, 2, 5
	v_lshlrev_b32_e32 v3, v8, v3
	v_sub_u32_e32 v6, 30, v6
	v_and_b32_e32 v3, 3, v3
	v_cmp_eq_u32_e32 vcc, 0, v5
	v_cndmask_b32_e32 v5, v5, v6, vcc
	v_cndmask_b32_e32 v3, v4, v3, vcc
	v_mov_b32_e32 v4, 0x37800000
	v_lshlrev_b32_e32 v3, 21, v3
	v_and_b32_e32 v2, 0x80000000, v2
	v_lshl_add_u32 v4, v5, 23, v4
	v_or3_b32 v2, v2, v4, v3
.LBB20_468:
	s_or_b64 exec, exec, s[2:3]
	s_mov_b64 s[0:1], 0
	s_branch .LBB20_474
.LBB20_469:
	s_mov_b64 s[2:3], -1
                                        ; implicit-def: $vgpr2
	s_branch .LBB20_480
.LBB20_470:
	s_or_saveexec_b64 s[2:3], s[2:3]
	v_mov_b32_e32 v2, 0x7f800001
	s_xor_b64 exec, exec, s[2:3]
	s_cbranch_execz .LBB20_453
.LBB20_471:
	v_cmp_ne_u16_e32 vcc, 0, v3
	s_andn2_b64 s[0:1], s[0:1], exec
	s_and_b64 s[4:5], vcc, exec
	v_mov_b32_e32 v2, 0
	s_or_b64 s[0:1], s[0:1], s[4:5]
	s_or_b64 exec, exec, s[2:3]
	s_and_saveexec_b64 s[2:3], s[0:1]
	s_cbranch_execnz .LBB20_454
	s_branch .LBB20_455
.LBB20_472:
	s_mov_b64 s[0:1], -1
                                        ; implicit-def: $vgpr2
	s_branch .LBB20_477
.LBB20_473:
	s_mov_b64 s[0:1], -1
                                        ; implicit-def: $vgpr2
.LBB20_474:
	s_and_b64 vcc, exec, s[0:1]
	s_cbranch_vccz .LBB20_476
; %bb.475:
	global_load_ubyte v2, v[0:1], off
	s_mov_b32 s0, 0x7f800000
	s_waitcnt vmcnt(0)
	v_lshlrev_b32_e32 v2, 24, v2
	v_and_b32_e32 v3, 0x7f000000, v2
	v_ffbh_u32_e32 v4, v3
	v_min_u32_e32 v4, 32, v4
	v_sub_u32_e64 v4, v4, 4 clamp
	v_lshlrev_b32_e32 v6, v4, v3
	v_lshlrev_b32_e32 v4, 23, v4
	v_lshrrev_b32_e32 v6, 4, v6
	v_add_u32_e32 v5, 0x1000000, v3
	v_sub_u32_e32 v4, v6, v4
	v_ashrrev_i32_e32 v5, 8, v5
	v_add_u32_e32 v4, 0x3c000000, v4
	v_and_or_b32 v4, v5, s0, v4
	v_cmp_ne_u32_e32 vcc, 0, v3
	v_cndmask_b32_e32 v3, 0, v4, vcc
	s_brev_b32 s0, 1
	v_and_or_b32 v2, v2, s0, v3
.LBB20_476:
	s_mov_b64 s[0:1], 0
.LBB20_477:
	s_andn2_b64 vcc, exec, s[0:1]
	s_cbranch_vccnz .LBB20_479
; %bb.478:
	global_load_ubyte v2, v[0:1], off
	s_movk_i32 s0, 0x7f00
	s_brev_b32 s1, 16
	s_waitcnt vmcnt(0)
	v_lshlrev_b16_e32 v3, 8, v2
	v_lshlrev_b32_e32 v2, 25, v2
	v_lshrrev_b32_e32 v4, 4, v2
	v_and_or_b32 v5, v3, s0, 0.5
	v_or_b32_e32 v4, 0x70000000, v4
	v_add_f32_e32 v5, -0.5, v5
	v_mul_f32_e32 v4, 0x7800000, v4
	v_cmp_gt_u32_e32 vcc, s1, v2
	v_bfe_i32 v3, v3, 0, 16
	v_cndmask_b32_e32 v2, v4, v5, vcc
	s_brev_b32 s0, 1
	v_and_or_b32 v2, v3, s0, v2
.LBB20_479:
	s_mov_b64 s[2:3], 0
	s_mov_b64 s[0:1], -1
.LBB20_480:
	s_andn2_b64 vcc, exec, s[2:3]
	s_cbranch_vccnz .LBB20_493
; %bb.481:
	s_cmp_gt_i32 s24, 14
	s_cbranch_scc0 .LBB20_484
; %bb.482:
	s_cmp_eq_u32 s24, 15
	s_cbranch_scc0 .LBB20_487
; %bb.483:
	global_load_ushort v2, v[0:1], off
	s_mov_b64 s[0:1], -1
	s_mov_b64 s[22:23], 0
	s_waitcnt vmcnt(0)
	v_lshlrev_b32_e32 v2, 16, v2
	s_branch .LBB20_488
.LBB20_484:
	s_mov_b64 s[2:3], -1
                                        ; implicit-def: $vgpr2
	s_branch .LBB20_489
.LBB20_485:
	s_or_saveexec_b64 s[2:3], s[2:3]
	v_mov_b32_e32 v2, 0x7f800001
	s_xor_b64 exec, exec, s[2:3]
	s_cbranch_execz .LBB20_466
.LBB20_486:
	v_cmp_ne_u16_e32 vcc, 0, v3
	s_andn2_b64 s[0:1], s[0:1], exec
	s_and_b64 s[4:5], vcc, exec
	v_mov_b32_e32 v2, 0
	s_or_b64 s[0:1], s[0:1], s[4:5]
	s_or_b64 exec, exec, s[2:3]
	s_and_saveexec_b64 s[2:3], s[0:1]
	s_cbranch_execnz .LBB20_467
	s_branch .LBB20_468
.LBB20_487:
	s_mov_b64 s[22:23], -1
                                        ; implicit-def: $vgpr2
.LBB20_488:
	s_mov_b64 s[2:3], 0
.LBB20_489:
	s_and_b64 vcc, exec, s[2:3]
	s_cbranch_vccz .LBB20_493
; %bb.490:
	s_cmp_eq_u32 s24, 11
	s_cbranch_scc0 .LBB20_492
; %bb.491:
	global_load_ubyte v2, v[0:1], off
	s_mov_b64 s[0:1], -1
	s_mov_b64 s[22:23], 0
	s_waitcnt vmcnt(0)
	v_cmp_ne_u16_e32 vcc, 0, v2
	v_cndmask_b32_e64 v2, 0, 1.0, vcc
	s_branch .LBB20_493
.LBB20_492:
	s_mov_b64 s[22:23], -1
                                        ; implicit-def: $vgpr2
.LBB20_493:
	s_branch .LBB20_280
.LBB20_494:
	s_cmp_lt_i32 s24, 5
	s_cbranch_scc1 .LBB20_499
; %bb.495:
	s_cmp_lt_i32 s24, 8
	s_cbranch_scc1 .LBB20_500
; %bb.496:
	;; [unrolled: 3-line block ×3, first 2 shown]
	s_cmp_gt_i32 s24, 9
	s_cbranch_scc0 .LBB20_502
; %bb.498:
	global_load_dwordx2 v[2:3], v[0:1], off
	s_mov_b64 s[0:1], 0
	s_waitcnt vmcnt(0)
	v_cvt_f32_f64_e32 v2, v[2:3]
	s_branch .LBB20_503
.LBB20_499:
	s_mov_b64 s[0:1], -1
                                        ; implicit-def: $vgpr2
	s_branch .LBB20_521
.LBB20_500:
	s_mov_b64 s[0:1], -1
                                        ; implicit-def: $vgpr2
	s_branch .LBB20_509
.LBB20_501:
	s_mov_b64 s[0:1], -1
                                        ; implicit-def: $vgpr2
	s_branch .LBB20_506
.LBB20_502:
	s_mov_b64 s[0:1], -1
                                        ; implicit-def: $vgpr2
.LBB20_503:
	s_andn2_b64 vcc, exec, s[0:1]
	s_cbranch_vccnz .LBB20_505
; %bb.504:
	global_load_dword v2, v[0:1], off
.LBB20_505:
	s_mov_b64 s[0:1], 0
.LBB20_506:
	s_andn2_b64 vcc, exec, s[0:1]
	s_cbranch_vccnz .LBB20_508
; %bb.507:
	global_load_dword v2, v[0:1], off
	s_waitcnt vmcnt(0)
	v_cvt_f32_f16_e32 v2, v2
.LBB20_508:
	s_mov_b64 s[0:1], 0
.LBB20_509:
	s_andn2_b64 vcc, exec, s[0:1]
	s_cbranch_vccnz .LBB20_520
; %bb.510:
	s_cmp_lt_i32 s24, 6
	s_cbranch_scc1 .LBB20_513
; %bb.511:
	s_cmp_gt_i32 s24, 6
	s_cbranch_scc0 .LBB20_514
; %bb.512:
	global_load_dwordx2 v[2:3], v[0:1], off
	s_mov_b64 s[0:1], 0
	s_waitcnt vmcnt(0)
	v_cvt_f32_f64_e32 v2, v[2:3]
	s_branch .LBB20_515
.LBB20_513:
	s_mov_b64 s[0:1], -1
                                        ; implicit-def: $vgpr2
	s_branch .LBB20_518
.LBB20_514:
	s_mov_b64 s[0:1], -1
                                        ; implicit-def: $vgpr2
.LBB20_515:
	s_andn2_b64 vcc, exec, s[0:1]
	s_cbranch_vccnz .LBB20_517
; %bb.516:
	global_load_dword v2, v[0:1], off
.LBB20_517:
	s_mov_b64 s[0:1], 0
.LBB20_518:
	s_andn2_b64 vcc, exec, s[0:1]
	s_cbranch_vccnz .LBB20_520
; %bb.519:
	global_load_ushort v2, v[0:1], off
	s_waitcnt vmcnt(0)
	v_cvt_f32_f16_e32 v2, v2
.LBB20_520:
	s_mov_b64 s[0:1], 0
.LBB20_521:
	s_andn2_b64 vcc, exec, s[0:1]
	s_cbranch_vccnz .LBB20_541
; %bb.522:
	s_cmp_lt_i32 s24, 2
	s_cbranch_scc1 .LBB20_526
; %bb.523:
	s_cmp_lt_i32 s24, 3
	s_cbranch_scc1 .LBB20_527
; %bb.524:
	s_cmp_gt_i32 s24, 3
	s_cbranch_scc0 .LBB20_528
; %bb.525:
	global_load_dwordx2 v[2:3], v[0:1], off
	s_mov_b64 s[0:1], 0
	s_waitcnt vmcnt(0)
	v_xor_b32_e32 v5, v2, v3
	v_ffbh_i32_e32 v4, v3
	v_ashrrev_i32_e32 v5, 31, v5
	v_add_u32_e32 v4, -1, v4
	v_add_u32_e32 v5, 32, v5
	v_min_u32_e32 v4, v4, v5
	v_lshlrev_b64 v[2:3], v4, v[2:3]
	v_min_u32_e32 v2, 1, v2
	v_or_b32_e32 v2, v3, v2
	v_cvt_f32_i32_e32 v2, v2
	v_sub_u32_e32 v3, 32, v4
	v_ldexp_f32 v2, v2, v3
	s_branch .LBB20_529
.LBB20_526:
	s_mov_b64 s[0:1], -1
                                        ; implicit-def: $vgpr2
	s_branch .LBB20_535
.LBB20_527:
	s_mov_b64 s[0:1], -1
                                        ; implicit-def: $vgpr2
	s_branch .LBB20_532
.LBB20_528:
	s_mov_b64 s[0:1], -1
                                        ; implicit-def: $vgpr2
.LBB20_529:
	s_andn2_b64 vcc, exec, s[0:1]
	s_cbranch_vccnz .LBB20_531
; %bb.530:
	global_load_dword v2, v[0:1], off
	s_waitcnt vmcnt(0)
	v_cvt_f32_i32_e32 v2, v2
.LBB20_531:
	s_mov_b64 s[0:1], 0
.LBB20_532:
	s_andn2_b64 vcc, exec, s[0:1]
	s_cbranch_vccnz .LBB20_534
; %bb.533:
	global_load_sshort v2, v[0:1], off
	s_waitcnt vmcnt(0)
	v_cvt_f32_i32_e32 v2, v2
.LBB20_534:
	s_mov_b64 s[0:1], 0
.LBB20_535:
	s_andn2_b64 vcc, exec, s[0:1]
	s_cbranch_vccnz .LBB20_541
; %bb.536:
	s_cmp_gt_i32 s24, 0
	s_cbranch_scc0 .LBB20_538
; %bb.537:
	global_load_sbyte v2, v[0:1], off
	s_mov_b64 s[0:1], 0
	s_waitcnt vmcnt(0)
	v_cvt_f32_i32_e32 v2, v2
	s_branch .LBB20_539
.LBB20_538:
	s_mov_b64 s[0:1], -1
                                        ; implicit-def: $vgpr2
.LBB20_539:
	s_andn2_b64 vcc, exec, s[0:1]
	s_cbranch_vccnz .LBB20_541
; %bb.540:
	global_load_ubyte v0, v[0:1], off
	s_waitcnt vmcnt(0)
	v_cvt_f32_ubyte0_e32 v2, v0
.LBB20_541:
	s_branch .LBB20_281
.LBB20_542:
	s_mov_b64 s[2:3], 0
                                        ; implicit-def: $vgpr7
	s_mov_b64 s[0:1], s[16:17]
.LBB20_543:
	s_andn2_b64 s[4:5], s[16:17], exec
	s_and_b64 s[0:1], s[0:1], exec
	s_or_b64 s[24:25], s[4:5], s[0:1]
	s_andn2_b64 s[0:1], s[18:19], exec
	s_and_b64 s[4:5], s[22:23], exec
	s_or_b64 s[22:23], s[0:1], s[4:5]
	s_orn2_b64 s[0:1], s[2:3], exec
.LBB20_544:
	s_or_b64 exec, exec, s[26:27]
	s_mov_b64 s[2:3], 0
	s_mov_b64 s[4:5], 0
	;; [unrolled: 1-line block ×3, first 2 shown]
                                        ; implicit-def: $vgpr0_vgpr1
                                        ; implicit-def: $vgpr4
	s_and_saveexec_b64 s[26:27], s[0:1]
	s_cbranch_execz .LBB20_905
; %bb.545:
	v_cmp_gt_i32_e32 vcc, s40, v7
	s_mov_b64 s[34:35], -1
	s_mov_b64 s[0:1], s[22:23]
	s_mov_b64 s[2:3], s[24:25]
	s_and_saveexec_b64 s[28:29], vcc
	s_cbranch_execz .LBB20_819
; %bb.546:
	v_mul_lo_u32 v0, v7, s13
	v_mov_b32_e32 v1, s11
	s_and_b32 s34, 0xffff, s42
	s_cmp_lt_i32 s34, 11
	s_waitcnt vmcnt(0)
	v_ashrrev_i32_e32 v2, 31, v0
	v_add_co_u32_e32 v0, vcc, s10, v0
	v_addc_co_u32_e32 v1, vcc, v1, v2, vcc
	s_cbranch_scc1 .LBB20_553
; %bb.547:
	s_cmp_gt_i32 s34, 25
	s_cbranch_scc0 .LBB20_554
; %bb.548:
	s_cmp_gt_i32 s34, 28
	s_cbranch_scc0 .LBB20_555
	;; [unrolled: 3-line block ×4, first 2 shown]
; %bb.551:
	s_cmp_eq_u32 s34, 46
	s_mov_b64 s[2:3], 0
	s_cbranch_scc0 .LBB20_562
; %bb.552:
	global_load_dword v2, v[0:1], off
	s_mov_b64 s[0:1], -1
	s_mov_b64 s[30:31], 0
	s_waitcnt vmcnt(0)
	v_lshlrev_b32_e32 v2, 16, v2
	s_branch .LBB20_563
.LBB20_553:
	s_mov_b64 s[2:3], -1
	s_mov_b64 s[0:1], 0
                                        ; implicit-def: $vgpr2
	s_mov_b64 s[30:31], s[22:23]
	s_branch .LBB20_628
.LBB20_554:
	s_mov_b64 s[2:3], -1
	s_mov_b64 s[0:1], 0
	s_mov_b64 s[30:31], s[22:23]
                                        ; implicit-def: $vgpr2
	s_branch .LBB20_592
.LBB20_555:
	s_mov_b64 s[2:3], -1
	s_mov_b64 s[0:1], 0
	s_mov_b64 s[30:31], s[22:23]
                                        ; implicit-def: $vgpr2
	s_branch .LBB20_573
.LBB20_556:
	s_mov_b64 s[2:3], -1
	s_mov_b64 s[0:1], 0
	s_mov_b64 s[30:31], s[22:23]
                                        ; implicit-def: $vgpr2
	s_branch .LBB20_568
.LBB20_557:
	s_andn2_saveexec_b64 s[24:25], s[24:25]
	s_cbranch_execz .LBB20_342
.LBB20_558:
	s_mov_b32 s30, 0x46000000
	v_add_f32_e64 v1, |v0|, s30
	v_and_b32_e32 v1, 0xff, v1
	v_cmp_ne_u32_e32 vcc, 0, v1
	s_andn2_b64 s[4:5], s[4:5], exec
	s_and_b64 s[30:31], vcc, exec
	s_or_b64 s[4:5], s[4:5], s[30:31]
	s_or_b64 exec, exec, s[24:25]
	v_mov_b32_e32 v4, 0
	s_and_saveexec_b64 s[24:25], s[4:5]
	s_cbranch_execnz .LBB20_343
	s_branch .LBB20_344
.LBB20_559:
	s_mov_b64 s[2:3], -1
	s_mov_b64 s[0:1], 0
	s_mov_b64 s[30:31], s[22:23]
                                        ; implicit-def: $vgpr2
	s_branch .LBB20_563
.LBB20_560:
	s_andn2_saveexec_b64 s[24:25], s[24:25]
	s_cbranch_execz .LBB20_355
.LBB20_561:
	s_mov_b32 s30, 0x42800000
	v_add_f32_e64 v1, |v0|, s30
	v_and_b32_e32 v1, 0xff, v1
	v_cmp_ne_u32_e32 vcc, 0, v1
	s_andn2_b64 s[4:5], s[4:5], exec
	s_and_b64 s[30:31], vcc, exec
	s_or_b64 s[4:5], s[4:5], s[30:31]
	s_or_b64 exec, exec, s[24:25]
	v_mov_b32_e32 v4, 0
	s_and_saveexec_b64 s[24:25], s[4:5]
	s_cbranch_execnz .LBB20_356
	s_branch .LBB20_357
.LBB20_562:
	s_mov_b64 s[30:31], -1
                                        ; implicit-def: $vgpr2
	s_mov_b64 s[0:1], 0
.LBB20_563:
	s_and_b64 vcc, exec, s[2:3]
	s_cbranch_vccz .LBB20_567
; %bb.564:
	s_cmp_eq_u32 s34, 44
	s_cbranch_scc0 .LBB20_566
; %bb.565:
	global_load_ubyte v2, v[0:1], off
	s_movk_i32 s2, 0xff
	v_mov_b32_e32 v3, 0x7f800001
	v_mov_b32_e32 v4, 0x400000
	s_mov_b64 s[0:1], -1
	s_mov_b64 s[30:31], 0
	s_waitcnt vmcnt(0)
	v_lshlrev_b32_e32 v5, 23, v2
	v_cmp_ne_u32_e32 vcc, s2, v2
	v_cndmask_b32_e32 v3, v3, v5, vcc
	v_cmp_ne_u32_e32 vcc, 0, v2
	v_cndmask_b32_e32 v2, v4, v3, vcc
	s_branch .LBB20_567
.LBB20_566:
	s_mov_b64 s[30:31], -1
                                        ; implicit-def: $vgpr2
.LBB20_567:
	s_mov_b64 s[2:3], 0
.LBB20_568:
	s_and_b64 vcc, exec, s[2:3]
	s_cbranch_vccz .LBB20_572
; %bb.569:
	s_cmp_eq_u32 s34, 29
	s_cbranch_scc0 .LBB20_571
; %bb.570:
	global_load_dwordx2 v[2:3], v[0:1], off
	s_mov_b64 s[0:1], -1
	s_mov_b64 s[30:31], 0
	s_mov_b64 s[2:3], 0
	s_waitcnt vmcnt(0)
	v_ffbh_u32_e32 v4, v3
	v_min_u32_e32 v4, 32, v4
	v_lshlrev_b64 v[2:3], v4, v[2:3]
	v_min_u32_e32 v2, 1, v2
	v_or_b32_e32 v2, v3, v2
	v_cvt_f32_u32_e32 v2, v2
	v_sub_u32_e32 v3, 32, v4
	v_ldexp_f32 v2, v2, v3
	s_branch .LBB20_573
.LBB20_571:
	s_mov_b64 s[30:31], -1
                                        ; implicit-def: $vgpr2
.LBB20_572:
	s_mov_b64 s[2:3], 0
.LBB20_573:
	s_and_b64 vcc, exec, s[2:3]
	s_cbranch_vccz .LBB20_591
; %bb.574:
	s_cmp_lt_i32 s34, 27
	s_cbranch_scc1 .LBB20_577
; %bb.575:
	s_cmp_gt_i32 s34, 27
	s_cbranch_scc0 .LBB20_578
; %bb.576:
	global_load_dword v2, v[0:1], off
	s_mov_b64 s[0:1], 0
	s_waitcnt vmcnt(0)
	v_cvt_f32_u32_e32 v2, v2
	s_branch .LBB20_579
.LBB20_577:
	s_mov_b64 s[0:1], -1
                                        ; implicit-def: $vgpr2
	s_branch .LBB20_582
.LBB20_578:
	s_mov_b64 s[0:1], -1
                                        ; implicit-def: $vgpr2
.LBB20_579:
	s_andn2_b64 vcc, exec, s[0:1]
	s_cbranch_vccnz .LBB20_581
; %bb.580:
	global_load_ushort v2, v[0:1], off
	s_waitcnt vmcnt(0)
	v_cvt_f32_u32_e32 v2, v2
.LBB20_581:
	s_mov_b64 s[0:1], 0
.LBB20_582:
	s_andn2_b64 vcc, exec, s[0:1]
	s_cbranch_vccnz .LBB20_590
; %bb.583:
	global_load_ubyte v3, v[0:1], off
	s_movk_i32 s0, 0x7f
	s_waitcnt vmcnt(0)
	v_cmp_lt_i16_e32 vcc, s0, v3
	s_mov_b64 s[0:1], 0
	s_and_saveexec_b64 s[2:3], vcc
	s_xor_b64 s[2:3], exec, s[2:3]
	s_cbranch_execz .LBB20_604
; %bb.584:
	s_movk_i32 s0, 0x80
	v_cmp_eq_u16_e32 vcc, s0, v3
	s_mov_b64 s[0:1], -1
	s_and_saveexec_b64 s[4:5], vcc
; %bb.585:
	s_xor_b64 s[0:1], exec, -1
; %bb.586:
	s_or_b64 exec, exec, s[4:5]
	s_and_b64 s[0:1], s[0:1], exec
	s_or_saveexec_b64 s[2:3], s[2:3]
	v_mov_b32_e32 v2, 0x7f800001
	s_xor_b64 exec, exec, s[2:3]
	s_cbranch_execnz .LBB20_605
.LBB20_587:
	s_or_b64 exec, exec, s[2:3]
	s_and_saveexec_b64 s[2:3], s[0:1]
	s_cbranch_execz .LBB20_589
.LBB20_588:
	v_lshlrev_b32_e32 v2, 24, v3
	v_and_b32_e32 v3, 0xffff, v3
	v_and_b32_e32 v4, 7, v3
	v_ffbh_u32_e32 v6, v4
	v_min_u32_e32 v6, 32, v6
	v_subrev_u32_e32 v8, 28, v6
	v_bfe_u32 v5, v3, 3, 4
	v_lshlrev_b32_e32 v3, v8, v3
	v_sub_u32_e32 v6, 29, v6
	v_and_b32_e32 v3, 7, v3
	v_cmp_eq_u32_e32 vcc, 0, v5
	v_cndmask_b32_e32 v5, v5, v6, vcc
	v_cndmask_b32_e32 v3, v4, v3, vcc
	v_mov_b32_e32 v4, 0x3b800000
	v_lshlrev_b32_e32 v3, 20, v3
	v_and_b32_e32 v2, 0x80000000, v2
	v_lshl_add_u32 v4, v5, 23, v4
	v_or3_b32 v2, v2, v4, v3
.LBB20_589:
	s_or_b64 exec, exec, s[2:3]
.LBB20_590:
	s_mov_b64 s[0:1], -1
.LBB20_591:
	s_mov_b64 s[2:3], 0
.LBB20_592:
	s_and_b64 vcc, exec, s[2:3]
	s_cbranch_vccz .LBB20_627
; %bb.593:
	s_cmp_gt_i32 s34, 22
	s_cbranch_scc0 .LBB20_603
; %bb.594:
	s_cmp_lt_i32 s34, 24
	s_cbranch_scc1 .LBB20_606
; %bb.595:
	s_cmp_gt_i32 s34, 24
	s_cbranch_scc0 .LBB20_607
; %bb.596:
	global_load_ubyte v3, v[0:1], off
	s_movk_i32 s0, 0x7f
	s_waitcnt vmcnt(0)
	v_cmp_lt_i16_e32 vcc, s0, v3
	s_mov_b64 s[0:1], 0
	s_and_saveexec_b64 s[2:3], vcc
	s_xor_b64 s[2:3], exec, s[2:3]
	s_cbranch_execz .LBB20_619
; %bb.597:
	s_movk_i32 s0, 0x80
	v_cmp_eq_u16_e32 vcc, s0, v3
	s_mov_b64 s[0:1], -1
	s_and_saveexec_b64 s[4:5], vcc
; %bb.598:
	s_xor_b64 s[0:1], exec, -1
; %bb.599:
	s_or_b64 exec, exec, s[4:5]
	s_and_b64 s[0:1], s[0:1], exec
	s_or_saveexec_b64 s[2:3], s[2:3]
	v_mov_b32_e32 v2, 0x7f800001
	s_xor_b64 exec, exec, s[2:3]
	s_cbranch_execnz .LBB20_620
.LBB20_600:
	s_or_b64 exec, exec, s[2:3]
	s_and_saveexec_b64 s[2:3], s[0:1]
	s_cbranch_execz .LBB20_602
.LBB20_601:
	v_lshlrev_b32_e32 v2, 24, v3
	v_and_b32_e32 v3, 0xffff, v3
	v_and_b32_e32 v4, 3, v3
	v_ffbh_u32_e32 v6, v4
	v_min_u32_e32 v6, 32, v6
	v_subrev_u32_e32 v8, 29, v6
	v_bfe_u32 v5, v3, 2, 5
	v_lshlrev_b32_e32 v3, v8, v3
	v_sub_u32_e32 v6, 30, v6
	v_and_b32_e32 v3, 3, v3
	v_cmp_eq_u32_e32 vcc, 0, v5
	v_cndmask_b32_e32 v5, v5, v6, vcc
	v_cndmask_b32_e32 v3, v4, v3, vcc
	v_mov_b32_e32 v4, 0x37800000
	v_lshlrev_b32_e32 v3, 21, v3
	v_and_b32_e32 v2, 0x80000000, v2
	v_lshl_add_u32 v4, v5, 23, v4
	v_or3_b32 v2, v2, v4, v3
.LBB20_602:
	s_or_b64 exec, exec, s[2:3]
	s_mov_b64 s[0:1], 0
	s_branch .LBB20_608
.LBB20_603:
	s_mov_b64 s[2:3], -1
                                        ; implicit-def: $vgpr2
	s_branch .LBB20_614
.LBB20_604:
	s_or_saveexec_b64 s[2:3], s[2:3]
	v_mov_b32_e32 v2, 0x7f800001
	s_xor_b64 exec, exec, s[2:3]
	s_cbranch_execz .LBB20_587
.LBB20_605:
	v_cmp_ne_u16_e32 vcc, 0, v3
	s_andn2_b64 s[0:1], s[0:1], exec
	s_and_b64 s[4:5], vcc, exec
	v_mov_b32_e32 v2, 0
	s_or_b64 s[0:1], s[0:1], s[4:5]
	s_or_b64 exec, exec, s[2:3]
	s_and_saveexec_b64 s[2:3], s[0:1]
	s_cbranch_execnz .LBB20_588
	s_branch .LBB20_589
.LBB20_606:
	s_mov_b64 s[0:1], -1
                                        ; implicit-def: $vgpr2
	s_branch .LBB20_611
.LBB20_607:
	s_mov_b64 s[0:1], -1
                                        ; implicit-def: $vgpr2
.LBB20_608:
	s_and_b64 vcc, exec, s[0:1]
	s_cbranch_vccz .LBB20_610
; %bb.609:
	global_load_ubyte v2, v[0:1], off
	s_mov_b32 s0, 0x7f800000
	s_waitcnt vmcnt(0)
	v_lshlrev_b32_e32 v2, 24, v2
	v_and_b32_e32 v3, 0x7f000000, v2
	v_ffbh_u32_e32 v4, v3
	v_min_u32_e32 v4, 32, v4
	v_sub_u32_e64 v4, v4, 4 clamp
	v_lshlrev_b32_e32 v6, v4, v3
	v_lshlrev_b32_e32 v4, 23, v4
	v_lshrrev_b32_e32 v6, 4, v6
	v_add_u32_e32 v5, 0x1000000, v3
	v_sub_u32_e32 v4, v6, v4
	v_ashrrev_i32_e32 v5, 8, v5
	v_add_u32_e32 v4, 0x3c000000, v4
	v_and_or_b32 v4, v5, s0, v4
	v_cmp_ne_u32_e32 vcc, 0, v3
	v_cndmask_b32_e32 v3, 0, v4, vcc
	s_brev_b32 s0, 1
	v_and_or_b32 v2, v2, s0, v3
.LBB20_610:
	s_mov_b64 s[0:1], 0
.LBB20_611:
	s_andn2_b64 vcc, exec, s[0:1]
	s_cbranch_vccnz .LBB20_613
; %bb.612:
	global_load_ubyte v2, v[0:1], off
	s_movk_i32 s0, 0x7f00
	s_brev_b32 s1, 16
	s_waitcnt vmcnt(0)
	v_lshlrev_b16_e32 v3, 8, v2
	v_lshlrev_b32_e32 v2, 25, v2
	v_lshrrev_b32_e32 v4, 4, v2
	v_and_or_b32 v5, v3, s0, 0.5
	v_or_b32_e32 v4, 0x70000000, v4
	v_add_f32_e32 v5, -0.5, v5
	v_mul_f32_e32 v4, 0x7800000, v4
	v_cmp_gt_u32_e32 vcc, s1, v2
	v_bfe_i32 v3, v3, 0, 16
	v_cndmask_b32_e32 v2, v4, v5, vcc
	s_brev_b32 s0, 1
	v_and_or_b32 v2, v3, s0, v2
.LBB20_613:
	s_mov_b64 s[2:3], 0
	s_mov_b64 s[0:1], -1
.LBB20_614:
	s_andn2_b64 vcc, exec, s[2:3]
	s_cbranch_vccnz .LBB20_627
; %bb.615:
	s_cmp_gt_i32 s34, 14
	s_cbranch_scc0 .LBB20_618
; %bb.616:
	s_cmp_eq_u32 s34, 15
	s_cbranch_scc0 .LBB20_621
; %bb.617:
	global_load_ushort v2, v[0:1], off
	s_mov_b64 s[0:1], -1
	s_mov_b64 s[30:31], 0
	s_waitcnt vmcnt(0)
	v_lshlrev_b32_e32 v2, 16, v2
	s_branch .LBB20_622
.LBB20_618:
	s_mov_b64 s[2:3], -1
                                        ; implicit-def: $vgpr2
	s_branch .LBB20_623
.LBB20_619:
	s_or_saveexec_b64 s[2:3], s[2:3]
	v_mov_b32_e32 v2, 0x7f800001
	s_xor_b64 exec, exec, s[2:3]
	s_cbranch_execz .LBB20_600
.LBB20_620:
	v_cmp_ne_u16_e32 vcc, 0, v3
	s_andn2_b64 s[0:1], s[0:1], exec
	s_and_b64 s[4:5], vcc, exec
	v_mov_b32_e32 v2, 0
	s_or_b64 s[0:1], s[0:1], s[4:5]
	s_or_b64 exec, exec, s[2:3]
	s_and_saveexec_b64 s[2:3], s[0:1]
	s_cbranch_execnz .LBB20_601
	s_branch .LBB20_602
.LBB20_621:
	s_mov_b64 s[30:31], -1
                                        ; implicit-def: $vgpr2
.LBB20_622:
	s_mov_b64 s[2:3], 0
.LBB20_623:
	s_and_b64 vcc, exec, s[2:3]
	s_cbranch_vccz .LBB20_627
; %bb.624:
	s_cmp_eq_u32 s34, 11
	s_cbranch_scc0 .LBB20_626
; %bb.625:
	global_load_ubyte v2, v[0:1], off
	s_mov_b64 s[0:1], -1
	s_mov_b64 s[30:31], 0
	s_waitcnt vmcnt(0)
	v_cmp_ne_u16_e32 vcc, 0, v2
	v_cndmask_b32_e64 v2, 0, 1.0, vcc
	s_branch .LBB20_627
.LBB20_626:
	s_mov_b64 s[30:31], -1
                                        ; implicit-def: $vgpr2
.LBB20_627:
	s_mov_b64 s[2:3], 0
.LBB20_628:
	s_and_b64 vcc, exec, s[2:3]
	s_cbranch_vccz .LBB20_677
; %bb.629:
	s_cmp_lt_i32 s34, 5
	s_cbranch_scc1 .LBB20_634
; %bb.630:
	s_cmp_lt_i32 s34, 8
	s_cbranch_scc1 .LBB20_635
	;; [unrolled: 3-line block ×3, first 2 shown]
; %bb.632:
	s_cmp_gt_i32 s34, 9
	s_cbranch_scc0 .LBB20_637
; %bb.633:
	global_load_dwordx2 v[2:3], v[0:1], off
	s_mov_b64 s[0:1], 0
	s_waitcnt vmcnt(0)
	v_cvt_f32_f64_e32 v2, v[2:3]
	s_branch .LBB20_638
.LBB20_634:
	s_mov_b64 s[0:1], -1
                                        ; implicit-def: $vgpr2
	s_branch .LBB20_656
.LBB20_635:
	s_mov_b64 s[0:1], -1
                                        ; implicit-def: $vgpr2
	s_branch .LBB20_644
.LBB20_636:
	s_mov_b64 s[0:1], -1
                                        ; implicit-def: $vgpr2
	s_branch .LBB20_641
.LBB20_637:
	s_mov_b64 s[0:1], -1
                                        ; implicit-def: $vgpr2
.LBB20_638:
	s_andn2_b64 vcc, exec, s[0:1]
	s_cbranch_vccnz .LBB20_640
; %bb.639:
	global_load_dword v2, v[0:1], off
.LBB20_640:
	s_mov_b64 s[0:1], 0
.LBB20_641:
	s_andn2_b64 vcc, exec, s[0:1]
	s_cbranch_vccnz .LBB20_643
; %bb.642:
	global_load_dword v2, v[0:1], off
	s_waitcnt vmcnt(0)
	v_cvt_f32_f16_e32 v2, v2
.LBB20_643:
	s_mov_b64 s[0:1], 0
.LBB20_644:
	s_andn2_b64 vcc, exec, s[0:1]
	s_cbranch_vccnz .LBB20_655
; %bb.645:
	s_cmp_lt_i32 s34, 6
	s_cbranch_scc1 .LBB20_648
; %bb.646:
	s_cmp_gt_i32 s34, 6
	s_cbranch_scc0 .LBB20_649
; %bb.647:
	global_load_dwordx2 v[2:3], v[0:1], off
	s_mov_b64 s[0:1], 0
	s_waitcnt vmcnt(0)
	v_cvt_f32_f64_e32 v2, v[2:3]
	s_branch .LBB20_650
.LBB20_648:
	s_mov_b64 s[0:1], -1
                                        ; implicit-def: $vgpr2
	s_branch .LBB20_653
.LBB20_649:
	s_mov_b64 s[0:1], -1
                                        ; implicit-def: $vgpr2
.LBB20_650:
	s_andn2_b64 vcc, exec, s[0:1]
	s_cbranch_vccnz .LBB20_652
; %bb.651:
	global_load_dword v2, v[0:1], off
.LBB20_652:
	s_mov_b64 s[0:1], 0
.LBB20_653:
	s_andn2_b64 vcc, exec, s[0:1]
	s_cbranch_vccnz .LBB20_655
; %bb.654:
	global_load_ushort v2, v[0:1], off
	s_waitcnt vmcnt(0)
	v_cvt_f32_f16_e32 v2, v2
.LBB20_655:
	s_mov_b64 s[0:1], 0
.LBB20_656:
	s_andn2_b64 vcc, exec, s[0:1]
	s_cbranch_vccnz .LBB20_676
; %bb.657:
	s_cmp_lt_i32 s34, 2
	s_cbranch_scc1 .LBB20_661
; %bb.658:
	s_cmp_lt_i32 s34, 3
	s_cbranch_scc1 .LBB20_662
; %bb.659:
	s_cmp_gt_i32 s34, 3
	s_cbranch_scc0 .LBB20_663
; %bb.660:
	global_load_dwordx2 v[2:3], v[0:1], off
	s_mov_b64 s[0:1], 0
	s_waitcnt vmcnt(0)
	v_xor_b32_e32 v5, v2, v3
	v_ffbh_i32_e32 v4, v3
	v_ashrrev_i32_e32 v5, 31, v5
	v_add_u32_e32 v4, -1, v4
	v_add_u32_e32 v5, 32, v5
	v_min_u32_e32 v4, v4, v5
	v_lshlrev_b64 v[2:3], v4, v[2:3]
	v_min_u32_e32 v2, 1, v2
	v_or_b32_e32 v2, v3, v2
	v_cvt_f32_i32_e32 v2, v2
	v_sub_u32_e32 v3, 32, v4
	v_ldexp_f32 v2, v2, v3
	s_branch .LBB20_664
.LBB20_661:
	s_mov_b64 s[0:1], -1
                                        ; implicit-def: $vgpr2
	s_branch .LBB20_670
.LBB20_662:
	s_mov_b64 s[0:1], -1
                                        ; implicit-def: $vgpr2
	s_branch .LBB20_667
.LBB20_663:
	s_mov_b64 s[0:1], -1
                                        ; implicit-def: $vgpr2
.LBB20_664:
	s_andn2_b64 vcc, exec, s[0:1]
	s_cbranch_vccnz .LBB20_666
; %bb.665:
	global_load_dword v2, v[0:1], off
	s_waitcnt vmcnt(0)
	v_cvt_f32_i32_e32 v2, v2
.LBB20_666:
	s_mov_b64 s[0:1], 0
.LBB20_667:
	s_andn2_b64 vcc, exec, s[0:1]
	s_cbranch_vccnz .LBB20_669
; %bb.668:
	global_load_sshort v2, v[0:1], off
	s_waitcnt vmcnt(0)
	v_cvt_f32_i32_e32 v2, v2
.LBB20_669:
	s_mov_b64 s[0:1], 0
.LBB20_670:
	s_andn2_b64 vcc, exec, s[0:1]
	s_cbranch_vccnz .LBB20_676
; %bb.671:
	s_cmp_gt_i32 s34, 0
	s_cbranch_scc0 .LBB20_673
; %bb.672:
	global_load_sbyte v2, v[0:1], off
	s_mov_b64 s[0:1], 0
	s_waitcnt vmcnt(0)
	v_cvt_f32_i32_e32 v2, v2
	s_branch .LBB20_674
.LBB20_673:
	s_mov_b64 s[0:1], -1
                                        ; implicit-def: $vgpr2
.LBB20_674:
	s_andn2_b64 vcc, exec, s[0:1]
	s_cbranch_vccnz .LBB20_676
; %bb.675:
	global_load_ubyte v0, v[0:1], off
	s_waitcnt vmcnt(0)
	v_cvt_f32_ubyte0_e32 v2, v0
.LBB20_676:
	s_mov_b64 s[0:1], -1
.LBB20_677:
	s_andn2_b64 vcc, exec, s[0:1]
	s_cbranch_vccnz .LBB20_687
; %bb.678:
	s_waitcnt vmcnt(0)
	v_cmp_gt_f32_e32 vcc, 0, v2
	v_cndmask_b32_e64 v1, v2, -v2, vcc
	s_mov_b32 s0, 0x40a00000
	v_cmp_ge_f32_e32 vcc, s0, v1
	v_mul_f32_e32 v3, v1, v1
                                        ; implicit-def: $vgpr0
	s_and_saveexec_b64 s[0:1], vcc
	s_xor_b64 s[0:1], exec, s[0:1]
	s_cbranch_execz .LBB20_684
; %bb.679:
	s_mov_b32 s2, 0x3727c5ac
	v_cmp_ngt_f32_e32 vcc, s2, v1
                                        ; implicit-def: $vgpr0
	s_and_saveexec_b64 s[2:3], vcc
	s_xor_b64 s[2:3], exec, s[2:3]
	s_cbranch_execz .LBB20_681
; %bb.680:
	v_mov_b32_e32 v0, 0xcf8ee29d
	v_fmac_f32_e32 v0, 0, v3
	v_mov_b32_e32 v1, 0x53e3ba8e
	v_fmac_f32_e32 v1, v3, v0
	;; [unrolled: 2-line block ×12, first 2 shown]
	v_add_f32_e32 v0, 0xc0b90fdc, v3
	v_add_f32_e32 v3, 0xc1f3c525, v3
	v_mul_f32_e32 v0, v0, v3
	v_mul_f32_e32 v0, v0, v1
	v_div_scale_f32 v1, s[4:5], v2, v2, v0
	v_div_scale_f32 v3, vcc, v0, v2, v0
	v_rcp_f32_e32 v4, v1
	v_fma_f32 v5, -v1, v4, 1.0
	v_fmac_f32_e32 v4, v5, v4
	v_mul_f32_e32 v5, v3, v4
	v_fma_f32 v6, -v1, v5, v3
	v_fmac_f32_e32 v5, v6, v4
	v_fma_f32 v1, -v1, v5, v3
	v_div_fmas_f32 v1, v1, v4, v5
                                        ; implicit-def: $vgpr3
	v_div_fixup_f32 v0, v1, v2, v0
.LBB20_681:
	s_andn2_saveexec_b64 s[2:3], s[2:3]
; %bb.682:
	s_mov_b32 s4, 0xbe800000
	v_fma_f32 v0, v3, s4, 1.0
; %bb.683:
	s_or_b64 exec, exec, s[2:3]
                                        ; implicit-def: $vgpr3
                                        ; implicit-def: $vgpr1
.LBB20_684:
	s_andn2_saveexec_b64 s[34:35], s[0:1]
	s_cbranch_execz .LBB20_695
; %bb.685:
	v_add_f32_e32 v0, 0xbf490fdb, v1
	v_and_b32_e32 v2, 0x7fffffff, v0
	s_brev_b32 s0, 18
	v_cmp_nlt_f32_e64 s[36:37], |v0|, s0
	v_lshrrev_b32_e32 v9, 23, v2
                                        ; implicit-def: $vgpr4
                                        ; implicit-def: $vgpr5
	s_and_saveexec_b64 s[0:1], s[36:37]
	s_xor_b64 s[38:39], exec, s[0:1]
	s_cbranch_execz .LBB20_688
; %bb.686:
	v_and_b32_e32 v4, 0x7fffff, v2
	v_or_b32_e32 v8, 0x800000, v4
	s_mov_b32 s0, 0xfe5163ab
	v_mad_u64_u32 v[4:5], s[0:1], v8, s0, 0
	v_mov_b32_e32 v6, 0
	s_mov_b32 s0, 0x3c439041
	v_mad_u64_u32 v[10:11], s[0:1], v8, s0, v[5:6]
	s_mov_b32 s0, 0xdb629599
	v_add_u32_e32 v15, 0xffffff88, v9
	v_mov_b32_e32 v5, v11
	v_mad_u64_u32 v[11:12], s[0:1], v8, s0, v[5:6]
	s_mov_b32 s0, 0xf534ddc0
	v_not_b32_e32 v16, 63
	v_mov_b32_e32 v5, v12
	v_mad_u64_u32 v[12:13], s[0:1], v8, s0, v[5:6]
	s_mov_b32 s0, 0xfc2757d1
	v_cmp_lt_u32_e32 vcc, 63, v15
	v_mov_b32_e32 v5, v13
	v_mad_u64_u32 v[13:14], s[0:1], v8, s0, v[5:6]
	v_cndmask_b32_e32 v5, 0, v16, vcc
	v_add_u32_e32 v16, v5, v15
	v_mov_b32_e32 v5, v14
	s_mov_b32 s0, 0x4e441529
	v_mad_u64_u32 v[14:15], s[0:1], v8, s0, v[5:6]
	v_not_b32_e32 v17, 31
	v_cmp_lt_u32_e64 s[0:1], 31, v16
	v_cndmask_b32_e64 v5, 0, v17, s[0:1]
	v_add_u32_e32 v16, v5, v16
	v_mov_b32_e32 v5, v15
	s_mov_b32 s2, 0xa2f9836e
	v_mad_u64_u32 v[5:6], s[2:3], v8, s2, v[5:6]
	v_cmp_lt_u32_e64 s[2:3], 31, v16
	v_cndmask_b32_e64 v8, 0, v17, s[2:3]
	v_cndmask_b32_e32 v15, v14, v12, vcc
	v_cndmask_b32_e32 v5, v5, v13, vcc
	;; [unrolled: 1-line block ×3, first 2 shown]
	v_add_u32_e32 v8, v8, v16
	v_cndmask_b32_e64 v16, v5, v15, s[0:1]
	v_cndmask_b32_e64 v5, v6, v5, s[0:1]
	v_cndmask_b32_e32 v6, v13, v11, vcc
	v_cndmask_b32_e64 v13, v15, v6, s[0:1]
	v_cndmask_b32_e64 v5, v5, v16, s[2:3]
	;; [unrolled: 1-line block ×3, first 2 shown]
	v_sub_u32_e32 v15, 32, v8
	v_alignbit_b32 v16, v5, v14, v15
	v_cmp_eq_u32_e64 s[4:5], 0, v8
	v_cndmask_b32_e64 v8, v16, v5, s[4:5]
	v_cndmask_b32_e32 v5, v12, v10, vcc
	v_cndmask_b32_e64 v6, v6, v5, s[0:1]
	v_cndmask_b32_e64 v10, v13, v6, s[2:3]
	v_alignbit_b32 v12, v14, v10, v15
	v_cndmask_b32_e32 v4, v11, v4, vcc
	v_cndmask_b32_e64 v12, v12, v14, s[4:5]
	v_bfe_u32 v16, v8, 29, 1
	v_cndmask_b32_e64 v4, v5, v4, s[0:1]
	v_alignbit_b32 v13, v8, v12, 30
	v_sub_u32_e32 v17, 0, v16
	v_cndmask_b32_e64 v4, v6, v4, s[2:3]
	v_xor_b32_e32 v13, v13, v17
	v_alignbit_b32 v5, v10, v4, v15
	v_cndmask_b32_e64 v5, v5, v10, s[4:5]
	v_ffbh_u32_e32 v10, v13
	v_alignbit_b32 v6, v12, v5, 30
	v_min_u32_e32 v10, 32, v10
	v_alignbit_b32 v4, v5, v4, 30
	v_xor_b32_e32 v6, v6, v17
	v_sub_u32_e32 v11, 31, v10
	v_xor_b32_e32 v4, v4, v17
	v_alignbit_b32 v12, v13, v6, v11
	v_alignbit_b32 v4, v6, v4, v11
	;; [unrolled: 1-line block ×3, first 2 shown]
	v_ffbh_u32_e32 v6, v5
	v_min_u32_e32 v6, 32, v6
	v_lshrrev_b32_e32 v14, 29, v8
	v_not_b32_e32 v11, v6
	v_alignbit_b32 v4, v5, v4, v11
	v_lshlrev_b32_e32 v5, 31, v14
	v_or_b32_e32 v11, 0x33000000, v5
	v_add_lshl_u32 v6, v6, v10, 23
	v_lshrrev_b32_e32 v4, 9, v4
	v_sub_u32_e32 v6, v11, v6
	v_or_b32_e32 v5, 0.5, v5
	v_lshlrev_b32_e32 v10, 23, v10
	v_or_b32_e32 v4, v6, v4
	v_lshrrev_b32_e32 v6, 9, v12
	v_sub_u32_e32 v5, v5, v10
	v_or_b32_e32 v5, v6, v5
	s_mov_b32 s0, 0x3fc90fda
	v_mul_f32_e32 v6, 0x3fc90fda, v5
	v_fma_f32 v10, v5, s0, -v6
	v_fmac_f32_e32 v10, 0x33a22168, v5
	v_fmac_f32_e32 v10, 0x3fc90fda, v4
	v_lshrrev_b32_e32 v4, 30, v8
	v_add_f32_e32 v5, v6, v10
	v_add_u32_e32 v4, v16, v4
	s_andn2_saveexec_b64 s[0:1], s[38:39]
	s_cbranch_execz .LBB20_690
	s_branch .LBB20_689
.LBB20_687:
	s_mov_b64 s[4:5], 0
                                        ; implicit-def: $vgpr7
	s_mov_b64 s[0:1], s[24:25]
	s_branch .LBB20_818
.LBB20_688:
	s_andn2_saveexec_b64 s[0:1], s[38:39]
	s_cbranch_execz .LBB20_690
.LBB20_689:
	s_mov_b32 s2, 0x3f22f983
	v_mul_f32_e64 v4, |v0|, s2
	v_rndne_f32_e32 v6, v4
	s_mov_b32 s2, 0xbfc90fda
	v_cvt_i32_f32_e32 v4, v6
	v_fma_f32 v5, v6, s2, |v0|
	v_fmac_f32_e32 v5, 0xb3a22168, v6
	v_fmac_f32_e32 v5, 0xa7c234c4, v6
.LBB20_690:
	s_or_b64 exec, exec, s[0:1]
                                        ; implicit-def: $vgpr6
                                        ; implicit-def: $vgpr8
	s_and_saveexec_b64 s[0:1], s[36:37]
	s_xor_b64 s[36:37], exec, s[0:1]
	s_cbranch_execz .LBB20_692
; %bb.691:
	v_and_b32_e32 v6, 0x7fffff, v2
	v_or_b32_e32 v6, 0x800000, v6
	s_mov_b32 s0, 0xfe5163ab
	v_mad_u64_u32 v[10:11], s[0:1], v6, s0, 0
	v_mov_b32_e32 v12, 0
	s_mov_b32 s0, 0x3c439041
	v_mad_u64_u32 v[13:14], s[0:1], v6, s0, v[11:12]
	s_mov_b32 s0, 0xdb629599
	v_add_u32_e32 v17, 0xffffff88, v9
	v_mov_b32_e32 v11, v14
	v_mad_u64_u32 v[14:15], s[0:1], v6, s0, v[11:12]
	s_mov_b32 s0, 0xf534ddc0
	v_not_b32_e32 v18, 63
	v_mov_b32_e32 v11, v15
	v_mad_u64_u32 v[15:16], s[0:1], v6, s0, v[11:12]
	s_mov_b32 s0, 0xfc2757d1
	v_cmp_lt_u32_e32 vcc, 63, v17
	v_mov_b32_e32 v11, v16
	v_mad_u64_u32 v[8:9], s[0:1], v6, s0, v[11:12]
	v_cndmask_b32_e32 v11, 0, v18, vcc
	v_add_u32_e32 v18, v11, v17
	v_mov_b32_e32 v11, v9
	s_mov_b32 s0, 0x4e441529
	v_mad_u64_u32 v[16:17], s[0:1], v6, s0, v[11:12]
	v_not_b32_e32 v19, 31
	v_cmp_lt_u32_e64 s[0:1], 31, v18
	v_mov_b32_e32 v11, v17
	s_mov_b32 s2, 0xa2f9836e
	v_cndmask_b32_e64 v9, 0, v19, s[0:1]
	v_mad_u64_u32 v[11:12], s[2:3], v6, s2, v[11:12]
	v_add_u32_e32 v9, v9, v18
	v_cmp_lt_u32_e64 s[2:3], 31, v9
	v_cndmask_b32_e64 v6, 0, v19, s[2:3]
	v_add_u32_e32 v6, v6, v9
	v_cndmask_b32_e32 v9, v16, v15, vcc
	v_cndmask_b32_e32 v11, v11, v8, vcc
	;; [unrolled: 1-line block ×4, first 2 shown]
	v_cndmask_b32_e64 v17, v11, v9, s[0:1]
	v_cndmask_b32_e64 v11, v12, v11, s[0:1]
	;; [unrolled: 1-line block ×5, first 2 shown]
	v_sub_u32_e32 v16, 32, v6
	v_alignbit_b32 v17, v11, v12, v16
	v_cmp_eq_u32_e64 s[4:5], 0, v6
	v_cndmask_b32_e64 v6, v17, v11, s[4:5]
	v_cndmask_b32_e32 v11, v15, v13, vcc
	v_cndmask_b32_e64 v8, v8, v11, s[0:1]
	v_cndmask_b32_e64 v9, v9, v8, s[2:3]
	v_alignbit_b32 v13, v12, v9, v16
	v_cndmask_b32_e32 v10, v14, v10, vcc
	v_cndmask_b32_e64 v12, v13, v12, s[4:5]
	v_bfe_u32 v17, v6, 29, 1
	v_cndmask_b32_e64 v10, v11, v10, s[0:1]
	v_alignbit_b32 v13, v6, v12, 30
	v_sub_u32_e32 v18, 0, v17
	v_cndmask_b32_e64 v8, v8, v10, s[2:3]
	v_xor_b32_e32 v13, v13, v18
	v_alignbit_b32 v10, v9, v8, v16
	v_cndmask_b32_e64 v9, v10, v9, s[4:5]
	v_ffbh_u32_e32 v11, v13
	v_alignbit_b32 v10, v12, v9, 30
	v_min_u32_e32 v11, 32, v11
	v_alignbit_b32 v8, v9, v8, 30
	v_xor_b32_e32 v10, v10, v18
	v_sub_u32_e32 v12, 31, v11
	v_xor_b32_e32 v8, v8, v18
	v_alignbit_b32 v13, v13, v10, v12
	v_alignbit_b32 v8, v10, v8, v12
	;; [unrolled: 1-line block ×3, first 2 shown]
	v_ffbh_u32_e32 v10, v9
	v_min_u32_e32 v10, 32, v10
	v_lshrrev_b32_e32 v15, 29, v6
	v_not_b32_e32 v12, v10
	v_alignbit_b32 v8, v9, v8, v12
	v_lshlrev_b32_e32 v9, 31, v15
	v_or_b32_e32 v12, 0x33000000, v9
	v_add_lshl_u32 v10, v10, v11, 23
	v_lshrrev_b32_e32 v8, 9, v8
	v_sub_u32_e32 v10, v12, v10
	v_or_b32_e32 v9, 0.5, v9
	v_lshlrev_b32_e32 v11, 23, v11
	v_or_b32_e32 v8, v10, v8
	v_lshrrev_b32_e32 v10, 9, v13
	v_sub_u32_e32 v9, v9, v11
	v_or_b32_e32 v9, v10, v9
	s_mov_b32 s0, 0x3fc90fda
	v_mul_f32_e32 v10, 0x3fc90fda, v9
	v_fma_f32 v11, v9, s0, -v10
	v_fmac_f32_e32 v11, 0x33a22168, v9
	v_fmac_f32_e32 v11, 0x3fc90fda, v8
	v_lshrrev_b32_e32 v6, 30, v6
	v_add_f32_e32 v8, v10, v11
	v_add_u32_e32 v6, v17, v6
	s_andn2_saveexec_b64 s[0:1], s[36:37]
	s_cbranch_execnz .LBB20_693
	s_branch .LBB20_694
.LBB20_692:
	s_andn2_saveexec_b64 s[0:1], s[36:37]
	s_cbranch_execz .LBB20_694
.LBB20_693:
	s_mov_b32 s2, 0x3f22f983
	v_mul_f32_e64 v6, |v0|, s2
	v_rndne_f32_e32 v9, v6
	s_mov_b32 s2, 0xbfc90fda
	v_cvt_i32_f32_e32 v6, v9
	v_fma_f32 v8, v9, s2, |v0|
	v_fmac_f32_e32 v8, 0xb3a22168, v9
	v_fmac_f32_e32 v8, 0xa7c234c4, v9
.LBB20_694:
	s_or_b64 exec, exec, s[0:1]
	s_mov_b32 s2, 0x41c80000
	v_div_scale_f32 v10, s[0:1], v3, v3, s2
	v_div_scale_f32 v11, vcc, s2, v3, s2
	v_mov_b32_e32 v9, 0x3a50e985
	v_mov_b32_e32 v18, 0x3a725406
	;; [unrolled: 1-line block ×10, first 2 shown]
	s_mov_b32 s4, 0xc0a00000
	v_mov_b32_e32 v24, 0xc19c6e80
	v_rcp_f32_e32 v12, v10
	v_mov_b32_e32 v25, 0xc2ba697b
	v_mov_b32_e32 v26, 0x4500e17e
	;; [unrolled: 1-line block ×3, first 2 shown]
	v_fma_f32 v13, -v10, v12, 1.0
	v_fmac_f32_e32 v12, v13, v12
	v_mul_f32_e32 v13, v11, v12
	v_fma_f32 v14, -v10, v13, v11
	v_fmac_f32_e32 v13, v14, v12
	v_fma_f32 v10, -v10, v13, v11
	v_div_fmas_f32 v14, v10, v12, v13
	v_mov_b32_e32 v11, 0x3da9a586
	v_mov_b32_e32 v13, 0x3f9ea90a
	;; [unrolled: 1-line block ×5, first 2 shown]
	v_div_fixup_f32 v3, v14, v3, s2
	v_fmac_f32_e32 v9, 0, v3
	v_fmac_f32_e32 v18, 0, v3
	;; [unrolled: 1-line block ×12, first 2 shown]
	v_fma_f32 v9, v3, v23, 1.0
	v_fma_f32 v11, v3, v17, 1.0
	v_div_scale_f32 v13, s[0:1], v9, v9, v11
	v_div_scale_f32 v18, vcc, v11, v9, v11
	v_div_scale_f32 v19, s[0:1], v1, v1, s4
	v_mov_b32_e32 v15, 0x4280a2ba
	v_fmac_f32_e32 v12, 0, v3
	v_mov_b32_e32 v16, 0x44561b86
	v_fmac_f32_e32 v15, 0, v3
	v_fmac_f32_e32 v10, v3, v12
	v_mov_b32_e32 v20, 0x4572a66e
	v_fmac_f32_e32 v16, v3, v15
	v_fmac_f32_e32 v24, v3, v10
	v_mov_b32_e32 v14, 0xc331ae61
	v_mov_b32_e32 v21, 0x45e243be
	v_rcp_f32_e32 v28, v13
	v_fmac_f32_e32 v20, v3, v16
	v_fmac_f32_e32 v25, v3, v24
	v_mov_b32_e32 v17, 0xc31313d7
	v_fma_f32 v31, -v13, v28, 1.0
	v_fmac_f32_e32 v28, v31, v28
	v_mul_f32_e32 v31, v18, v28
	v_fma_f32 v32, -v13, v31, v18
	v_fmac_f32_e32 v31, v32, v28
	v_fma_f32 v13, -v13, v31, v18
	v_div_fmas_f32 v13, v13, v28, v31
	v_mov_b32_e32 v23, 0x45b955d1
	v_fmac_f32_e32 v21, v3, v20
	v_fmac_f32_e32 v14, v3, v25
	v_mov_b32_e32 v22, 0xc24da463
	v_div_scale_f32 v30, s[0:1], s4, v1, s4
	v_fmac_f32_e32 v23, v3, v21
	v_fmac_f32_e32 v17, v3, v14
	v_fmac_f32_e32 v26, v3, v23
	v_fmac_f32_e32 v22, v3, v17
	v_fmac_f32_e32 v29, v3, v26
	v_fmac_f32_e32 v27, v3, v22
	v_div_scale_f32 v3, s[2:3], v29, v29, v27
	v_div_scale_f32 v10, s[2:3], v27, v29, v27
	v_rcp_f32_e32 v32, v19
	v_div_fixup_f32 v9, v13, v9, v11
	v_mov_b32_e32 v14, 0x3c0881c4
	s_mov_b64 vcc, s[0:1]
	v_fma_f32 v11, -v19, v32, 1.0
	v_fmac_f32_e32 v32, v11, v32
	v_mul_f32_e32 v11, v30, v32
	v_fma_f32 v12, -v19, v11, v30
	v_fmac_f32_e32 v11, v12, v32
	v_mul_f32_e32 v12, v5, v5
	v_fma_f32 v13, -v19, v11, v30
	v_fmac_f32_e32 v14, 0xb94c1982, v12
	v_rcp_f32_e32 v15, v3
	v_div_fmas_f32 v11, v13, v32, v11
	v_mov_b32_e32 v13, 0xbe2aaa9d
	v_fma_f32 v14, v12, v14, v13
	v_mul_f32_e32 v14, v12, v14
	v_fmac_f32_e32 v5, v5, v14
	v_fma_f32 v14, -v3, v15, 1.0
	v_fmac_f32_e32 v15, v14, v15
	v_mul_f32_e32 v14, v10, v15
	v_fma_f32 v16, -v3, v14, v10
	v_fmac_f32_e32 v14, v16, v15
	v_fma_f32 v3, -v3, v14, v10
	s_mov_b64 vcc, s[2:3]
	v_div_fmas_f32 v3, v3, v15, v14
	v_mov_b32_e32 v10, 0xbab64f3b
	v_fmac_f32_e32 v10, 0x37d75334, v12
	v_mov_b32_e32 v14, 0x3d2aabf7
	v_fma_f32 v10, v12, v10, v14
	v_mov_b32_e32 v15, 0xbf000004
	v_fma_f32 v10, v12, v10, v15
	v_fma_f32 v10, v12, v10, 1.0
	v_and_b32_e32 v12, 1, v4
	v_cmp_eq_u32_e32 vcc, 0, v12
	v_div_fixup_f32 v11, v11, v1, s4
	v_cndmask_b32_e64 v5, -v5, v10, vcc
	v_mov_b32_e32 v10, 0xbab64f3b
	v_mov_b32_e32 v16, 0x3c0881c4
	s_movk_i32 s0, 0x1f8
	v_lshlrev_b32_e32 v4, 30, v4
	v_div_fixup_f32 v3, v3, v29, v27
	v_mul_f32_e32 v3, v11, v3
	v_mul_f32_e32 v11, v8, v8
	v_fmac_f32_e32 v10, 0x37d75334, v11
	v_fmac_f32_e32 v16, 0xb94c1982, v11
	;; [unrolled: 1-line block ×5, first 2 shown]
	v_mul_f32_e32 v12, v11, v13
	v_fma_f32 v10, v11, v15, 1.0
	v_and_b32_e32 v11, 1, v6
	v_lshlrev_b32_e32 v6, 30, v6
	v_cmp_class_f32_e64 vcc, v0, s0
	v_fmac_f32_e32 v8, v8, v12
	v_cmp_eq_u32_e64 s[0:1], 0, v11
	v_and_b32_e32 v6, 0x80000000, v6
	v_xor_b32_e32 v0, v2, v0
	v_and_b32_e32 v4, 0x80000000, v4
	v_cndmask_b32_e64 v8, v10, v8, s[0:1]
	v_xor_b32_e32 v0, v0, v6
	v_xor_b32_e32 v4, v4, v5
	v_mov_b32_e32 v5, 0x7fc00000
	v_xor_b32_e32 v0, v0, v8
	s_mov_b32 s0, 0xf800000
	v_cndmask_b32_e32 v4, v5, v4, vcc
	v_cndmask_b32_e32 v0, v5, v0, vcc
	v_mul_f32_e32 v2, 0x4f800000, v1
	v_cmp_gt_f32_e32 vcc, s0, v1
	v_cndmask_b32_e32 v1, v1, v2, vcc
	v_sqrt_f32_e32 v2, v1
	v_mul_f32_e32 v0, v3, v0
	v_fmac_f32_e32 v0, v9, v4
	v_mul_f32_e32 v0, 0x3f4c422a, v0
	v_add_u32_e32 v3, -1, v2
	v_fma_f32 v4, -v3, v2, v1
	v_cmp_ge_f32_e64 s[0:1], 0, v4
	v_add_u32_e32 v4, 1, v2
	v_cndmask_b32_e64 v3, v2, v3, s[0:1]
	v_fma_f32 v2, -v4, v2, v1
	v_cmp_lt_f32_e64 s[0:1], 0, v2
	v_cndmask_b32_e64 v2, v3, v4, s[0:1]
	v_mul_f32_e32 v3, 0x37800000, v2
	v_cndmask_b32_e32 v2, v2, v3, vcc
	v_mov_b32_e32 v3, 0x260
	v_cmp_class_f32_e32 vcc, v1, v3
	v_cndmask_b32_e32 v1, v2, v1, vcc
	v_div_scale_f32 v2, s[0:1], v1, v1, v0
	v_div_scale_f32 v3, vcc, v0, v1, v0
	v_rcp_f32_e32 v4, v2
	v_fma_f32 v5, -v2, v4, 1.0
	v_fmac_f32_e32 v4, v5, v4
	v_mul_f32_e32 v5, v3, v4
	v_fma_f32 v6, -v2, v5, v3
	v_fmac_f32_e32 v5, v6, v4
	v_fma_f32 v2, -v2, v5, v3
	v_div_fmas_f32 v2, v2, v4, v5
	v_div_fixup_f32 v0, v2, v1, v0
.LBB20_695:
	s_or_b64 exec, exec, s[34:35]
	v_mul_lo_u32 v1, v7, s12
	v_mov_b32_e32 v3, s9
	s_and_b32 s36, s33, 0xff
	s_cmp_lt_i32 s36, 11
	v_ashrrev_i32_e32 v4, 31, v1
	v_add_co_u32_e32 v2, vcc, s8, v1
	v_addc_co_u32_e32 v3, vcc, v3, v4, vcc
	s_cbranch_scc1 .LBB20_702
; %bb.696:
	s_and_b32 s37, 0xffff, s36
	s_cmp_gt_i32 s37, 25
	s_cbranch_scc0 .LBB20_703
; %bb.697:
	s_cmp_gt_i32 s37, 28
	s_cbranch_scc0 .LBB20_704
; %bb.698:
	;; [unrolled: 3-line block ×4, first 2 shown]
	s_mov_b64 s[4:5], 0
	s_mov_b64 s[0:1], -1
	s_cmp_eq_u32 s37, 46
	s_mov_b64 s[2:3], 0
	s_cbranch_scc0 .LBB20_707
; %bb.701:
	v_bfe_u32 v1, v0, 16, 1
	s_movk_i32 s0, 0x7fff
	v_add3_u32 v1, v0, v1, s0
	v_cmp_o_f32_e32 vcc, v0, v0
	v_mov_b32_e32 v4, 0x7fc0
	v_cndmask_b32_sdwa v1, v4, v1, vcc dst_sel:DWORD dst_unused:UNUSED_PAD src0_sel:DWORD src1_sel:WORD_1
	global_store_dword v[2:3], v1, off
	s_mov_b64 s[2:3], -1
	s_mov_b64 s[0:1], 0
	s_branch .LBB20_707
.LBB20_702:
	s_mov_b64 s[4:5], -1
	s_mov_b64 s[2:3], 0
	s_mov_b64 s[0:1], s[24:25]
	s_branch .LBB20_776
.LBB20_703:
	s_mov_b64 s[4:5], -1
	s_mov_b64 s[2:3], 0
	s_mov_b64 s[0:1], s[24:25]
	s_branch .LBB20_734
.LBB20_704:
	s_mov_b64 s[4:5], -1
	s_mov_b64 s[2:3], 0
	s_mov_b64 s[0:1], s[24:25]
	s_branch .LBB20_717
.LBB20_705:
	s_mov_b64 s[4:5], -1
	s_mov_b64 s[2:3], 0
	s_mov_b64 s[0:1], s[24:25]
	s_branch .LBB20_713
.LBB20_706:
	s_mov_b64 s[4:5], -1
	s_mov_b64 s[2:3], 0
	s_mov_b64 s[0:1], s[24:25]
.LBB20_707:
	s_and_b64 vcc, exec, s[4:5]
	s_cbranch_vccz .LBB20_712
; %bb.708:
	s_cmp_eq_u32 s37, 44
	s_mov_b64 s[0:1], -1
	s_cbranch_scc0 .LBB20_712
; %bb.709:
	v_bfe_u32 v1, v0, 23, 8
	s_movk_i32 s0, 0xff
	v_cmp_ne_u32_e32 vcc, s0, v1
	v_mov_b32_e32 v4, 0xff
	s_and_saveexec_b64 s[2:3], vcc
; %bb.710:
	s_mov_b32 s0, 0x3fffff
	v_and_b32_e32 v5, 0x400000, v0
	v_and_or_b32 v1, v0, s0, v1
	v_cmp_ne_u32_e32 vcc, 0, v5
	v_cmp_ne_u32_e64 s[0:1], 0, v1
	s_and_b64 s[0:1], vcc, s[0:1]
	v_lshrrev_b32_e32 v4, 23, v0
	v_cndmask_b32_e64 v1, 0, 1, s[0:1]
	v_add_u32_e32 v4, v4, v1
; %bb.711:
	s_or_b64 exec, exec, s[2:3]
	s_mov_b64 s[2:3], -1
	s_mov_b64 s[0:1], 0
	global_store_byte v[2:3], v4, off
.LBB20_712:
	s_mov_b64 s[4:5], 0
.LBB20_713:
	s_and_b64 vcc, exec, s[4:5]
	s_cbranch_vccz .LBB20_716
; %bb.714:
	s_cmp_eq_u32 s37, 29
	s_mov_b64 s[0:1], -1
	s_cbranch_scc0 .LBB20_716
; %bb.715:
	v_trunc_f32_e32 v1, v0
	v_mul_f32_e32 v4, 0x2f800000, v1
	v_floor_f32_e32 v4, v4
	v_fmac_f32_e32 v1, 0xcf800000, v4
	v_cvt_u32_f32_e32 v5, v4
	v_cvt_u32_f32_e32 v4, v1
	s_mov_b64 s[2:3], -1
	s_mov_b64 s[0:1], 0
	s_mov_b64 s[4:5], 0
	global_store_dwordx2 v[2:3], v[4:5], off
	s_branch .LBB20_717
.LBB20_716:
	s_mov_b64 s[4:5], 0
.LBB20_717:
	s_and_b64 vcc, exec, s[4:5]
	s_cbranch_vccz .LBB20_733
; %bb.718:
	s_cmp_lt_i32 s37, 27
	s_mov_b64 s[2:3], -1
	s_cbranch_scc1 .LBB20_724
; %bb.719:
	v_cvt_u32_f32_e32 v1, v0
	s_cmp_gt_i32 s37, 27
	s_cbranch_scc0 .LBB20_721
; %bb.720:
	s_mov_b64 s[2:3], 0
	global_store_dword v[2:3], v1, off
.LBB20_721:
	s_andn2_b64 vcc, exec, s[2:3]
	s_cbranch_vccnz .LBB20_723
; %bb.722:
	global_store_short v[2:3], v1, off
.LBB20_723:
	s_mov_b64 s[2:3], 0
.LBB20_724:
	s_andn2_b64 vcc, exec, s[2:3]
	s_cbranch_vccnz .LBB20_732
; %bb.725:
	v_and_b32_e32 v1, 0x7fffffff, v0
	s_mov_b32 s2, 0x43800000
	v_cmp_gt_u32_e32 vcc, s2, v1
	v_mov_b32_e32 v4, 0x80
	s_and_saveexec_b64 s[2:3], vcc
	s_cbranch_execz .LBB20_731
; %bb.726:
	s_mov_b32 s4, 0x3bffffff
	v_cmp_lt_u32_e32 vcc, s4, v1
	s_mov_b64 s[4:5], 0
                                        ; implicit-def: $vgpr1
	s_and_saveexec_b64 s[34:35], vcc
	s_xor_b64 s[34:35], exec, s[34:35]
	s_cbranch_execz .LBB20_832
; %bb.727:
	v_bfe_u32 v1, v0, 20, 1
	s_mov_b32 s38, 0x487ffff
	v_add3_u32 v1, v0, v1, s38
	s_mov_b64 s[4:5], exec
	v_lshrrev_b32_e32 v1, 20, v1
	s_andn2_saveexec_b64 s[34:35], s[34:35]
	s_cbranch_execnz .LBB20_833
.LBB20_728:
	s_or_b64 exec, exec, s[34:35]
	v_mov_b32_e32 v4, 0
	s_and_saveexec_b64 s[34:35], s[4:5]
.LBB20_729:
	v_lshrrev_b32_e32 v4, 24, v0
	s_movk_i32 s4, 0x80
	v_and_or_b32 v4, v4, s4, v1
.LBB20_730:
	s_or_b64 exec, exec, s[34:35]
.LBB20_731:
	s_or_b64 exec, exec, s[2:3]
	global_store_byte v[2:3], v4, off
.LBB20_732:
	s_mov_b64 s[2:3], -1
.LBB20_733:
	s_mov_b64 s[4:5], 0
.LBB20_734:
	s_and_b64 vcc, exec, s[4:5]
	s_cbranch_vccz .LBB20_775
; %bb.735:
	s_cmp_gt_i32 s37, 22
	s_mov_b64 s[4:5], -1
	s_cbranch_scc0 .LBB20_767
; %bb.736:
	s_cmp_lt_i32 s37, 24
	s_mov_b64 s[2:3], -1
	s_cbranch_scc1 .LBB20_756
; %bb.737:
	s_cmp_gt_i32 s37, 24
	s_cbranch_scc0 .LBB20_745
; %bb.738:
	v_and_b32_e32 v1, 0x7fffffff, v0
	s_mov_b32 s2, 0x47800000
	v_cmp_gt_u32_e32 vcc, s2, v1
	v_mov_b32_e32 v4, 0x80
	s_and_saveexec_b64 s[2:3], vcc
	s_cbranch_execz .LBB20_744
; %bb.739:
	s_mov_b32 s4, 0x37ffffff
	v_cmp_lt_u32_e32 vcc, s4, v1
	s_mov_b64 s[4:5], 0
                                        ; implicit-def: $vgpr1
	s_and_saveexec_b64 s[34:35], vcc
	s_xor_b64 s[34:35], exec, s[34:35]
	s_cbranch_execz .LBB20_835
; %bb.740:
	v_bfe_u32 v1, v0, 21, 1
	s_mov_b32 s38, 0x88fffff
	v_add3_u32 v1, v0, v1, s38
	s_mov_b64 s[4:5], exec
	v_lshrrev_b32_e32 v1, 21, v1
	s_andn2_saveexec_b64 s[34:35], s[34:35]
	s_cbranch_execnz .LBB20_836
.LBB20_741:
	s_or_b64 exec, exec, s[34:35]
	v_mov_b32_e32 v4, 0
	s_and_saveexec_b64 s[34:35], s[4:5]
.LBB20_742:
	v_lshrrev_b32_e32 v4, 24, v0
	s_movk_i32 s4, 0x80
	v_and_or_b32 v4, v4, s4, v1
.LBB20_743:
	s_or_b64 exec, exec, s[34:35]
.LBB20_744:
	s_or_b64 exec, exec, s[2:3]
	s_mov_b64 s[2:3], 0
	global_store_byte v[2:3], v4, off
.LBB20_745:
	s_and_b64 vcc, exec, s[2:3]
	s_cbranch_vccz .LBB20_755
; %bb.746:
	v_and_b32_e32 v4, 0x7fffffff, v0
	s_mov_b32 s2, 0x43f00000
	v_cmp_gt_u32_e32 vcc, s2, v4
                                        ; implicit-def: $vgpr1
	s_and_saveexec_b64 s[2:3], vcc
	s_xor_b64 s[2:3], exec, s[2:3]
	s_cbranch_execz .LBB20_752
; %bb.747:
	s_mov_b32 s4, 0x3c7fffff
	v_cmp_lt_u32_e32 vcc, s4, v4
                                        ; implicit-def: $vgpr1
	s_and_saveexec_b64 s[4:5], vcc
	s_xor_b64 s[4:5], exec, s[4:5]
; %bb.748:
	v_bfe_u32 v1, v0, 20, 1
	s_mov_b32 s34, 0x407ffff
	v_add3_u32 v1, v0, v1, s34
	v_lshrrev_b32_e32 v4, 20, v1
	v_and_b32_e32 v1, 0xff00000, v1
	s_mov_b32 s34, 0x7f00000
	v_mov_b32_e32 v5, 0x7e
	v_cmp_ne_u32_e32 vcc, s34, v1
	v_cndmask_b32_e32 v1, v5, v4, vcc
; %bb.749:
	s_andn2_saveexec_b64 s[4:5], s[4:5]
; %bb.750:
	s_mov_b32 s34, 0x46800000
	v_add_f32_e64 v1, |v0|, s34
; %bb.751:
	s_or_b64 exec, exec, s[4:5]
                                        ; implicit-def: $vgpr4
.LBB20_752:
	s_andn2_saveexec_b64 s[2:3], s[2:3]
; %bb.753:
	s_mov_b32 s4, 0x7f800000
	v_mov_b32_e32 v1, 0x7e
	v_mov_b32_e32 v5, 0x7f
	v_cmp_lt_u32_e32 vcc, s4, v4
	v_cndmask_b32_e32 v1, v1, v5, vcc
; %bb.754:
	s_or_b64 exec, exec, s[2:3]
	v_lshrrev_b32_e32 v4, 24, v0
	s_movk_i32 s2, 0x80
	v_and_or_b32 v1, v4, s2, v1
	global_store_byte v[2:3], v1, off
.LBB20_755:
	s_mov_b64 s[2:3], 0
.LBB20_756:
	s_andn2_b64 vcc, exec, s[2:3]
	s_cbranch_vccnz .LBB20_766
; %bb.757:
	v_and_b32_e32 v4, 0x7fffffff, v0
	s_mov_b32 s2, 0x47800000
	v_cmp_gt_u32_e32 vcc, s2, v4
                                        ; implicit-def: $vgpr1
	s_and_saveexec_b64 s[2:3], vcc
	s_xor_b64 s[2:3], exec, s[2:3]
	s_cbranch_execz .LBB20_763
; %bb.758:
	s_mov_b32 s4, 0x387fffff
	v_cmp_lt_u32_e32 vcc, s4, v4
                                        ; implicit-def: $vgpr1
	s_and_saveexec_b64 s[4:5], vcc
	s_xor_b64 s[4:5], exec, s[4:5]
; %bb.759:
	v_bfe_u32 v1, v0, 21, 1
	s_mov_b32 s34, 0x80fffff
	v_add3_u32 v1, v0, v1, s34
	v_lshrrev_b32_e32 v1, 21, v1
; %bb.760:
	s_andn2_saveexec_b64 s[4:5], s[4:5]
; %bb.761:
	s_mov_b32 s34, 0x43000000
	v_add_f32_e64 v1, |v0|, s34
; %bb.762:
	s_or_b64 exec, exec, s[4:5]
                                        ; implicit-def: $vgpr4
.LBB20_763:
	s_andn2_saveexec_b64 s[2:3], s[2:3]
; %bb.764:
	s_mov_b32 s4, 0x7f800000
	v_mov_b32_e32 v1, 0x7c
	v_mov_b32_e32 v5, 0x7f
	v_cmp_lt_u32_e32 vcc, s4, v4
	v_cndmask_b32_e32 v1, v1, v5, vcc
; %bb.765:
	s_or_b64 exec, exec, s[2:3]
	v_lshrrev_b32_e32 v4, 24, v0
	s_movk_i32 s2, 0x80
	v_and_or_b32 v1, v4, s2, v1
	global_store_byte v[2:3], v1, off
.LBB20_766:
	s_mov_b64 s[4:5], 0
	s_mov_b64 s[2:3], -1
.LBB20_767:
	s_andn2_b64 vcc, exec, s[4:5]
	s_cbranch_vccnz .LBB20_775
; %bb.768:
	s_cmp_gt_i32 s37, 14
	s_mov_b64 s[4:5], -1
	s_cbranch_scc0 .LBB20_772
; %bb.769:
	s_cmp_eq_u32 s37, 15
	s_mov_b64 s[0:1], -1
	s_cbranch_scc0 .LBB20_771
; %bb.770:
	v_bfe_u32 v1, v0, 16, 1
	s_movk_i32 s0, 0x7fff
	v_add3_u32 v1, v0, v1, s0
	v_cmp_o_f32_e32 vcc, v0, v0
	v_mov_b32_e32 v4, 0x7fc0
	v_cndmask_b32_sdwa v1, v4, v1, vcc dst_sel:DWORD dst_unused:UNUSED_PAD src0_sel:DWORD src1_sel:WORD_1
	global_store_short v[2:3], v1, off
	s_mov_b64 s[2:3], -1
	s_mov_b64 s[0:1], 0
.LBB20_771:
	s_mov_b64 s[4:5], 0
.LBB20_772:
	s_and_b64 vcc, exec, s[4:5]
	s_cbranch_vccz .LBB20_775
; %bb.773:
	s_cmp_eq_u32 s37, 11
	s_mov_b64 s[0:1], -1
	s_cbranch_scc0 .LBB20_775
; %bb.774:
	v_cmp_neq_f32_e32 vcc, 0, v0
	v_cndmask_b32_e64 v1, 0, 1, vcc
	s_mov_b64 s[2:3], -1
	s_mov_b64 s[0:1], 0
	global_store_byte v[2:3], v1, off
.LBB20_775:
	s_mov_b64 s[4:5], 0
.LBB20_776:
	s_and_b64 vcc, exec, s[4:5]
	s_cbranch_vccz .LBB20_815
; %bb.777:
	s_and_b32 s4, 0xffff, s36
	s_cmp_lt_i32 s4, 5
	s_mov_b64 s[2:3], -1
	s_cbranch_scc1 .LBB20_798
; %bb.778:
	s_cmp_lt_i32 s4, 8
	s_cbranch_scc1 .LBB20_788
; %bb.779:
	s_cmp_lt_i32 s4, 9
	s_cbranch_scc1 .LBB20_785
; %bb.780:
	s_cmp_gt_i32 s4, 9
	s_cbranch_scc0 .LBB20_782
; %bb.781:
	v_cvt_f64_f32_e32 v[8:9], v0
	v_mov_b32_e32 v10, 0
	v_mov_b32_e32 v11, v10
	s_mov_b64 s[2:3], 0
	global_store_dwordx4 v[2:3], v[8:11], off
.LBB20_782:
	s_andn2_b64 vcc, exec, s[2:3]
	s_cbranch_vccnz .LBB20_784
; %bb.783:
	v_mov_b32_e32 v1, 0
	global_store_dwordx2 v[2:3], v[0:1], off
.LBB20_784:
	s_mov_b64 s[2:3], 0
.LBB20_785:
	s_andn2_b64 vcc, exec, s[2:3]
	s_cbranch_vccnz .LBB20_787
; %bb.786:
	v_cvt_f16_f32_e32 v1, v0
	global_store_dword v[2:3], v1, off
.LBB20_787:
	s_mov_b64 s[2:3], 0
.LBB20_788:
	s_andn2_b64 vcc, exec, s[2:3]
	s_cbranch_vccnz .LBB20_797
; %bb.789:
	s_cmp_lt_i32 s4, 6
	s_mov_b64 s[2:3], -1
	s_cbranch_scc1 .LBB20_795
; %bb.790:
	s_cmp_gt_i32 s4, 6
	s_cbranch_scc0 .LBB20_792
; %bb.791:
	v_cvt_f64_f32_e32 v[4:5], v0
	s_mov_b64 s[2:3], 0
	global_store_dwordx2 v[2:3], v[4:5], off
.LBB20_792:
	s_andn2_b64 vcc, exec, s[2:3]
	s_cbranch_vccnz .LBB20_794
; %bb.793:
	global_store_dword v[2:3], v0, off
.LBB20_794:
	s_mov_b64 s[2:3], 0
.LBB20_795:
	s_andn2_b64 vcc, exec, s[2:3]
	s_cbranch_vccnz .LBB20_797
; %bb.796:
	v_cvt_f16_f32_e32 v1, v0
	global_store_short v[2:3], v1, off
.LBB20_797:
	s_mov_b64 s[2:3], 0
.LBB20_798:
	s_andn2_b64 vcc, exec, s[2:3]
	s_cbranch_vccnz .LBB20_814
; %bb.799:
	s_cmp_lt_i32 s4, 2
	s_mov_b64 s[2:3], -1
	s_cbranch_scc1 .LBB20_809
; %bb.800:
	s_cmp_lt_i32 s4, 3
	s_cbranch_scc1 .LBB20_806
; %bb.801:
	s_cmp_gt_i32 s4, 3
	s_cbranch_scc0 .LBB20_803
; %bb.802:
	v_trunc_f32_e32 v1, v0
	s_mov_b32 s2, 0x2f800000
	v_mul_f32_e64 v4, |v1|, s2
	v_floor_f32_e32 v4, v4
	s_mov_b32 s2, 0xcf800000
	v_cvt_u32_f32_e32 v5, v4
	v_fma_f32 v4, v4, s2, |v1|
	v_cvt_u32_f32_e32 v4, v4
	v_ashrrev_i32_e32 v1, 31, v1
	v_xor_b32_e32 v5, v5, v1
	s_mov_b64 s[2:3], 0
	v_xor_b32_e32 v4, v4, v1
	v_sub_co_u32_e32 v4, vcc, v4, v1
	v_subb_co_u32_e32 v5, vcc, v5, v1, vcc
	global_store_dwordx2 v[2:3], v[4:5], off
.LBB20_803:
	s_andn2_b64 vcc, exec, s[2:3]
	s_cbranch_vccnz .LBB20_805
; %bb.804:
	v_cvt_i32_f32_e32 v1, v0
	global_store_dword v[2:3], v1, off
.LBB20_805:
	s_mov_b64 s[2:3], 0
.LBB20_806:
	s_andn2_b64 vcc, exec, s[2:3]
	s_cbranch_vccnz .LBB20_808
; %bb.807:
	v_cvt_i32_f32_e32 v1, v0
	global_store_short v[2:3], v1, off
.LBB20_808:
	s_mov_b64 s[2:3], 0
.LBB20_809:
	s_andn2_b64 vcc, exec, s[2:3]
	s_cbranch_vccnz .LBB20_814
; %bb.810:
	s_cmp_gt_i32 s4, 0
	s_mov_b64 s[2:3], -1
	s_cbranch_scc0 .LBB20_812
; %bb.811:
	v_cvt_i32_f32_e32 v1, v0
	s_mov_b64 s[2:3], 0
	global_store_byte v[2:3], v1, off
.LBB20_812:
	s_andn2_b64 vcc, exec, s[2:3]
	s_cbranch_vccnz .LBB20_814
; %bb.813:
	v_trunc_f32_e32 v0, v0
	s_mov_b32 s2, 0x2f800000
	v_mul_f32_e64 v1, |v0|, s2
	v_floor_f32_e32 v1, v1
	s_mov_b32 s2, 0xcf800000
	v_fma_f32 v1, v1, s2, |v0|
	v_cvt_u32_f32_e32 v1, v1
	v_ashrrev_i32_e32 v0, 31, v0
	v_xor_b32_e32 v1, v1, v0
	v_sub_u32_e32 v0, v1, v0
	global_store_byte v[2:3], v0, off
.LBB20_814:
	s_mov_b64 s[2:3], -1
.LBB20_815:
	s_andn2_b64 vcc, exec, s[2:3]
	s_cbranch_vccnz .LBB20_817
; %bb.816:
	v_add_u32_e32 v7, 0x80, v7
	s_mov_b64 s[4:5], -1
	s_branch .LBB20_818
.LBB20_817:
	s_mov_b64 s[4:5], 0
                                        ; implicit-def: $vgpr7
.LBB20_818:
	s_andn2_b64 s[2:3], s[24:25], exec
	s_and_b64 s[0:1], s[0:1], exec
	s_or_b64 s[2:3], s[2:3], s[0:1]
	s_andn2_b64 s[0:1], s[22:23], exec
	s_and_b64 s[30:31], s[30:31], exec
	s_or_b64 s[0:1], s[0:1], s[30:31]
	s_orn2_b64 s[34:35], s[4:5], exec
.LBB20_819:
	s_or_b64 exec, exec, s[28:29]
	s_mov_b64 s[30:31], 0
	s_mov_b64 s[36:37], 0
	s_mov_b64 s[28:29], 0
                                        ; implicit-def: $vgpr0_vgpr1
                                        ; implicit-def: $vgpr4
	s_and_saveexec_b64 s[4:5], s[34:35]
	s_cbranch_execz .LBB20_904
; %bb.820:
	v_cmp_gt_i32_e32 vcc, s40, v7
	s_mov_b64 s[34:35], 0
	s_mov_b64 s[38:39], s[0:1]
	;; [unrolled: 1-line block ×3, first 2 shown]
                                        ; implicit-def: $vgpr0_vgpr1
                                        ; implicit-def: $vgpr4
	s_and_saveexec_b64 s[28:29], vcc
	s_cbranch_execz .LBB20_903
; %bb.821:
	v_mul_lo_u32 v0, v7, s13
	v_mov_b32_e32 v1, s11
	s_and_b32 s43, 0xffff, s42
	s_cmp_lt_i32 s43, 11
	s_waitcnt vmcnt(0)
	v_ashrrev_i32_e32 v2, 31, v0
	v_add_co_u32_e32 v0, vcc, s10, v0
	v_addc_co_u32_e32 v1, vcc, v1, v2, vcc
	s_cbranch_scc1 .LBB20_828
; %bb.822:
	s_cmp_gt_i32 s43, 25
	s_cbranch_scc0 .LBB20_829
; %bb.823:
	s_cmp_gt_i32 s43, 28
	s_cbranch_scc0 .LBB20_830
	;; [unrolled: 3-line block ×4, first 2 shown]
; %bb.826:
	s_cmp_eq_u32 s43, 46
	s_mov_b64 s[38:39], 0
	s_cbranch_scc0 .LBB20_837
; %bb.827:
	global_load_dword v2, v[0:1], off
	s_mov_b64 s[36:37], -1
	s_waitcnt vmcnt(0)
	v_lshlrev_b32_e32 v4, 16, v2
	s_branch .LBB20_839
.LBB20_828:
	s_mov_b64 s[38:39], -1
                                        ; implicit-def: $vgpr4
	s_mov_b64 s[30:31], s[0:1]
	s_branch .LBB20_902
.LBB20_829:
	s_mov_b64 s[38:39], -1
	s_mov_b64 s[30:31], s[0:1]
                                        ; implicit-def: $vgpr4
	s_branch .LBB20_868
.LBB20_830:
	s_mov_b64 s[38:39], -1
	s_mov_b64 s[30:31], s[0:1]
                                        ; implicit-def: $vgpr4
	s_branch .LBB20_849
.LBB20_831:
	s_mov_b64 s[38:39], -1
	s_mov_b64 s[30:31], s[0:1]
                                        ; implicit-def: $vgpr4
	s_branch .LBB20_844
.LBB20_832:
	s_andn2_saveexec_b64 s[34:35], s[34:35]
	s_cbranch_execz .LBB20_728
.LBB20_833:
	s_mov_b32 s38, 0x46000000
	v_add_f32_e64 v1, |v0|, s38
	v_and_b32_e32 v1, 0xff, v1
	v_cmp_ne_u32_e32 vcc, 0, v1
	s_andn2_b64 s[4:5], s[4:5], exec
	s_and_b64 s[38:39], vcc, exec
	s_or_b64 s[4:5], s[4:5], s[38:39]
	s_or_b64 exec, exec, s[34:35]
	v_mov_b32_e32 v4, 0
	s_and_saveexec_b64 s[34:35], s[4:5]
	s_cbranch_execnz .LBB20_729
	s_branch .LBB20_730
.LBB20_834:
	s_mov_b64 s[38:39], -1
	s_mov_b64 s[30:31], s[0:1]
	s_branch .LBB20_838
.LBB20_835:
	s_andn2_saveexec_b64 s[34:35], s[34:35]
	s_cbranch_execz .LBB20_741
.LBB20_836:
	s_mov_b32 s38, 0x42800000
	v_add_f32_e64 v1, |v0|, s38
	v_and_b32_e32 v1, 0xff, v1
	v_cmp_ne_u32_e32 vcc, 0, v1
	s_andn2_b64 s[4:5], s[4:5], exec
	s_and_b64 s[38:39], vcc, exec
	s_or_b64 s[4:5], s[4:5], s[38:39]
	s_or_b64 exec, exec, s[34:35]
	v_mov_b32_e32 v4, 0
	s_and_saveexec_b64 s[34:35], s[4:5]
	s_cbranch_execnz .LBB20_742
	s_branch .LBB20_743
.LBB20_837:
	s_mov_b64 s[30:31], -1
.LBB20_838:
                                        ; implicit-def: $vgpr4
.LBB20_839:
	s_and_b64 vcc, exec, s[38:39]
	s_cbranch_vccz .LBB20_843
; %bb.840:
	s_cmp_eq_u32 s43, 44
	s_cbranch_scc0 .LBB20_842
; %bb.841:
	global_load_ubyte v2, v[0:1], off
	s_movk_i32 s36, 0xff
	v_mov_b32_e32 v3, 0x7f800001
	v_mov_b32_e32 v4, 0x400000
	s_mov_b64 s[30:31], 0
	s_waitcnt vmcnt(0)
	v_lshlrev_b32_e32 v5, 23, v2
	v_cmp_ne_u32_e32 vcc, s36, v2
	v_cndmask_b32_e32 v3, v3, v5, vcc
	v_cmp_ne_u32_e32 vcc, 0, v2
	v_cndmask_b32_e32 v4, v4, v3, vcc
	s_mov_b64 s[36:37], -1
	s_branch .LBB20_843
.LBB20_842:
	s_mov_b64 s[30:31], -1
                                        ; implicit-def: $vgpr4
.LBB20_843:
	s_mov_b64 s[38:39], 0
.LBB20_844:
	s_and_b64 vcc, exec, s[38:39]
	s_cbranch_vccz .LBB20_848
; %bb.845:
	s_cmp_eq_u32 s43, 29
	s_cbranch_scc0 .LBB20_847
; %bb.846:
	global_load_dwordx2 v[2:3], v[0:1], off
	s_mov_b64 s[30:31], 0
	s_mov_b64 s[36:37], -1
	s_mov_b64 s[38:39], 0
	s_waitcnt vmcnt(0)
	v_ffbh_u32_e32 v4, v3
	v_min_u32_e32 v4, 32, v4
	v_lshlrev_b64 v[2:3], v4, v[2:3]
	v_min_u32_e32 v2, 1, v2
	v_or_b32_e32 v2, v3, v2
	v_cvt_f32_u32_e32 v2, v2
	v_sub_u32_e32 v3, 32, v4
	v_ldexp_f32 v4, v2, v3
	s_branch .LBB20_849
.LBB20_847:
	s_mov_b64 s[30:31], -1
                                        ; implicit-def: $vgpr4
.LBB20_848:
	s_mov_b64 s[38:39], 0
.LBB20_849:
	s_and_b64 vcc, exec, s[38:39]
	s_cbranch_vccz .LBB20_867
; %bb.850:
	s_cmp_lt_i32 s43, 27
	s_cbranch_scc1 .LBB20_853
; %bb.851:
	s_cmp_gt_i32 s43, 27
	s_cbranch_scc0 .LBB20_854
; %bb.852:
	global_load_dword v2, v[0:1], off
	s_mov_b64 s[36:37], 0
	s_waitcnt vmcnt(0)
	v_cvt_f32_u32_e32 v4, v2
	s_branch .LBB20_855
.LBB20_853:
	s_mov_b64 s[36:37], -1
                                        ; implicit-def: $vgpr4
	s_branch .LBB20_858
.LBB20_854:
	s_mov_b64 s[36:37], -1
                                        ; implicit-def: $vgpr4
.LBB20_855:
	s_andn2_b64 vcc, exec, s[36:37]
	s_cbranch_vccnz .LBB20_857
; %bb.856:
	global_load_ushort v2, v[0:1], off
	s_waitcnt vmcnt(0)
	v_cvt_f32_u32_e32 v4, v2
.LBB20_857:
	s_mov_b64 s[36:37], 0
.LBB20_858:
	s_andn2_b64 vcc, exec, s[36:37]
	s_cbranch_vccnz .LBB20_866
; %bb.859:
	global_load_ubyte v2, v[0:1], off
	s_movk_i32 s36, 0x7f
	s_waitcnt vmcnt(0)
	v_cmp_lt_i16_e32 vcc, s36, v2
	s_mov_b64 s[36:37], 0
	s_and_saveexec_b64 s[38:39], vcc
	s_xor_b64 s[38:39], exec, s[38:39]
	s_cbranch_execz .LBB20_880
; %bb.860:
	s_movk_i32 s36, 0x80
	v_cmp_eq_u16_e32 vcc, s36, v2
	s_mov_b64 s[36:37], -1
	s_and_saveexec_b64 s[40:41], vcc
; %bb.861:
	s_xor_b64 s[36:37], exec, -1
; %bb.862:
	s_or_b64 exec, exec, s[40:41]
	s_and_b64 s[36:37], s[36:37], exec
	s_or_saveexec_b64 s[38:39], s[38:39]
	v_mov_b32_e32 v4, 0x7f800001
	s_xor_b64 exec, exec, s[38:39]
	s_cbranch_execnz .LBB20_881
.LBB20_863:
	s_or_b64 exec, exec, s[38:39]
	s_and_saveexec_b64 s[38:39], s[36:37]
	s_cbranch_execz .LBB20_865
.LBB20_864:
	v_lshlrev_b32_e32 v3, 24, v2
	v_and_b32_e32 v2, 0xffff, v2
	v_and_b32_e32 v4, 7, v2
	v_ffbh_u32_e32 v6, v4
	v_min_u32_e32 v6, 32, v6
	v_subrev_u32_e32 v8, 28, v6
	v_bfe_u32 v5, v2, 3, 4
	v_lshlrev_b32_e32 v2, v8, v2
	v_sub_u32_e32 v6, 29, v6
	v_and_b32_e32 v2, 7, v2
	v_cmp_eq_u32_e32 vcc, 0, v5
	v_cndmask_b32_e32 v5, v5, v6, vcc
	v_cndmask_b32_e32 v2, v4, v2, vcc
	v_mov_b32_e32 v4, 0x3b800000
	v_lshlrev_b32_e32 v2, 20, v2
	v_and_b32_e32 v3, 0x80000000, v3
	v_lshl_add_u32 v4, v5, 23, v4
	v_or3_b32 v4, v3, v4, v2
.LBB20_865:
	s_or_b64 exec, exec, s[38:39]
.LBB20_866:
	s_mov_b64 s[36:37], -1
.LBB20_867:
	s_mov_b64 s[38:39], 0
.LBB20_868:
	s_and_b64 vcc, exec, s[38:39]
	s_cbranch_vccz .LBB20_901
; %bb.869:
	s_cmp_gt_i32 s43, 22
	s_cbranch_scc0 .LBB20_879
; %bb.870:
	s_cmp_lt_i32 s43, 24
	s_cbranch_scc1 .LBB20_882
; %bb.871:
	s_cmp_gt_i32 s43, 24
	s_cbranch_scc0 .LBB20_883
; %bb.872:
	global_load_ubyte v2, v[0:1], off
	s_movk_i32 s34, 0x7f
	s_waitcnt vmcnt(0)
	v_cmp_lt_i16_e32 vcc, s34, v2
	s_mov_b64 s[34:35], 0
	s_and_saveexec_b64 s[36:37], vcc
	s_xor_b64 s[36:37], exec, s[36:37]
	s_cbranch_execz .LBB20_895
; %bb.873:
	s_movk_i32 s34, 0x80
	v_cmp_eq_u16_e32 vcc, s34, v2
	s_mov_b64 s[34:35], -1
	s_and_saveexec_b64 s[38:39], vcc
; %bb.874:
	s_xor_b64 s[34:35], exec, -1
; %bb.875:
	s_or_b64 exec, exec, s[38:39]
	s_and_b64 s[34:35], s[34:35], exec
	s_or_saveexec_b64 s[36:37], s[36:37]
	v_mov_b32_e32 v4, 0x7f800001
	s_xor_b64 exec, exec, s[36:37]
	s_cbranch_execnz .LBB20_896
.LBB20_876:
	s_or_b64 exec, exec, s[36:37]
	s_and_saveexec_b64 s[36:37], s[34:35]
	s_cbranch_execz .LBB20_878
.LBB20_877:
	v_lshlrev_b32_e32 v3, 24, v2
	v_and_b32_e32 v2, 0xffff, v2
	v_and_b32_e32 v4, 3, v2
	v_ffbh_u32_e32 v6, v4
	v_min_u32_e32 v6, 32, v6
	v_subrev_u32_e32 v8, 29, v6
	v_bfe_u32 v5, v2, 2, 5
	v_lshlrev_b32_e32 v2, v8, v2
	v_sub_u32_e32 v6, 30, v6
	v_and_b32_e32 v2, 3, v2
	v_cmp_eq_u32_e32 vcc, 0, v5
	v_cndmask_b32_e32 v5, v5, v6, vcc
	v_cndmask_b32_e32 v2, v4, v2, vcc
	v_mov_b32_e32 v4, 0x37800000
	v_lshlrev_b32_e32 v2, 21, v2
	v_and_b32_e32 v3, 0x80000000, v3
	v_lshl_add_u32 v4, v5, 23, v4
	v_or3_b32 v4, v3, v4, v2
.LBB20_878:
	s_or_b64 exec, exec, s[36:37]
	s_mov_b64 s[34:35], 0
	s_branch .LBB20_884
.LBB20_879:
	s_mov_b64 s[34:35], -1
                                        ; implicit-def: $vgpr4
	s_branch .LBB20_890
.LBB20_880:
	s_or_saveexec_b64 s[38:39], s[38:39]
	v_mov_b32_e32 v4, 0x7f800001
	s_xor_b64 exec, exec, s[38:39]
	s_cbranch_execz .LBB20_863
.LBB20_881:
	v_cmp_ne_u16_e32 vcc, 0, v2
	s_andn2_b64 s[36:37], s[36:37], exec
	s_and_b64 s[40:41], vcc, exec
	v_mov_b32_e32 v4, 0
	s_or_b64 s[36:37], s[36:37], s[40:41]
	s_or_b64 exec, exec, s[38:39]
	s_and_saveexec_b64 s[38:39], s[36:37]
	s_cbranch_execnz .LBB20_864
	s_branch .LBB20_865
.LBB20_882:
	s_mov_b64 s[34:35], -1
                                        ; implicit-def: $vgpr4
	s_branch .LBB20_887
.LBB20_883:
	s_mov_b64 s[34:35], -1
                                        ; implicit-def: $vgpr4
.LBB20_884:
	s_and_b64 vcc, exec, s[34:35]
	s_cbranch_vccz .LBB20_886
; %bb.885:
	global_load_ubyte v2, v[0:1], off
	s_mov_b32 s34, 0x7f800000
	s_waitcnt vmcnt(0)
	v_lshlrev_b32_e32 v2, 24, v2
	v_and_b32_e32 v3, 0x7f000000, v2
	v_ffbh_u32_e32 v4, v3
	v_min_u32_e32 v4, 32, v4
	v_sub_u32_e64 v4, v4, 4 clamp
	v_lshlrev_b32_e32 v6, v4, v3
	v_lshlrev_b32_e32 v4, 23, v4
	v_lshrrev_b32_e32 v6, 4, v6
	v_add_u32_e32 v5, 0x1000000, v3
	v_sub_u32_e32 v4, v6, v4
	v_ashrrev_i32_e32 v5, 8, v5
	v_add_u32_e32 v4, 0x3c000000, v4
	v_and_or_b32 v4, v5, s34, v4
	v_cmp_ne_u32_e32 vcc, 0, v3
	v_cndmask_b32_e32 v3, 0, v4, vcc
	s_brev_b32 s34, 1
	v_and_or_b32 v4, v2, s34, v3
.LBB20_886:
	s_mov_b64 s[34:35], 0
.LBB20_887:
	s_andn2_b64 vcc, exec, s[34:35]
	s_cbranch_vccnz .LBB20_889
; %bb.888:
	global_load_ubyte v2, v[0:1], off
	s_movk_i32 s34, 0x7f00
	s_brev_b32 s35, 16
	s_waitcnt vmcnt(0)
	v_lshlrev_b16_e32 v3, 8, v2
	v_lshlrev_b32_e32 v2, 25, v2
	v_lshrrev_b32_e32 v4, 4, v2
	v_and_or_b32 v5, v3, s34, 0.5
	v_or_b32_e32 v4, 0x70000000, v4
	v_add_f32_e32 v5, -0.5, v5
	v_mul_f32_e32 v4, 0x7800000, v4
	v_cmp_gt_u32_e32 vcc, s35, v2
	v_bfe_i32 v3, v3, 0, 16
	v_cndmask_b32_e32 v2, v4, v5, vcc
	s_brev_b32 s34, 1
	v_and_or_b32 v4, v3, s34, v2
.LBB20_889:
	s_mov_b64 s[34:35], 0
	s_mov_b64 s[36:37], -1
.LBB20_890:
	s_andn2_b64 vcc, exec, s[34:35]
	s_mov_b64 s[34:35], 0
	s_cbranch_vccnz .LBB20_901
; %bb.891:
	s_cmp_gt_i32 s43, 14
	s_cbranch_scc0 .LBB20_894
; %bb.892:
	s_cmp_eq_u32 s43, 15
	s_cbranch_scc0 .LBB20_897
; %bb.893:
	global_load_ushort v2, v[0:1], off
	s_mov_b64 s[30:31], 0
	s_mov_b64 s[36:37], -1
	s_waitcnt vmcnt(0)
	v_lshlrev_b32_e32 v4, 16, v2
	s_branch .LBB20_898
.LBB20_894:
	s_mov_b64 s[38:39], -1
                                        ; implicit-def: $vgpr4
	s_branch .LBB20_899
.LBB20_895:
	s_or_saveexec_b64 s[36:37], s[36:37]
	v_mov_b32_e32 v4, 0x7f800001
	s_xor_b64 exec, exec, s[36:37]
	s_cbranch_execz .LBB20_876
.LBB20_896:
	v_cmp_ne_u16_e32 vcc, 0, v2
	s_andn2_b64 s[34:35], s[34:35], exec
	s_and_b64 s[38:39], vcc, exec
	v_mov_b32_e32 v4, 0
	s_or_b64 s[34:35], s[34:35], s[38:39]
	s_or_b64 exec, exec, s[36:37]
	s_and_saveexec_b64 s[36:37], s[34:35]
	s_cbranch_execnz .LBB20_877
	s_branch .LBB20_878
.LBB20_897:
	s_mov_b64 s[30:31], -1
                                        ; implicit-def: $vgpr4
.LBB20_898:
	s_mov_b64 s[38:39], 0
.LBB20_899:
	s_and_b64 vcc, exec, s[38:39]
	s_cbranch_vccz .LBB20_901
; %bb.900:
	s_cmp_lg_u32 s43, 11
	s_cselect_b64 s[38:39], -1, 0
	s_andn2_b64 s[30:31], s[30:31], exec
	s_and_b64 s[38:39], s[38:39], exec
	s_mov_b64 s[34:35], -1
	s_or_b64 s[30:31], s[30:31], s[38:39]
.LBB20_901:
	s_mov_b64 s[38:39], 0
.LBB20_902:
	s_and_b64 s[40:41], s[36:37], exec
	s_and_b64 s[36:37], s[38:39], exec
	s_andn2_b64 s[38:39], s[0:1], exec
	s_and_b64 s[30:31], s[30:31], exec
	s_and_b64 s[34:35], s[34:35], exec
	s_or_b64 s[38:39], s[38:39], s[30:31]
.LBB20_903:
	s_or_b64 exec, exec, s[28:29]
	s_and_b64 s[30:31], s[34:35], exec
	s_andn2_b64 s[0:1], s[0:1], exec
	s_and_b64 s[34:35], s[38:39], exec
	s_and_b64 s[28:29], s[40:41], exec
	;; [unrolled: 1-line block ×3, first 2 shown]
	s_or_b64 s[0:1], s[0:1], s[34:35]
.LBB20_904:
	s_or_b64 exec, exec, s[4:5]
	s_andn2_b64 s[4:5], s[24:25], exec
	s_and_b64 s[2:3], s[2:3], exec
	s_andn2_b64 s[22:23], s[22:23], exec
	s_and_b64 s[0:1], s[0:1], exec
	s_or_b64 s[24:25], s[4:5], s[2:3]
	s_and_b64 s[28:29], s[28:29], exec
	s_and_b64 s[4:5], s[36:37], exec
	s_and_b64 s[2:3], s[30:31], exec
	s_or_b64 s[22:23], s[22:23], s[0:1]
.LBB20_905:
	s_or_b64 exec, exec, s[26:27]
	s_andn2_b64 s[0:1], s[16:17], exec
	s_and_b64 s[16:17], s[24:25], exec
	s_and_b64 s[24:25], s[2:3], exec
	s_andn2_b64 s[2:3], s[18:19], exec
	s_and_b64 s[18:19], s[22:23], exec
	s_or_b64 s[16:17], s[0:1], s[16:17]
	s_and_b64 s[0:1], s[28:29], exec
	s_and_b64 s[4:5], s[4:5], exec
	s_or_b64 s[18:19], s[2:3], s[18:19]
	s_or_b64 exec, exec, s[20:21]
	s_mov_b64 s[20:21], 0
	s_and_saveexec_b64 s[2:3], s[18:19]
	s_cbranch_execz .LBB20_277
.LBB20_906:
	s_mov_b64 s[20:21], exec
	s_andn2_b64 s[24:25], s[24:25], exec
	s_trap 2
	s_or_b64 exec, exec, s[2:3]
	s_and_saveexec_b64 s[2:3], s[24:25]
	s_xor_b64 s[2:3], exec, s[2:3]
	s_cbranch_execnz .LBB20_278
.LBB20_907:
	s_or_b64 exec, exec, s[2:3]
	s_and_saveexec_b64 s[2:3], s[4:5]
	s_cbranch_execz .LBB20_953
.LBB20_908:
	s_sext_i32_i16 s4, s42
	s_cmp_lt_i32 s4, 5
	s_cbranch_scc1 .LBB20_913
; %bb.909:
	s_cmp_lt_i32 s4, 8
	s_cbranch_scc1 .LBB20_914
; %bb.910:
	;; [unrolled: 3-line block ×3, first 2 shown]
	s_cmp_gt_i32 s4, 9
	s_cbranch_scc0 .LBB20_916
; %bb.912:
	global_load_dwordx2 v[2:3], v[0:1], off
	s_mov_b64 s[4:5], 0
	s_waitcnt vmcnt(0)
	v_cvt_f32_f64_e32 v4, v[2:3]
	s_branch .LBB20_917
.LBB20_913:
                                        ; implicit-def: $vgpr4
	s_branch .LBB20_934
.LBB20_914:
                                        ; implicit-def: $vgpr4
	s_branch .LBB20_923
.LBB20_915:
	s_mov_b64 s[4:5], -1
                                        ; implicit-def: $vgpr4
	s_branch .LBB20_920
.LBB20_916:
	s_mov_b64 s[4:5], -1
                                        ; implicit-def: $vgpr4
.LBB20_917:
	s_andn2_b64 vcc, exec, s[4:5]
	s_cbranch_vccnz .LBB20_919
; %bb.918:
	global_load_dword v4, v[0:1], off
.LBB20_919:
	s_mov_b64 s[4:5], 0
.LBB20_920:
	s_andn2_b64 vcc, exec, s[4:5]
	s_cbranch_vccnz .LBB20_922
; %bb.921:
	global_load_dword v2, v[0:1], off
	s_waitcnt vmcnt(0)
	v_cvt_f32_f16_e32 v4, v2
.LBB20_922:
	s_cbranch_execnz .LBB20_933
.LBB20_923:
	s_sext_i32_i16 s4, s42
	s_cmp_lt_i32 s4, 6
	s_cbranch_scc1 .LBB20_926
; %bb.924:
	s_cmp_gt_i32 s4, 6
	s_cbranch_scc0 .LBB20_927
; %bb.925:
	global_load_dwordx2 v[2:3], v[0:1], off
	s_mov_b64 s[4:5], 0
	s_waitcnt vmcnt(0)
	v_cvt_f32_f64_e32 v4, v[2:3]
	s_branch .LBB20_928
.LBB20_926:
	s_mov_b64 s[4:5], -1
                                        ; implicit-def: $vgpr4
	s_branch .LBB20_931
.LBB20_927:
	s_mov_b64 s[4:5], -1
                                        ; implicit-def: $vgpr4
.LBB20_928:
	s_andn2_b64 vcc, exec, s[4:5]
	s_cbranch_vccnz .LBB20_930
; %bb.929:
	global_load_dword v4, v[0:1], off
.LBB20_930:
	s_mov_b64 s[4:5], 0
.LBB20_931:
	s_andn2_b64 vcc, exec, s[4:5]
	s_cbranch_vccnz .LBB20_933
; %bb.932:
	global_load_ushort v2, v[0:1], off
	s_waitcnt vmcnt(0)
	v_cvt_f32_f16_e32 v4, v2
.LBB20_933:
	s_cbranch_execnz .LBB20_952
.LBB20_934:
	s_sext_i32_i16 s4, s42
	s_cmp_lt_i32 s4, 2
	s_cbranch_scc1 .LBB20_938
; %bb.935:
	s_cmp_lt_i32 s4, 3
	s_cbranch_scc1 .LBB20_939
; %bb.936:
	s_cmp_gt_i32 s4, 3
	s_cbranch_scc0 .LBB20_940
; %bb.937:
	global_load_dwordx2 v[2:3], v[0:1], off
	s_mov_b64 s[4:5], 0
	s_waitcnt vmcnt(0)
	v_xor_b32_e32 v5, v2, v3
	v_ffbh_i32_e32 v4, v3
	v_ashrrev_i32_e32 v5, 31, v5
	v_add_u32_e32 v4, -1, v4
	v_add_u32_e32 v5, 32, v5
	v_min_u32_e32 v4, v4, v5
	v_lshlrev_b64 v[2:3], v4, v[2:3]
	v_min_u32_e32 v2, 1, v2
	v_or_b32_e32 v2, v3, v2
	v_cvt_f32_i32_e32 v2, v2
	v_sub_u32_e32 v3, 32, v4
	v_ldexp_f32 v4, v2, v3
	s_branch .LBB20_941
.LBB20_938:
                                        ; implicit-def: $vgpr4
	s_branch .LBB20_947
.LBB20_939:
	s_mov_b64 s[4:5], -1
                                        ; implicit-def: $vgpr4
	s_branch .LBB20_944
.LBB20_940:
	s_mov_b64 s[4:5], -1
                                        ; implicit-def: $vgpr4
.LBB20_941:
	s_andn2_b64 vcc, exec, s[4:5]
	s_cbranch_vccnz .LBB20_943
; %bb.942:
	global_load_dword v2, v[0:1], off
	s_waitcnt vmcnt(0)
	v_cvt_f32_i32_e32 v4, v2
.LBB20_943:
	s_mov_b64 s[4:5], 0
.LBB20_944:
	s_andn2_b64 vcc, exec, s[4:5]
	s_cbranch_vccnz .LBB20_946
; %bb.945:
	global_load_sshort v2, v[0:1], off
	s_waitcnt vmcnt(0)
	v_cvt_f32_i32_e32 v4, v2
.LBB20_946:
	s_cbranch_execnz .LBB20_952
.LBB20_947:
	s_sext_i32_i16 s4, s42
	s_cmp_gt_i32 s4, 0
	s_cbranch_scc0 .LBB20_949
; %bb.948:
	global_load_sbyte v2, v[0:1], off
	s_mov_b64 s[4:5], 0
	s_waitcnt vmcnt(0)
	v_cvt_f32_i32_e32 v4, v2
	s_branch .LBB20_950
.LBB20_949:
	s_mov_b64 s[4:5], -1
                                        ; implicit-def: $vgpr4
.LBB20_950:
	s_andn2_b64 vcc, exec, s[4:5]
	s_cbranch_vccnz .LBB20_952
; %bb.951:
	global_load_ubyte v0, v[0:1], off
	s_waitcnt vmcnt(0)
	v_cvt_f32_ubyte0_e32 v4, v0
.LBB20_952:
	s_or_b64 s[0:1], s[0:1], exec
.LBB20_953:
	s_or_b64 exec, exec, s[2:3]
	s_mov_b64 s[4:5], 0
	s_mov_b64 s[2:3], 0
                                        ; implicit-def: $sgpr26
                                        ; implicit-def: $vgpr2_vgpr3
                                        ; implicit-def: $vgpr0
	s_and_saveexec_b64 s[18:19], s[0:1]
	s_cbranch_execz .LBB20_963
; %bb.954:
	s_waitcnt vmcnt(0)
	v_cmp_gt_f32_e32 vcc, 0, v4
	v_cndmask_b32_e64 v1, v4, -v4, vcc
	s_mov_b32 s0, 0x40a00000
	v_cmp_ge_f32_e32 vcc, s0, v1
	v_mul_f32_e32 v3, v1, v1
                                        ; implicit-def: $vgpr0
	s_and_saveexec_b64 s[0:1], vcc
	s_xor_b64 s[0:1], exec, s[0:1]
	s_cbranch_execz .LBB20_960
; %bb.955:
	s_mov_b32 s2, 0x3727c5ac
	v_cmp_ngt_f32_e32 vcc, s2, v1
                                        ; implicit-def: $vgpr0
	s_and_saveexec_b64 s[2:3], vcc
	s_xor_b64 s[2:3], exec, s[2:3]
	s_cbranch_execz .LBB20_957
; %bb.956:
	v_mov_b32_e32 v0, 0xcf8ee29d
	v_fmac_f32_e32 v0, 0, v3
	v_mov_b32_e32 v1, 0x53e3ba8e
	v_fmac_f32_e32 v1, v3, v0
	;; [unrolled: 2-line block ×12, first 2 shown]
	v_add_f32_e32 v0, 0xc0b90fdc, v3
	v_add_f32_e32 v3, 0xc1f3c525, v3
	v_mul_f32_e32 v0, v0, v3
	v_mul_f32_e32 v0, v0, v1
	v_div_scale_f32 v1, s[4:5], v2, v2, v0
	v_div_scale_f32 v3, vcc, v0, v2, v0
	v_rcp_f32_e32 v4, v1
	v_fma_f32 v5, -v1, v4, 1.0
	v_fmac_f32_e32 v4, v5, v4
	v_mul_f32_e32 v5, v3, v4
	v_fma_f32 v6, -v1, v5, v3
	v_fmac_f32_e32 v5, v6, v4
	v_fma_f32 v1, -v1, v5, v3
	v_div_fmas_f32 v1, v1, v4, v5
                                        ; implicit-def: $vgpr3
	v_div_fixup_f32 v0, v1, v2, v0
.LBB20_957:
	s_andn2_saveexec_b64 s[2:3], s[2:3]
; %bb.958:
	s_mov_b32 s4, 0xbe800000
	v_fma_f32 v0, v3, s4, 1.0
; %bb.959:
	s_or_b64 exec, exec, s[2:3]
                                        ; implicit-def: $vgpr3
                                        ; implicit-def: $vgpr1
.LBB20_960:
	s_andn2_saveexec_b64 s[22:23], s[0:1]
	s_cbranch_execz .LBB20_973
; %bb.961:
	v_add_f32_e32 v0, 0xbf490fdb, v1
	v_and_b32_e32 v2, 0x7fffffff, v0
	s_brev_b32 s0, 18
	v_cmp_nlt_f32_e64 s[24:25], |v0|, s0
	v_lshrrev_b32_e32 v9, 23, v2
                                        ; implicit-def: $vgpr4
                                        ; implicit-def: $vgpr5
	s_and_saveexec_b64 s[0:1], s[24:25]
	s_xor_b64 s[26:27], exec, s[0:1]
	s_cbranch_execz .LBB20_966
; %bb.962:
	v_and_b32_e32 v4, 0x7fffff, v2
	v_or_b32_e32 v8, 0x800000, v4
	s_mov_b32 s0, 0xfe5163ab
	v_mad_u64_u32 v[4:5], s[0:1], v8, s0, 0
	v_mov_b32_e32 v6, 0
	s_mov_b32 s0, 0x3c439041
	v_mad_u64_u32 v[10:11], s[0:1], v8, s0, v[5:6]
	s_mov_b32 s0, 0xdb629599
	v_add_u32_e32 v15, 0xffffff88, v9
	v_mov_b32_e32 v5, v11
	v_mad_u64_u32 v[11:12], s[0:1], v8, s0, v[5:6]
	s_mov_b32 s0, 0xf534ddc0
	v_not_b32_e32 v16, 63
	v_mov_b32_e32 v5, v12
	v_mad_u64_u32 v[12:13], s[0:1], v8, s0, v[5:6]
	s_mov_b32 s0, 0xfc2757d1
	v_cmp_lt_u32_e32 vcc, 63, v15
	v_mov_b32_e32 v5, v13
	v_mad_u64_u32 v[13:14], s[0:1], v8, s0, v[5:6]
	v_cndmask_b32_e32 v5, 0, v16, vcc
	v_add_u32_e32 v16, v5, v15
	v_mov_b32_e32 v5, v14
	s_mov_b32 s0, 0x4e441529
	v_mad_u64_u32 v[14:15], s[0:1], v8, s0, v[5:6]
	v_not_b32_e32 v17, 31
	v_cmp_lt_u32_e64 s[0:1], 31, v16
	v_cndmask_b32_e64 v5, 0, v17, s[0:1]
	v_add_u32_e32 v16, v5, v16
	v_mov_b32_e32 v5, v15
	s_mov_b32 s2, 0xa2f9836e
	v_mad_u64_u32 v[5:6], s[2:3], v8, s2, v[5:6]
	v_cmp_lt_u32_e64 s[2:3], 31, v16
	v_cndmask_b32_e64 v8, 0, v17, s[2:3]
	v_cndmask_b32_e32 v15, v14, v12, vcc
	v_cndmask_b32_e32 v5, v5, v13, vcc
	;; [unrolled: 1-line block ×3, first 2 shown]
	v_add_u32_e32 v8, v8, v16
	v_cndmask_b32_e64 v16, v5, v15, s[0:1]
	v_cndmask_b32_e64 v5, v6, v5, s[0:1]
	v_cndmask_b32_e32 v6, v13, v11, vcc
	v_cndmask_b32_e64 v13, v15, v6, s[0:1]
	v_cndmask_b32_e64 v5, v5, v16, s[2:3]
	;; [unrolled: 1-line block ×3, first 2 shown]
	v_sub_u32_e32 v15, 32, v8
	v_alignbit_b32 v16, v5, v14, v15
	v_cmp_eq_u32_e64 s[4:5], 0, v8
	v_cndmask_b32_e64 v8, v16, v5, s[4:5]
	v_cndmask_b32_e32 v5, v12, v10, vcc
	v_cndmask_b32_e64 v6, v6, v5, s[0:1]
	v_cndmask_b32_e64 v10, v13, v6, s[2:3]
	v_alignbit_b32 v12, v14, v10, v15
	v_cndmask_b32_e32 v4, v11, v4, vcc
	v_cndmask_b32_e64 v12, v12, v14, s[4:5]
	v_bfe_u32 v16, v8, 29, 1
	v_cndmask_b32_e64 v4, v5, v4, s[0:1]
	v_alignbit_b32 v13, v8, v12, 30
	v_sub_u32_e32 v17, 0, v16
	v_cndmask_b32_e64 v4, v6, v4, s[2:3]
	v_xor_b32_e32 v13, v13, v17
	v_alignbit_b32 v5, v10, v4, v15
	v_cndmask_b32_e64 v5, v5, v10, s[4:5]
	v_ffbh_u32_e32 v10, v13
	v_alignbit_b32 v6, v12, v5, 30
	v_min_u32_e32 v10, 32, v10
	v_alignbit_b32 v4, v5, v4, 30
	v_xor_b32_e32 v6, v6, v17
	v_sub_u32_e32 v11, 31, v10
	v_xor_b32_e32 v4, v4, v17
	v_alignbit_b32 v12, v13, v6, v11
	v_alignbit_b32 v4, v6, v4, v11
	;; [unrolled: 1-line block ×3, first 2 shown]
	v_ffbh_u32_e32 v6, v5
	v_min_u32_e32 v6, 32, v6
	v_lshrrev_b32_e32 v14, 29, v8
	v_not_b32_e32 v11, v6
	v_alignbit_b32 v4, v5, v4, v11
	v_lshlrev_b32_e32 v5, 31, v14
	v_or_b32_e32 v11, 0x33000000, v5
	v_add_lshl_u32 v6, v6, v10, 23
	v_lshrrev_b32_e32 v4, 9, v4
	v_sub_u32_e32 v6, v11, v6
	v_or_b32_e32 v5, 0.5, v5
	v_lshlrev_b32_e32 v10, 23, v10
	v_or_b32_e32 v4, v6, v4
	v_lshrrev_b32_e32 v6, 9, v12
	v_sub_u32_e32 v5, v5, v10
	v_or_b32_e32 v5, v6, v5
	s_mov_b32 s0, 0x3fc90fda
	v_mul_f32_e32 v6, 0x3fc90fda, v5
	v_fma_f32 v10, v5, s0, -v6
	v_fmac_f32_e32 v10, 0x33a22168, v5
	v_fmac_f32_e32 v10, 0x3fc90fda, v4
	v_lshrrev_b32_e32 v4, 30, v8
	v_add_f32_e32 v5, v6, v10
	v_add_u32_e32 v4, v16, v4
	s_andn2_saveexec_b64 s[0:1], s[26:27]
	s_cbranch_execz .LBB20_968
	s_branch .LBB20_967
.LBB20_963:
	s_or_b64 exec, exec, s[18:19]
	s_and_saveexec_b64 s[0:1], s[16:17]
	s_cbranch_execnz .LBB20_1050
.LBB20_964:
	s_or_b64 exec, exec, s[0:1]
	s_and_saveexec_b64 s[0:1], s[4:5]
	s_xor_b64 s[0:1], exec, s[0:1]
	s_cbranch_execz .LBB20_1051
.LBB20_965:
	v_cmp_neq_f32_e32 vcc, 0, v0
	v_cndmask_b32_e64 v1, 0, 1, vcc
	s_waitcnt vmcnt(0)
	global_store_byte v[2:3], v1, off
	s_or_b64 exec, exec, s[0:1]
	s_and_saveexec_b64 s[0:1], s[2:3]
	s_xor_b64 s[0:1], exec, s[0:1]
	s_cbranch_execz .LBB20_1089
	s_branch .LBB20_1052
.LBB20_966:
	s_andn2_saveexec_b64 s[0:1], s[26:27]
	s_cbranch_execz .LBB20_968
.LBB20_967:
	s_mov_b32 s2, 0x3f22f983
	v_mul_f32_e64 v4, |v0|, s2
	v_rndne_f32_e32 v6, v4
	s_mov_b32 s2, 0xbfc90fda
	v_cvt_i32_f32_e32 v4, v6
	v_fma_f32 v5, v6, s2, |v0|
	v_fmac_f32_e32 v5, 0xb3a22168, v6
	v_fmac_f32_e32 v5, 0xa7c234c4, v6
.LBB20_968:
	s_or_b64 exec, exec, s[0:1]
                                        ; implicit-def: $vgpr6
                                        ; implicit-def: $vgpr8
	s_and_saveexec_b64 s[0:1], s[24:25]
	s_xor_b64 s[24:25], exec, s[0:1]
	s_cbranch_execz .LBB20_970
; %bb.969:
	v_and_b32_e32 v6, 0x7fffff, v2
	v_or_b32_e32 v6, 0x800000, v6
	s_mov_b32 s0, 0xfe5163ab
	v_mad_u64_u32 v[10:11], s[0:1], v6, s0, 0
	v_mov_b32_e32 v12, 0
	s_mov_b32 s0, 0x3c439041
	v_mad_u64_u32 v[13:14], s[0:1], v6, s0, v[11:12]
	s_mov_b32 s0, 0xdb629599
	v_add_u32_e32 v17, 0xffffff88, v9
	v_mov_b32_e32 v11, v14
	v_mad_u64_u32 v[14:15], s[0:1], v6, s0, v[11:12]
	s_mov_b32 s0, 0xf534ddc0
	v_not_b32_e32 v18, 63
	v_mov_b32_e32 v11, v15
	v_mad_u64_u32 v[15:16], s[0:1], v6, s0, v[11:12]
	s_mov_b32 s0, 0xfc2757d1
	v_cmp_lt_u32_e32 vcc, 63, v17
	v_mov_b32_e32 v11, v16
	v_mad_u64_u32 v[8:9], s[0:1], v6, s0, v[11:12]
	v_cndmask_b32_e32 v11, 0, v18, vcc
	v_add_u32_e32 v18, v11, v17
	v_mov_b32_e32 v11, v9
	s_mov_b32 s0, 0x4e441529
	v_mad_u64_u32 v[16:17], s[0:1], v6, s0, v[11:12]
	v_not_b32_e32 v19, 31
	v_cmp_lt_u32_e64 s[0:1], 31, v18
	v_mov_b32_e32 v11, v17
	s_mov_b32 s2, 0xa2f9836e
	v_cndmask_b32_e64 v9, 0, v19, s[0:1]
	v_mad_u64_u32 v[11:12], s[2:3], v6, s2, v[11:12]
	v_add_u32_e32 v9, v9, v18
	v_cmp_lt_u32_e64 s[2:3], 31, v9
	v_cndmask_b32_e64 v6, 0, v19, s[2:3]
	v_add_u32_e32 v6, v6, v9
	v_cndmask_b32_e32 v9, v16, v15, vcc
	v_cndmask_b32_e32 v11, v11, v8, vcc
	;; [unrolled: 1-line block ×4, first 2 shown]
	v_cndmask_b32_e64 v17, v11, v9, s[0:1]
	v_cndmask_b32_e64 v11, v12, v11, s[0:1]
	;; [unrolled: 1-line block ×5, first 2 shown]
	v_sub_u32_e32 v16, 32, v6
	v_alignbit_b32 v17, v11, v12, v16
	v_cmp_eq_u32_e64 s[4:5], 0, v6
	v_cndmask_b32_e64 v6, v17, v11, s[4:5]
	v_cndmask_b32_e32 v11, v15, v13, vcc
	v_cndmask_b32_e64 v8, v8, v11, s[0:1]
	v_cndmask_b32_e64 v9, v9, v8, s[2:3]
	v_alignbit_b32 v13, v12, v9, v16
	v_cndmask_b32_e32 v10, v14, v10, vcc
	v_cndmask_b32_e64 v12, v13, v12, s[4:5]
	v_bfe_u32 v17, v6, 29, 1
	v_cndmask_b32_e64 v10, v11, v10, s[0:1]
	v_alignbit_b32 v13, v6, v12, 30
	v_sub_u32_e32 v18, 0, v17
	v_cndmask_b32_e64 v8, v8, v10, s[2:3]
	v_xor_b32_e32 v13, v13, v18
	v_alignbit_b32 v10, v9, v8, v16
	v_cndmask_b32_e64 v9, v10, v9, s[4:5]
	v_ffbh_u32_e32 v11, v13
	v_alignbit_b32 v10, v12, v9, 30
	v_min_u32_e32 v11, 32, v11
	v_alignbit_b32 v8, v9, v8, 30
	v_xor_b32_e32 v10, v10, v18
	v_sub_u32_e32 v12, 31, v11
	v_xor_b32_e32 v8, v8, v18
	v_alignbit_b32 v13, v13, v10, v12
	v_alignbit_b32 v8, v10, v8, v12
	;; [unrolled: 1-line block ×3, first 2 shown]
	v_ffbh_u32_e32 v10, v9
	v_min_u32_e32 v10, 32, v10
	v_lshrrev_b32_e32 v15, 29, v6
	v_not_b32_e32 v12, v10
	v_alignbit_b32 v8, v9, v8, v12
	v_lshlrev_b32_e32 v9, 31, v15
	v_or_b32_e32 v12, 0x33000000, v9
	v_add_lshl_u32 v10, v10, v11, 23
	v_lshrrev_b32_e32 v8, 9, v8
	v_sub_u32_e32 v10, v12, v10
	v_or_b32_e32 v9, 0.5, v9
	v_lshlrev_b32_e32 v11, 23, v11
	v_or_b32_e32 v8, v10, v8
	v_lshrrev_b32_e32 v10, 9, v13
	v_sub_u32_e32 v9, v9, v11
	v_or_b32_e32 v9, v10, v9
	s_mov_b32 s0, 0x3fc90fda
	v_mul_f32_e32 v10, 0x3fc90fda, v9
	v_fma_f32 v11, v9, s0, -v10
	v_fmac_f32_e32 v11, 0x33a22168, v9
	v_fmac_f32_e32 v11, 0x3fc90fda, v8
	v_lshrrev_b32_e32 v6, 30, v6
	v_add_f32_e32 v8, v10, v11
	v_add_u32_e32 v6, v17, v6
	s_andn2_saveexec_b64 s[0:1], s[24:25]
	s_cbranch_execnz .LBB20_971
	s_branch .LBB20_972
.LBB20_970:
	s_andn2_saveexec_b64 s[0:1], s[24:25]
	s_cbranch_execz .LBB20_972
.LBB20_971:
	s_mov_b32 s2, 0x3f22f983
	v_mul_f32_e64 v6, |v0|, s2
	v_rndne_f32_e32 v9, v6
	s_mov_b32 s2, 0xbfc90fda
	v_cvt_i32_f32_e32 v6, v9
	v_fma_f32 v8, v9, s2, |v0|
	v_fmac_f32_e32 v8, 0xb3a22168, v9
	v_fmac_f32_e32 v8, 0xa7c234c4, v9
.LBB20_972:
	s_or_b64 exec, exec, s[0:1]
	s_mov_b32 s2, 0x41c80000
	v_div_scale_f32 v10, s[0:1], v3, v3, s2
	v_div_scale_f32 v11, vcc, s2, v3, s2
	v_mov_b32_e32 v9, 0x3a50e985
	v_mov_b32_e32 v18, 0x3a725406
	;; [unrolled: 1-line block ×10, first 2 shown]
	s_mov_b32 s4, 0xc0a00000
	v_mov_b32_e32 v24, 0xc19c6e80
	v_rcp_f32_e32 v12, v10
	v_mov_b32_e32 v25, 0xc2ba697b
	v_mov_b32_e32 v26, 0x4500e17e
	;; [unrolled: 1-line block ×3, first 2 shown]
	v_fma_f32 v13, -v10, v12, 1.0
	v_fmac_f32_e32 v12, v13, v12
	v_mul_f32_e32 v13, v11, v12
	v_fma_f32 v14, -v10, v13, v11
	v_fmac_f32_e32 v13, v14, v12
	v_fma_f32 v10, -v10, v13, v11
	v_div_fmas_f32 v14, v10, v12, v13
	v_mov_b32_e32 v11, 0x3da9a586
	v_mov_b32_e32 v13, 0x3f9ea90a
	;; [unrolled: 1-line block ×5, first 2 shown]
	v_div_fixup_f32 v3, v14, v3, s2
	v_fmac_f32_e32 v9, 0, v3
	v_fmac_f32_e32 v18, 0, v3
	;; [unrolled: 1-line block ×12, first 2 shown]
	v_fma_f32 v9, v3, v23, 1.0
	v_fma_f32 v11, v3, v17, 1.0
	v_div_scale_f32 v13, s[0:1], v9, v9, v11
	v_div_scale_f32 v18, vcc, v11, v9, v11
	v_div_scale_f32 v19, s[0:1], v1, v1, s4
	v_mov_b32_e32 v15, 0x4280a2ba
	v_fmac_f32_e32 v12, 0, v3
	v_mov_b32_e32 v16, 0x44561b86
	v_fmac_f32_e32 v15, 0, v3
	v_fmac_f32_e32 v10, v3, v12
	v_mov_b32_e32 v20, 0x4572a66e
	v_fmac_f32_e32 v16, v3, v15
	v_fmac_f32_e32 v24, v3, v10
	v_mov_b32_e32 v14, 0xc331ae61
	v_mov_b32_e32 v21, 0x45e243be
	v_rcp_f32_e32 v28, v13
	v_fmac_f32_e32 v20, v3, v16
	v_fmac_f32_e32 v25, v3, v24
	v_mov_b32_e32 v17, 0xc31313d7
	v_fma_f32 v31, -v13, v28, 1.0
	v_fmac_f32_e32 v28, v31, v28
	v_mul_f32_e32 v31, v18, v28
	v_fma_f32 v32, -v13, v31, v18
	v_fmac_f32_e32 v31, v32, v28
	v_fma_f32 v13, -v13, v31, v18
	v_div_fmas_f32 v13, v13, v28, v31
	v_mov_b32_e32 v23, 0x45b955d1
	v_fmac_f32_e32 v21, v3, v20
	v_fmac_f32_e32 v14, v3, v25
	v_mov_b32_e32 v22, 0xc24da463
	v_div_scale_f32 v30, s[0:1], s4, v1, s4
	v_fmac_f32_e32 v23, v3, v21
	v_fmac_f32_e32 v17, v3, v14
	;; [unrolled: 1-line block ×6, first 2 shown]
	v_div_scale_f32 v3, s[2:3], v29, v29, v27
	v_div_scale_f32 v10, s[2:3], v27, v29, v27
	v_rcp_f32_e32 v32, v19
	v_div_fixup_f32 v9, v13, v9, v11
	v_mov_b32_e32 v14, 0x3c0881c4
	s_mov_b64 vcc, s[0:1]
	v_fma_f32 v11, -v19, v32, 1.0
	v_fmac_f32_e32 v32, v11, v32
	v_mul_f32_e32 v11, v30, v32
	v_fma_f32 v12, -v19, v11, v30
	v_fmac_f32_e32 v11, v12, v32
	v_mul_f32_e32 v12, v5, v5
	v_fma_f32 v13, -v19, v11, v30
	v_fmac_f32_e32 v14, 0xb94c1982, v12
	v_rcp_f32_e32 v15, v3
	v_div_fmas_f32 v11, v13, v32, v11
	v_mov_b32_e32 v13, 0xbe2aaa9d
	v_fma_f32 v14, v12, v14, v13
	v_mul_f32_e32 v14, v12, v14
	v_fmac_f32_e32 v5, v5, v14
	v_fma_f32 v14, -v3, v15, 1.0
	v_fmac_f32_e32 v15, v14, v15
	v_mul_f32_e32 v14, v10, v15
	v_fma_f32 v16, -v3, v14, v10
	v_fmac_f32_e32 v14, v16, v15
	v_fma_f32 v3, -v3, v14, v10
	s_mov_b64 vcc, s[2:3]
	v_div_fmas_f32 v3, v3, v15, v14
	v_mov_b32_e32 v10, 0xbab64f3b
	v_fmac_f32_e32 v10, 0x37d75334, v12
	v_mov_b32_e32 v14, 0x3d2aabf7
	v_fma_f32 v10, v12, v10, v14
	v_mov_b32_e32 v15, 0xbf000004
	v_fma_f32 v10, v12, v10, v15
	v_fma_f32 v10, v12, v10, 1.0
	v_and_b32_e32 v12, 1, v4
	v_cmp_eq_u32_e32 vcc, 0, v12
	v_div_fixup_f32 v11, v11, v1, s4
	v_cndmask_b32_e64 v5, -v5, v10, vcc
	v_mov_b32_e32 v10, 0xbab64f3b
	v_mov_b32_e32 v16, 0x3c0881c4
	s_movk_i32 s0, 0x1f8
	v_lshlrev_b32_e32 v4, 30, v4
	v_div_fixup_f32 v3, v3, v29, v27
	v_mul_f32_e32 v3, v11, v3
	v_mul_f32_e32 v11, v8, v8
	v_fmac_f32_e32 v10, 0x37d75334, v11
	v_fmac_f32_e32 v16, 0xb94c1982, v11
	;; [unrolled: 1-line block ×5, first 2 shown]
	v_mul_f32_e32 v12, v11, v13
	v_fma_f32 v10, v11, v15, 1.0
	v_and_b32_e32 v11, 1, v6
	v_lshlrev_b32_e32 v6, 30, v6
	v_cmp_class_f32_e64 vcc, v0, s0
	v_fmac_f32_e32 v8, v8, v12
	v_cmp_eq_u32_e64 s[0:1], 0, v11
	v_and_b32_e32 v6, 0x80000000, v6
	v_xor_b32_e32 v0, v2, v0
	v_and_b32_e32 v4, 0x80000000, v4
	v_cndmask_b32_e64 v8, v10, v8, s[0:1]
	v_xor_b32_e32 v0, v0, v6
	v_xor_b32_e32 v4, v4, v5
	v_mov_b32_e32 v5, 0x7fc00000
	v_xor_b32_e32 v0, v0, v8
	s_mov_b32 s0, 0xf800000
	v_cndmask_b32_e32 v4, v5, v4, vcc
	v_cndmask_b32_e32 v0, v5, v0, vcc
	v_mul_f32_e32 v2, 0x4f800000, v1
	v_cmp_gt_f32_e32 vcc, s0, v1
	v_cndmask_b32_e32 v1, v1, v2, vcc
	v_sqrt_f32_e32 v2, v1
	v_mul_f32_e32 v0, v3, v0
	v_fmac_f32_e32 v0, v9, v4
	v_mul_f32_e32 v0, 0x3f4c422a, v0
	v_add_u32_e32 v3, -1, v2
	v_fma_f32 v4, -v3, v2, v1
	v_cmp_ge_f32_e64 s[0:1], 0, v4
	v_add_u32_e32 v4, 1, v2
	v_cndmask_b32_e64 v3, v2, v3, s[0:1]
	v_fma_f32 v2, -v4, v2, v1
	v_cmp_lt_f32_e64 s[0:1], 0, v2
	v_cndmask_b32_e64 v2, v3, v4, s[0:1]
	v_mul_f32_e32 v3, 0x37800000, v2
	v_cndmask_b32_e32 v2, v2, v3, vcc
	v_mov_b32_e32 v3, 0x260
	v_cmp_class_f32_e32 vcc, v1, v3
	v_cndmask_b32_e32 v1, v2, v1, vcc
	v_div_scale_f32 v2, s[0:1], v1, v1, v0
	v_div_scale_f32 v3, vcc, v0, v1, v0
	v_rcp_f32_e32 v4, v2
	v_fma_f32 v5, -v2, v4, 1.0
	v_fmac_f32_e32 v4, v5, v4
	v_mul_f32_e32 v5, v3, v4
	v_fma_f32 v6, -v2, v5, v3
	v_fmac_f32_e32 v5, v6, v4
	v_fma_f32 v2, -v2, v5, v3
	v_div_fmas_f32 v2, v2, v4, v5
	v_div_fixup_f32 v0, v2, v1, v0
.LBB20_973:
	s_or_b64 exec, exec, s[22:23]
	v_mul_lo_u32 v1, v7, s12
	v_mov_b32_e32 v3, s9
	s_and_b32 s26, s33, 0xff
	s_cmp_lt_i32 s26, 11
	v_ashrrev_i32_e32 v4, 31, v1
	v_add_co_u32_e32 v2, vcc, s8, v1
	v_addc_co_u32_e32 v3, vcc, v3, v4, vcc
	s_cbranch_scc1 .LBB20_990
; %bb.974:
	s_and_b32 s27, 0xffff, s26
	s_mov_b64 s[4:5], -1
	s_cmp_gt_i32 s27, 25
	s_mov_b64 s[0:1], s[16:17]
	s_cbranch_scc0 .LBB20_1008
; %bb.975:
	s_mov_b64 s[2:3], -1
	s_cmp_gt_i32 s27, 28
	s_mov_b64 s[0:1], s[16:17]
	s_cbranch_scc0 .LBB20_992
; %bb.976:
	s_cmp_gt_i32 s27, 43
	s_mov_b64 s[0:1], s[16:17]
	s_cbranch_scc0 .LBB20_987
; %bb.977:
	;; [unrolled: 4-line block ×3, first 2 shown]
	s_cmp_eq_u32 s27, 46
	s_mov_b64 s[0:1], -1
	s_cbranch_scc0 .LBB20_980
; %bb.979:
	v_bfe_u32 v1, v0, 16, 1
	s_movk_i32 s0, 0x7fff
	v_add3_u32 v1, v0, v1, s0
	v_cmp_o_f32_e32 vcc, v0, v0
	v_mov_b32_e32 v4, 0x7fc0
	v_cndmask_b32_sdwa v1, v4, v1, vcc dst_sel:DWORD dst_unused:UNUSED_PAD src0_sel:DWORD src1_sel:WORD_1
	global_store_dword v[2:3], v1, off
	s_mov_b64 s[0:1], 0
.LBB20_980:
	s_mov_b64 s[2:3], 0
.LBB20_981:
	s_and_b64 vcc, exec, s[2:3]
	s_cbranch_vccz .LBB20_986
; %bb.982:
	s_cmp_eq_u32 s27, 44
	s_mov_b64 s[0:1], -1
	s_cbranch_scc0 .LBB20_986
; %bb.983:
	v_bfe_u32 v1, v0, 23, 8
	s_movk_i32 s0, 0xff
	v_cmp_ne_u32_e32 vcc, s0, v1
	v_mov_b32_e32 v4, 0xff
	s_and_saveexec_b64 s[2:3], vcc
; %bb.984:
	s_mov_b32 s0, 0x3fffff
	v_and_b32_e32 v5, 0x400000, v0
	v_and_or_b32 v1, v0, s0, v1
	v_cmp_ne_u32_e32 vcc, 0, v5
	v_cmp_ne_u32_e64 s[0:1], 0, v1
	s_and_b64 s[0:1], vcc, s[0:1]
	v_lshrrev_b32_e32 v4, 23, v0
	v_cndmask_b32_e64 v1, 0, 1, s[0:1]
	v_add_u32_e32 v4, v4, v1
; %bb.985:
	s_or_b64 exec, exec, s[2:3]
	s_mov_b64 s[0:1], 0
	global_store_byte v[2:3], v4, off
.LBB20_986:
	s_mov_b64 s[2:3], 0
.LBB20_987:
	s_and_b64 vcc, exec, s[2:3]
	s_cbranch_vccz .LBB20_991
; %bb.988:
	s_cmp_eq_u32 s27, 29
	s_mov_b64 s[0:1], -1
	s_cbranch_scc0 .LBB20_991
; %bb.989:
	v_trunc_f32_e32 v1, v0
	v_mul_f32_e32 v4, 0x2f800000, v1
	v_floor_f32_e32 v4, v4
	v_fmac_f32_e32 v1, 0xcf800000, v4
	v_cvt_u32_f32_e32 v5, v4
	v_cvt_u32_f32_e32 v4, v1
	s_mov_b64 s[0:1], 0
	s_mov_b64 s[2:3], 0
	global_store_dwordx2 v[2:3], v[4:5], off
	s_branch .LBB20_992
.LBB20_990:
	s_mov_b64 s[4:5], 0
	s_mov_b64 s[2:3], -1
	s_mov_b64 s[0:1], s[16:17]
	s_branch .LBB20_1049
.LBB20_991:
	s_mov_b64 s[2:3], 0
.LBB20_992:
	s_and_b64 vcc, exec, s[2:3]
	s_cbranch_vccz .LBB20_1007
; %bb.993:
	s_cmp_lt_i32 s27, 27
	s_mov_b64 s[2:3], -1
	s_cbranch_scc1 .LBB20_999
; %bb.994:
	v_cvt_u32_f32_e32 v1, v0
	s_cmp_gt_i32 s27, 27
	s_cbranch_scc0 .LBB20_996
; %bb.995:
	s_mov_b64 s[2:3], 0
	global_store_dword v[2:3], v1, off
.LBB20_996:
	s_andn2_b64 vcc, exec, s[2:3]
	s_cbranch_vccnz .LBB20_998
; %bb.997:
	global_store_short v[2:3], v1, off
.LBB20_998:
	s_mov_b64 s[2:3], 0
.LBB20_999:
	s_andn2_b64 vcc, exec, s[2:3]
	s_cbranch_vccnz .LBB20_1007
; %bb.1000:
	v_and_b32_e32 v1, 0x7fffffff, v0
	s_mov_b32 s2, 0x43800000
	v_cmp_gt_u32_e32 vcc, s2, v1
	v_mov_b32_e32 v4, 0x80
	s_and_saveexec_b64 s[2:3], vcc
	s_cbranch_execz .LBB20_1006
; %bb.1001:
	s_mov_b32 s4, 0x3bffffff
	v_cmp_lt_u32_e32 vcc, s4, v1
	s_mov_b64 s[4:5], 0
                                        ; implicit-def: $vgpr1
	s_and_saveexec_b64 s[22:23], vcc
	s_xor_b64 s[22:23], exec, s[22:23]
	s_cbranch_execz .LBB20_1104
; %bb.1002:
	v_bfe_u32 v1, v0, 20, 1
	s_mov_b32 s24, 0x487ffff
	v_add3_u32 v1, v0, v1, s24
	s_mov_b64 s[4:5], exec
	v_lshrrev_b32_e32 v1, 20, v1
	s_andn2_saveexec_b64 s[22:23], s[22:23]
	s_cbranch_execnz .LBB20_1105
.LBB20_1003:
	s_or_b64 exec, exec, s[22:23]
	v_mov_b32_e32 v4, 0
	s_and_saveexec_b64 s[22:23], s[4:5]
.LBB20_1004:
	v_lshrrev_b32_e32 v4, 24, v0
	s_movk_i32 s4, 0x80
	v_and_or_b32 v4, v4, s4, v1
.LBB20_1005:
	s_or_b64 exec, exec, s[22:23]
.LBB20_1006:
	s_or_b64 exec, exec, s[2:3]
	global_store_byte v[2:3], v4, off
.LBB20_1007:
	s_mov_b64 s[4:5], 0
.LBB20_1008:
	s_mov_b64 s[2:3], 0
	s_and_b64 vcc, exec, s[4:5]
	s_cbranch_vccz .LBB20_1048
; %bb.1009:
	s_cmp_gt_i32 s27, 22
	s_mov_b64 s[4:5], -1
	s_cbranch_scc0 .LBB20_1041
; %bb.1010:
	s_cmp_lt_i32 s27, 24
	s_cbranch_scc1 .LBB20_1030
; %bb.1011:
	s_cmp_gt_i32 s27, 24
	s_cbranch_scc0 .LBB20_1019
; %bb.1012:
	v_and_b32_e32 v1, 0x7fffffff, v0
	s_mov_b32 s4, 0x47800000
	v_cmp_gt_u32_e32 vcc, s4, v1
	v_mov_b32_e32 v4, 0x80
	s_and_saveexec_b64 s[4:5], vcc
	s_cbranch_execz .LBB20_1018
; %bb.1013:
	s_mov_b32 s22, 0x37ffffff
	v_cmp_lt_u32_e32 vcc, s22, v1
	s_mov_b64 s[22:23], 0
                                        ; implicit-def: $vgpr1
	s_and_saveexec_b64 s[24:25], vcc
	s_xor_b64 s[24:25], exec, s[24:25]
	s_cbranch_execz .LBB20_1245
; %bb.1014:
	v_bfe_u32 v1, v0, 21, 1
	s_mov_b32 s28, 0x88fffff
	v_add3_u32 v1, v0, v1, s28
	s_mov_b64 s[22:23], exec
	v_lshrrev_b32_e32 v1, 21, v1
	s_andn2_saveexec_b64 s[24:25], s[24:25]
	s_cbranch_execnz .LBB20_1246
.LBB20_1015:
	s_or_b64 exec, exec, s[24:25]
	v_mov_b32_e32 v4, 0
	s_and_saveexec_b64 s[24:25], s[22:23]
.LBB20_1016:
	v_lshrrev_b32_e32 v4, 24, v0
	s_movk_i32 s22, 0x80
	v_and_or_b32 v4, v4, s22, v1
.LBB20_1017:
	s_or_b64 exec, exec, s[24:25]
.LBB20_1018:
	s_or_b64 exec, exec, s[4:5]
	s_mov_b64 s[4:5], 0
	global_store_byte v[2:3], v4, off
.LBB20_1019:
	s_and_b64 vcc, exec, s[4:5]
	s_cbranch_vccz .LBB20_1029
; %bb.1020:
	v_and_b32_e32 v4, 0x7fffffff, v0
	s_mov_b32 s4, 0x43f00000
	v_cmp_gt_u32_e32 vcc, s4, v4
                                        ; implicit-def: $vgpr1
	s_and_saveexec_b64 s[4:5], vcc
	s_xor_b64 s[4:5], exec, s[4:5]
	s_cbranch_execz .LBB20_1026
; %bb.1021:
	s_mov_b32 s22, 0x3c7fffff
	v_cmp_lt_u32_e32 vcc, s22, v4
                                        ; implicit-def: $vgpr1
	s_and_saveexec_b64 s[22:23], vcc
	s_xor_b64 s[22:23], exec, s[22:23]
; %bb.1022:
	v_bfe_u32 v1, v0, 20, 1
	s_mov_b32 s24, 0x407ffff
	v_add3_u32 v1, v0, v1, s24
	v_lshrrev_b32_e32 v4, 20, v1
	v_and_b32_e32 v1, 0xff00000, v1
	s_mov_b32 s24, 0x7f00000
	v_mov_b32_e32 v5, 0x7e
	v_cmp_ne_u32_e32 vcc, s24, v1
	v_cndmask_b32_e32 v1, v5, v4, vcc
; %bb.1023:
	s_andn2_saveexec_b64 s[22:23], s[22:23]
; %bb.1024:
	s_mov_b32 s24, 0x46800000
	v_add_f32_e64 v1, |v0|, s24
; %bb.1025:
	s_or_b64 exec, exec, s[22:23]
                                        ; implicit-def: $vgpr4
.LBB20_1026:
	s_andn2_saveexec_b64 s[4:5], s[4:5]
; %bb.1027:
	s_mov_b32 s22, 0x7f800000
	v_mov_b32_e32 v1, 0x7e
	v_mov_b32_e32 v5, 0x7f
	v_cmp_lt_u32_e32 vcc, s22, v4
	v_cndmask_b32_e32 v1, v1, v5, vcc
; %bb.1028:
	s_or_b64 exec, exec, s[4:5]
	v_lshrrev_b32_e32 v4, 24, v0
	s_movk_i32 s4, 0x80
	v_and_or_b32 v1, v4, s4, v1
	global_store_byte v[2:3], v1, off
.LBB20_1029:
	s_mov_b64 s[4:5], 0
.LBB20_1030:
	s_andn2_b64 vcc, exec, s[4:5]
	s_cbranch_vccnz .LBB20_1040
; %bb.1031:
	v_and_b32_e32 v4, 0x7fffffff, v0
	s_mov_b32 s4, 0x47800000
	v_cmp_gt_u32_e32 vcc, s4, v4
                                        ; implicit-def: $vgpr1
	s_and_saveexec_b64 s[4:5], vcc
	s_xor_b64 s[4:5], exec, s[4:5]
	s_cbranch_execz .LBB20_1037
; %bb.1032:
	s_mov_b32 s22, 0x387fffff
	v_cmp_lt_u32_e32 vcc, s22, v4
                                        ; implicit-def: $vgpr1
	s_and_saveexec_b64 s[22:23], vcc
	s_xor_b64 s[22:23], exec, s[22:23]
; %bb.1033:
	v_bfe_u32 v1, v0, 21, 1
	s_mov_b32 s24, 0x80fffff
	v_add3_u32 v1, v0, v1, s24
	v_lshrrev_b32_e32 v1, 21, v1
; %bb.1034:
	s_andn2_saveexec_b64 s[22:23], s[22:23]
; %bb.1035:
	s_mov_b32 s24, 0x43000000
	v_add_f32_e64 v1, |v0|, s24
; %bb.1036:
	s_or_b64 exec, exec, s[22:23]
                                        ; implicit-def: $vgpr4
.LBB20_1037:
	s_andn2_saveexec_b64 s[4:5], s[4:5]
; %bb.1038:
	s_mov_b32 s22, 0x7f800000
	v_mov_b32_e32 v1, 0x7c
	v_mov_b32_e32 v5, 0x7f
	v_cmp_lt_u32_e32 vcc, s22, v4
	v_cndmask_b32_e32 v1, v1, v5, vcc
; %bb.1039:
	s_or_b64 exec, exec, s[4:5]
	v_lshrrev_b32_e32 v4, 24, v0
	s_movk_i32 s4, 0x80
	v_and_or_b32 v1, v4, s4, v1
	global_store_byte v[2:3], v1, off
.LBB20_1040:
	s_mov_b64 s[4:5], 0
.LBB20_1041:
	s_andn2_b64 vcc, exec, s[4:5]
	s_mov_b64 s[4:5], 0
	s_cbranch_vccnz .LBB20_1049
; %bb.1042:
	s_cmp_gt_i32 s27, 14
	s_mov_b64 s[22:23], -1
	s_cbranch_scc0 .LBB20_1046
; %bb.1043:
	s_cmp_eq_u32 s27, 15
	s_mov_b64 s[0:1], -1
	s_cbranch_scc0 .LBB20_1045
; %bb.1044:
	v_bfe_u32 v1, v0, 16, 1
	s_movk_i32 s0, 0x7fff
	v_add3_u32 v1, v0, v1, s0
	v_cmp_o_f32_e32 vcc, v0, v0
	v_mov_b32_e32 v4, 0x7fc0
	v_cndmask_b32_sdwa v1, v4, v1, vcc dst_sel:DWORD dst_unused:UNUSED_PAD src0_sel:DWORD src1_sel:WORD_1
	global_store_short v[2:3], v1, off
	s_mov_b64 s[0:1], 0
.LBB20_1045:
	s_mov_b64 s[22:23], 0
.LBB20_1046:
	s_and_b64 vcc, exec, s[22:23]
	s_cbranch_vccz .LBB20_1049
; %bb.1047:
	s_cmp_lg_u32 s27, 11
	s_cselect_b64 s[22:23], -1, 0
	s_andn2_b64 s[0:1], s[0:1], exec
	s_and_b64 s[22:23], s[22:23], exec
	s_mov_b64 s[4:5], -1
	s_or_b64 s[0:1], s[0:1], s[22:23]
	s_branch .LBB20_1049
.LBB20_1048:
	s_mov_b64 s[4:5], 0
.LBB20_1049:
	s_andn2_b64 s[16:17], s[16:17], exec
	s_and_b64 s[0:1], s[0:1], exec
	s_and_b64 s[2:3], s[2:3], exec
	;; [unrolled: 1-line block ×3, first 2 shown]
	s_or_b64 s[16:17], s[16:17], s[0:1]
	s_or_b64 exec, exec, s[18:19]
	s_and_saveexec_b64 s[0:1], s[16:17]
	s_cbranch_execz .LBB20_964
.LBB20_1050:
	s_or_b64 s[20:21], s[20:21], exec
	s_andn2_b64 s[4:5], s[4:5], exec
	s_trap 2
	s_or_b64 exec, exec, s[0:1]
	s_and_saveexec_b64 s[0:1], s[4:5]
	s_xor_b64 s[0:1], exec, s[0:1]
	s_cbranch_execnz .LBB20_965
.LBB20_1051:
	s_or_b64 exec, exec, s[0:1]
	s_and_saveexec_b64 s[0:1], s[2:3]
	s_xor_b64 s[0:1], exec, s[0:1]
	s_cbranch_execz .LBB20_1089
.LBB20_1052:
	s_sext_i32_i16 s4, s26
	s_cmp_lt_i32 s4, 5
	s_mov_b64 s[2:3], -1
	s_cbranch_scc1 .LBB20_1073
; %bb.1053:
	s_cmp_lt_i32 s4, 8
	s_cbranch_scc1 .LBB20_1063
; %bb.1054:
	s_cmp_lt_i32 s4, 9
	s_cbranch_scc1 .LBB20_1060
; %bb.1055:
	s_cmp_gt_i32 s4, 9
	s_cbranch_scc0 .LBB20_1057
; %bb.1056:
	s_waitcnt vmcnt(0)
	v_cvt_f64_f32_e32 v[4:5], v0
	v_mov_b32_e32 v6, 0
	v_mov_b32_e32 v7, v6
	s_mov_b64 s[2:3], 0
	global_store_dwordx4 v[2:3], v[4:7], off
.LBB20_1057:
	s_andn2_b64 vcc, exec, s[2:3]
	s_cbranch_vccnz .LBB20_1059
; %bb.1058:
	v_mov_b32_e32 v1, 0
	s_waitcnt vmcnt(0)
	global_store_dwordx2 v[2:3], v[0:1], off
.LBB20_1059:
	s_mov_b64 s[2:3], 0
.LBB20_1060:
	s_andn2_b64 vcc, exec, s[2:3]
	s_cbranch_vccnz .LBB20_1062
; %bb.1061:
	v_cvt_f16_f32_e32 v1, v0
	s_waitcnt vmcnt(0)
	global_store_dword v[2:3], v1, off
.LBB20_1062:
	s_mov_b64 s[2:3], 0
.LBB20_1063:
	s_andn2_b64 vcc, exec, s[2:3]
	s_cbranch_vccnz .LBB20_1072
; %bb.1064:
	s_sext_i32_i16 s4, s26
	s_cmp_lt_i32 s4, 6
	s_mov_b64 s[2:3], -1
	s_cbranch_scc1 .LBB20_1070
; %bb.1065:
	s_cmp_gt_i32 s4, 6
	s_cbranch_scc0 .LBB20_1067
; %bb.1066:
	s_waitcnt vmcnt(0)
	v_cvt_f64_f32_e32 v[4:5], v0
	s_mov_b64 s[2:3], 0
	global_store_dwordx2 v[2:3], v[4:5], off
.LBB20_1067:
	s_andn2_b64 vcc, exec, s[2:3]
	s_cbranch_vccnz .LBB20_1069
; %bb.1068:
	s_waitcnt vmcnt(0)
	global_store_dword v[2:3], v0, off
.LBB20_1069:
	s_mov_b64 s[2:3], 0
.LBB20_1070:
	s_andn2_b64 vcc, exec, s[2:3]
	s_cbranch_vccnz .LBB20_1072
; %bb.1071:
	v_cvt_f16_f32_e32 v1, v0
	s_waitcnt vmcnt(0)
	global_store_short v[2:3], v1, off
.LBB20_1072:
	s_mov_b64 s[2:3], 0
.LBB20_1073:
	s_andn2_b64 vcc, exec, s[2:3]
	s_cbranch_vccnz .LBB20_1089
; %bb.1074:
	s_sext_i32_i16 s4, s26
	s_cmp_lt_i32 s4, 2
	s_mov_b64 s[2:3], -1
	s_cbranch_scc1 .LBB20_1084
; %bb.1075:
	s_cmp_lt_i32 s4, 3
	s_cbranch_scc1 .LBB20_1081
; %bb.1076:
	s_cmp_gt_i32 s4, 3
	s_cbranch_scc0 .LBB20_1078
; %bb.1077:
	v_trunc_f32_e32 v1, v0
	s_mov_b32 s2, 0x2f800000
	s_waitcnt vmcnt(0)
	v_mul_f32_e64 v4, |v1|, s2
	v_floor_f32_e32 v4, v4
	s_mov_b32 s2, 0xcf800000
	v_cvt_u32_f32_e32 v5, v4
	v_fma_f32 v4, v4, s2, |v1|
	v_cvt_u32_f32_e32 v4, v4
	v_ashrrev_i32_e32 v1, 31, v1
	v_xor_b32_e32 v5, v5, v1
	s_mov_b64 s[2:3], 0
	v_xor_b32_e32 v4, v4, v1
	v_sub_co_u32_e32 v4, vcc, v4, v1
	v_subb_co_u32_e32 v5, vcc, v5, v1, vcc
	global_store_dwordx2 v[2:3], v[4:5], off
.LBB20_1078:
	s_andn2_b64 vcc, exec, s[2:3]
	s_cbranch_vccnz .LBB20_1080
; %bb.1079:
	v_cvt_i32_f32_e32 v1, v0
	s_waitcnt vmcnt(0)
	global_store_dword v[2:3], v1, off
.LBB20_1080:
	s_mov_b64 s[2:3], 0
.LBB20_1081:
	s_andn2_b64 vcc, exec, s[2:3]
	s_cbranch_vccnz .LBB20_1083
; %bb.1082:
	v_cvt_i32_f32_e32 v1, v0
	s_waitcnt vmcnt(0)
	global_store_short v[2:3], v1, off
.LBB20_1083:
	s_mov_b64 s[2:3], 0
.LBB20_1084:
	s_andn2_b64 vcc, exec, s[2:3]
	s_cbranch_vccnz .LBB20_1089
; %bb.1085:
	s_sext_i32_i16 s2, s26
	s_cmp_gt_i32 s2, 0
	s_mov_b64 s[2:3], -1
	s_cbranch_scc0 .LBB20_1087
; %bb.1086:
	v_cvt_i32_f32_e32 v1, v0
	s_mov_b64 s[2:3], 0
	s_waitcnt vmcnt(0)
	global_store_byte v[2:3], v1, off
.LBB20_1087:
	s_andn2_b64 vcc, exec, s[2:3]
	s_cbranch_vccnz .LBB20_1089
; %bb.1088:
	v_trunc_f32_e32 v0, v0
	s_mov_b32 s2, 0x2f800000
	v_mul_f32_e64 v1, |v0|, s2
	v_floor_f32_e32 v1, v1
	s_mov_b32 s2, 0xcf800000
	v_fma_f32 v1, v1, s2, |v0|
	v_cvt_u32_f32_e32 v1, v1
	v_ashrrev_i32_e32 v0, 31, v0
	v_xor_b32_e32 v1, v1, v0
	v_sub_u32_e32 v0, v1, v0
	s_waitcnt vmcnt(0)
	global_store_byte v[2:3], v0, off
.LBB20_1089:
	s_or_b64 exec, exec, s[0:1]
	s_and_b64 s[16:17], s[20:21], exec
                                        ; implicit-def: $vgpr7
                                        ; implicit-def: $vgpr5
.LBB20_1090:
	s_or_saveexec_b64 s[6:7], s[6:7]
	s_mov_b64 s[0:1], 0
                                        ; implicit-def: $sgpr20
                                        ; implicit-def: $vgpr0_vgpr1
                                        ; implicit-def: $vgpr6
	s_xor_b64 exec, exec, s[6:7]
	s_cbranch_execz .LBB20_1663
; %bb.1091:
	v_mul_lo_u32 v0, s13, v7
	v_mov_b32_e32 v1, s11
	s_and_b32 s24, 0xffff, s42
	s_cmp_lt_i32 s24, 11
	s_waitcnt vmcnt(0)
	v_ashrrev_i32_e32 v2, 31, v0
	v_add_co_u32_e32 v0, vcc, s10, v0
	v_addc_co_u32_e32 v1, vcc, v1, v2, vcc
	s_cbranch_scc1 .LBB20_1098
; %bb.1092:
	s_cmp_gt_i32 s24, 25
	s_mov_b64 s[2:3], 0
	s_cbranch_scc0 .LBB20_1100
; %bb.1093:
	s_cmp_gt_i32 s24, 28
	s_cbranch_scc0 .LBB20_1101
; %bb.1094:
	s_cmp_gt_i32 s24, 43
	s_cbranch_scc0 .LBB20_1102
; %bb.1095:
	s_cmp_gt_i32 s24, 45
	s_cbranch_scc0 .LBB20_1103
; %bb.1096:
	s_cmp_eq_u32 s24, 46
	s_cbranch_scc0 .LBB20_1106
; %bb.1097:
	global_load_dword v2, v[0:1], off
	s_mov_b64 s[4:5], -1
	s_waitcnt vmcnt(0)
	v_lshlrev_b32_e32 v2, 16, v2
	s_branch .LBB20_1107
.LBB20_1098:
	s_mov_b64 s[4:5], 0
                                        ; implicit-def: $vgpr2
	s_mov_b64 s[18:19], s[16:17]
	s_cbranch_execnz .LBB20_1170
.LBB20_1099:
	s_andn2_b64 vcc, exec, s[4:5]
	s_cbranch_vccz .LBB20_1215
	s_branch .LBB20_1660
.LBB20_1100:
	s_mov_b64 s[4:5], 0
                                        ; implicit-def: $vgpr2
	s_cbranch_execnz .LBB20_1135
	s_branch .LBB20_1166
.LBB20_1101:
	s_mov_b64 s[14:15], -1
	s_mov_b64 s[4:5], 0
                                        ; implicit-def: $vgpr2
	s_branch .LBB20_1116
.LBB20_1102:
	s_mov_b64 s[4:5], 0
                                        ; implicit-def: $vgpr2
	s_cbranch_execnz .LBB20_1112
	s_branch .LBB20_1115
.LBB20_1103:
	s_mov_b64 s[14:15], -1
	s_mov_b64 s[4:5], 0
                                        ; implicit-def: $vgpr2
	s_branch .LBB20_1107
.LBB20_1104:
	s_andn2_saveexec_b64 s[22:23], s[22:23]
	s_cbranch_execz .LBB20_1003
.LBB20_1105:
	s_mov_b32 s24, 0x46000000
	v_add_f32_e64 v1, |v0|, s24
	v_and_b32_e32 v1, 0xff, v1
	v_cmp_ne_u32_e32 vcc, 0, v1
	s_andn2_b64 s[4:5], s[4:5], exec
	s_and_b64 s[24:25], vcc, exec
	s_or_b64 s[4:5], s[4:5], s[24:25]
	s_or_b64 exec, exec, s[22:23]
	v_mov_b32_e32 v4, 0
	s_and_saveexec_b64 s[22:23], s[4:5]
	s_cbranch_execnz .LBB20_1004
	s_branch .LBB20_1005
.LBB20_1106:
	s_mov_b64 s[0:1], -1
                                        ; implicit-def: $vgpr2
	s_mov_b64 s[4:5], 0
.LBB20_1107:
	s_and_b64 vcc, exec, s[14:15]
	s_cbranch_vccz .LBB20_1110
; %bb.1108:
	s_cmp_eq_u32 s24, 44
	s_cbranch_scc0 .LBB20_1111
; %bb.1109:
	global_load_ubyte v2, v[0:1], off
	s_movk_i32 s4, 0xff
	v_mov_b32_e32 v3, 0x7f800001
	v_mov_b32_e32 v4, 0x400000
	s_mov_b64 s[0:1], 0
	s_waitcnt vmcnt(0)
	v_lshlrev_b32_e32 v6, 23, v2
	v_cmp_ne_u32_e32 vcc, s4, v2
	v_cndmask_b32_e32 v3, v3, v6, vcc
	v_cmp_ne_u32_e32 vcc, 0, v2
	v_cndmask_b32_e32 v2, v4, v3, vcc
	s_mov_b64 s[4:5], -1
.LBB20_1110:
	s_branch .LBB20_1115
.LBB20_1111:
	s_mov_b64 s[0:1], -1
                                        ; implicit-def: $vgpr2
	s_branch .LBB20_1115
.LBB20_1112:
	s_cmp_eq_u32 s24, 29
	s_cbranch_scc0 .LBB20_1114
; %bb.1113:
	global_load_dwordx2 v[2:3], v[0:1], off
	s_mov_b64 s[0:1], 0
	s_mov_b64 s[4:5], -1
	s_mov_b64 s[14:15], 0
	s_waitcnt vmcnt(0)
	v_ffbh_u32_e32 v4, v3
	v_min_u32_e32 v4, 32, v4
	v_lshlrev_b64 v[2:3], v4, v[2:3]
	v_min_u32_e32 v2, 1, v2
	v_or_b32_e32 v2, v3, v2
	v_cvt_f32_u32_e32 v2, v2
	v_sub_u32_e32 v3, 32, v4
	v_ldexp_f32 v2, v2, v3
	s_branch .LBB20_1116
.LBB20_1114:
	s_mov_b64 s[0:1], -1
                                        ; implicit-def: $vgpr2
.LBB20_1115:
	s_mov_b64 s[14:15], 0
.LBB20_1116:
	s_and_b64 vcc, exec, s[14:15]
	s_cbranch_vccz .LBB20_1134
; %bb.1117:
	s_cmp_lt_i32 s24, 27
	s_cbranch_scc1 .LBB20_1120
; %bb.1118:
	s_cmp_gt_i32 s24, 27
	s_cbranch_scc0 .LBB20_1121
; %bb.1119:
	global_load_dword v2, v[0:1], off
	s_mov_b64 s[4:5], 0
	s_waitcnt vmcnt(0)
	v_cvt_f32_u32_e32 v2, v2
	s_branch .LBB20_1122
.LBB20_1120:
	s_mov_b64 s[4:5], -1
                                        ; implicit-def: $vgpr2
	s_branch .LBB20_1125
.LBB20_1121:
	s_mov_b64 s[4:5], -1
                                        ; implicit-def: $vgpr2
.LBB20_1122:
	s_andn2_b64 vcc, exec, s[4:5]
	s_cbranch_vccnz .LBB20_1124
; %bb.1123:
	global_load_ushort v2, v[0:1], off
	s_waitcnt vmcnt(0)
	v_cvt_f32_u32_e32 v2, v2
.LBB20_1124:
	s_mov_b64 s[4:5], 0
.LBB20_1125:
	s_andn2_b64 vcc, exec, s[4:5]
	s_cbranch_vccnz .LBB20_1133
; %bb.1126:
	global_load_ubyte v3, v[0:1], off
	s_movk_i32 s4, 0x7f
	s_waitcnt vmcnt(0)
	v_cmp_lt_i16_e32 vcc, s4, v3
	s_mov_b64 s[4:5], 0
	s_and_saveexec_b64 s[14:15], vcc
	s_xor_b64 s[14:15], exec, s[14:15]
	s_cbranch_execz .LBB20_1146
; %bb.1127:
	s_movk_i32 s4, 0x80
	v_cmp_eq_u16_e32 vcc, s4, v3
	s_mov_b64 s[4:5], -1
	s_and_saveexec_b64 s[18:19], vcc
; %bb.1128:
	s_xor_b64 s[4:5], exec, -1
; %bb.1129:
	s_or_b64 exec, exec, s[18:19]
	s_and_b64 s[4:5], s[4:5], exec
	s_or_saveexec_b64 s[14:15], s[14:15]
	v_mov_b32_e32 v2, 0x7f800001
	s_xor_b64 exec, exec, s[14:15]
	s_cbranch_execnz .LBB20_1147
.LBB20_1130:
	s_or_b64 exec, exec, s[14:15]
	s_and_saveexec_b64 s[14:15], s[4:5]
	s_cbranch_execz .LBB20_1132
.LBB20_1131:
	v_lshlrev_b32_e32 v2, 24, v3
	v_and_b32_e32 v3, 0xffff, v3
	v_and_b32_e32 v4, 7, v3
	v_ffbh_u32_e32 v8, v4
	v_min_u32_e32 v8, 32, v8
	v_subrev_u32_e32 v9, 28, v8
	v_bfe_u32 v6, v3, 3, 4
	v_lshlrev_b32_e32 v3, v9, v3
	v_sub_u32_e32 v8, 29, v8
	v_and_b32_e32 v3, 7, v3
	v_cmp_eq_u32_e32 vcc, 0, v6
	v_cndmask_b32_e32 v6, v6, v8, vcc
	v_cndmask_b32_e32 v3, v4, v3, vcc
	v_mov_b32_e32 v4, 0x3b800000
	v_lshlrev_b32_e32 v3, 20, v3
	v_and_b32_e32 v2, 0x80000000, v2
	v_lshl_add_u32 v4, v6, 23, v4
	v_or3_b32 v2, v2, v4, v3
.LBB20_1132:
	s_or_b64 exec, exec, s[14:15]
.LBB20_1133:
	s_mov_b64 s[4:5], -1
.LBB20_1134:
	s_branch .LBB20_1166
.LBB20_1135:
	s_cmp_gt_i32 s24, 22
	s_cbranch_scc0 .LBB20_1145
; %bb.1136:
	s_cmp_lt_i32 s24, 24
	s_cbranch_scc1 .LBB20_1148
; %bb.1137:
	s_cmp_gt_i32 s24, 24
	s_cbranch_scc0 .LBB20_1149
; %bb.1138:
	global_load_ubyte v3, v[0:1], off
	s_movk_i32 s2, 0x7f
	s_waitcnt vmcnt(0)
	v_cmp_lt_i16_e32 vcc, s2, v3
	s_mov_b64 s[2:3], 0
	s_and_saveexec_b64 s[4:5], vcc
	s_xor_b64 s[4:5], exec, s[4:5]
	s_cbranch_execz .LBB20_1160
; %bb.1139:
	s_movk_i32 s2, 0x80
	v_cmp_eq_u16_e32 vcc, s2, v3
	s_mov_b64 s[2:3], -1
	s_and_saveexec_b64 s[14:15], vcc
; %bb.1140:
	s_xor_b64 s[2:3], exec, -1
; %bb.1141:
	s_or_b64 exec, exec, s[14:15]
	s_and_b64 s[2:3], s[2:3], exec
	s_or_saveexec_b64 s[4:5], s[4:5]
	v_mov_b32_e32 v2, 0x7f800001
	s_xor_b64 exec, exec, s[4:5]
	s_cbranch_execnz .LBB20_1161
.LBB20_1142:
	s_or_b64 exec, exec, s[4:5]
	s_and_saveexec_b64 s[4:5], s[2:3]
	s_cbranch_execz .LBB20_1144
.LBB20_1143:
	v_lshlrev_b32_e32 v2, 24, v3
	v_and_b32_e32 v3, 0xffff, v3
	v_and_b32_e32 v4, 3, v3
	v_ffbh_u32_e32 v8, v4
	v_min_u32_e32 v8, 32, v8
	v_subrev_u32_e32 v9, 29, v8
	v_bfe_u32 v6, v3, 2, 5
	v_lshlrev_b32_e32 v3, v9, v3
	v_sub_u32_e32 v8, 30, v8
	v_and_b32_e32 v3, 3, v3
	v_cmp_eq_u32_e32 vcc, 0, v6
	v_cndmask_b32_e32 v6, v6, v8, vcc
	v_cndmask_b32_e32 v3, v4, v3, vcc
	v_mov_b32_e32 v4, 0x37800000
	v_lshlrev_b32_e32 v3, 21, v3
	v_and_b32_e32 v2, 0x80000000, v2
	v_lshl_add_u32 v4, v6, 23, v4
	v_or3_b32 v2, v2, v4, v3
.LBB20_1144:
	s_or_b64 exec, exec, s[4:5]
	s_mov_b64 s[2:3], 0
	s_branch .LBB20_1150
.LBB20_1145:
                                        ; implicit-def: $vgpr2
	s_mov_b64 s[2:3], 0
	s_branch .LBB20_1156
.LBB20_1146:
	s_or_saveexec_b64 s[14:15], s[14:15]
	v_mov_b32_e32 v2, 0x7f800001
	s_xor_b64 exec, exec, s[14:15]
	s_cbranch_execz .LBB20_1130
.LBB20_1147:
	v_cmp_ne_u16_e32 vcc, 0, v3
	s_andn2_b64 s[4:5], s[4:5], exec
	s_and_b64 s[18:19], vcc, exec
	v_mov_b32_e32 v2, 0
	s_or_b64 s[4:5], s[4:5], s[18:19]
	s_or_b64 exec, exec, s[14:15]
	s_and_saveexec_b64 s[14:15], s[4:5]
	s_cbranch_execnz .LBB20_1131
	s_branch .LBB20_1132
.LBB20_1148:
	s_mov_b64 s[2:3], -1
                                        ; implicit-def: $vgpr2
	s_branch .LBB20_1153
.LBB20_1149:
	s_mov_b64 s[2:3], -1
                                        ; implicit-def: $vgpr2
.LBB20_1150:
	s_and_b64 vcc, exec, s[2:3]
	s_cbranch_vccz .LBB20_1152
; %bb.1151:
	global_load_ubyte v2, v[0:1], off
	s_mov_b32 s2, 0x7f800000
	s_waitcnt vmcnt(0)
	v_lshlrev_b32_e32 v2, 24, v2
	v_and_b32_e32 v3, 0x7f000000, v2
	v_ffbh_u32_e32 v4, v3
	v_min_u32_e32 v4, 32, v4
	v_sub_u32_e64 v4, v4, 4 clamp
	v_lshlrev_b32_e32 v8, v4, v3
	v_lshlrev_b32_e32 v4, 23, v4
	v_lshrrev_b32_e32 v8, 4, v8
	v_add_u32_e32 v6, 0x1000000, v3
	v_sub_u32_e32 v4, v8, v4
	v_ashrrev_i32_e32 v6, 8, v6
	v_add_u32_e32 v4, 0x3c000000, v4
	v_and_or_b32 v4, v6, s2, v4
	v_cmp_ne_u32_e32 vcc, 0, v3
	v_cndmask_b32_e32 v3, 0, v4, vcc
	s_brev_b32 s2, 1
	v_and_or_b32 v2, v2, s2, v3
.LBB20_1152:
	s_mov_b64 s[2:3], 0
.LBB20_1153:
	s_andn2_b64 vcc, exec, s[2:3]
	s_cbranch_vccnz .LBB20_1155
; %bb.1154:
	global_load_ubyte v2, v[0:1], off
	s_movk_i32 s2, 0x7f00
	s_brev_b32 s3, 16
	s_waitcnt vmcnt(0)
	v_lshlrev_b16_e32 v3, 8, v2
	v_lshlrev_b32_e32 v2, 25, v2
	v_lshrrev_b32_e32 v4, 4, v2
	v_and_or_b32 v6, v3, s2, 0.5
	v_or_b32_e32 v4, 0x70000000, v4
	v_add_f32_e32 v6, -0.5, v6
	v_mul_f32_e32 v4, 0x7800000, v4
	v_cmp_gt_u32_e32 vcc, s3, v2
	v_bfe_i32 v3, v3, 0, 16
	v_cndmask_b32_e32 v2, v4, v6, vcc
	s_brev_b32 s2, 1
	v_and_or_b32 v2, v3, s2, v2
.LBB20_1155:
	s_mov_b64 s[4:5], -1
	s_mov_b64 s[2:3], 0
	s_cbranch_execnz .LBB20_1166
.LBB20_1156:
	s_cmp_gt_i32 s24, 14
	s_cbranch_scc0 .LBB20_1159
; %bb.1157:
	s_cmp_eq_u32 s24, 15
	s_cbranch_scc0 .LBB20_1162
; %bb.1158:
	global_load_ushort v2, v[0:1], off
	s_mov_b64 s[0:1], 0
	s_mov_b64 s[4:5], -1
	s_waitcnt vmcnt(0)
	v_lshlrev_b32_e32 v2, 16, v2
	s_branch .LBB20_1163
.LBB20_1159:
	s_mov_b64 s[14:15], -1
                                        ; implicit-def: $vgpr2
	s_branch .LBB20_1164
.LBB20_1160:
	s_or_saveexec_b64 s[4:5], s[4:5]
	v_mov_b32_e32 v2, 0x7f800001
	s_xor_b64 exec, exec, s[4:5]
	s_cbranch_execz .LBB20_1142
.LBB20_1161:
	v_cmp_ne_u16_e32 vcc, 0, v3
	s_andn2_b64 s[2:3], s[2:3], exec
	s_and_b64 s[14:15], vcc, exec
	v_mov_b32_e32 v2, 0
	s_or_b64 s[2:3], s[2:3], s[14:15]
	s_or_b64 exec, exec, s[4:5]
	s_and_saveexec_b64 s[4:5], s[2:3]
	s_cbranch_execnz .LBB20_1143
	s_branch .LBB20_1144
.LBB20_1162:
	s_mov_b64 s[0:1], -1
                                        ; implicit-def: $vgpr2
.LBB20_1163:
	s_mov_b64 s[14:15], 0
.LBB20_1164:
	s_and_b64 vcc, exec, s[14:15]
	s_cbranch_vccz .LBB20_1166
; %bb.1165:
	s_cmp_lg_u32 s24, 11
	s_mov_b64 s[2:3], -1
	s_cselect_b64 s[0:1], -1, 0
.LBB20_1166:
	s_and_b64 vcc, exec, s[0:1]
	s_mov_b64 s[18:19], s[16:17]
	s_cbranch_vccnz .LBB20_1243
; %bb.1167:
	s_andn2_b64 vcc, exec, s[2:3]
	s_cbranch_vccnz .LBB20_1169
.LBB20_1168:
	global_load_ubyte v2, v[0:1], off
	s_mov_b64 s[4:5], -1
	s_waitcnt vmcnt(0)
	v_cmp_ne_u16_e32 vcc, 0, v2
	v_cndmask_b32_e64 v2, 0, 1.0, vcc
.LBB20_1169:
	s_branch .LBB20_1099
.LBB20_1170:
	s_cmp_lt_i32 s24, 5
	s_cbranch_scc1 .LBB20_1175
; %bb.1171:
	s_cmp_lt_i32 s24, 8
	s_cbranch_scc1 .LBB20_1176
; %bb.1172:
	;; [unrolled: 3-line block ×3, first 2 shown]
	s_cmp_gt_i32 s24, 9
	s_cbranch_scc0 .LBB20_1178
; %bb.1174:
	global_load_dwordx2 v[2:3], v[0:1], off
	s_mov_b64 s[0:1], 0
	s_waitcnt vmcnt(0)
	v_cvt_f32_f64_e32 v2, v[2:3]
	s_branch .LBB20_1179
.LBB20_1175:
                                        ; implicit-def: $vgpr2
	s_branch .LBB20_1196
.LBB20_1176:
                                        ; implicit-def: $vgpr2
	s_branch .LBB20_1185
.LBB20_1177:
	s_mov_b64 s[0:1], -1
                                        ; implicit-def: $vgpr2
	s_branch .LBB20_1182
.LBB20_1178:
	s_mov_b64 s[0:1], -1
                                        ; implicit-def: $vgpr2
.LBB20_1179:
	s_andn2_b64 vcc, exec, s[0:1]
	s_cbranch_vccnz .LBB20_1181
; %bb.1180:
	global_load_dword v2, v[0:1], off
.LBB20_1181:
	s_mov_b64 s[0:1], 0
.LBB20_1182:
	s_andn2_b64 vcc, exec, s[0:1]
	s_cbranch_vccnz .LBB20_1184
; %bb.1183:
	global_load_dword v2, v[0:1], off
	s_waitcnt vmcnt(0)
	v_cvt_f32_f16_e32 v2, v2
.LBB20_1184:
	s_cbranch_execnz .LBB20_1195
.LBB20_1185:
	s_cmp_lt_i32 s24, 6
	s_cbranch_scc1 .LBB20_1188
; %bb.1186:
	s_cmp_gt_i32 s24, 6
	s_cbranch_scc0 .LBB20_1189
; %bb.1187:
	global_load_dwordx2 v[2:3], v[0:1], off
	s_mov_b64 s[0:1], 0
	s_waitcnt vmcnt(0)
	v_cvt_f32_f64_e32 v2, v[2:3]
	s_branch .LBB20_1190
.LBB20_1188:
	s_mov_b64 s[0:1], -1
                                        ; implicit-def: $vgpr2
	s_branch .LBB20_1193
.LBB20_1189:
	s_mov_b64 s[0:1], -1
                                        ; implicit-def: $vgpr2
.LBB20_1190:
	s_andn2_b64 vcc, exec, s[0:1]
	s_cbranch_vccnz .LBB20_1192
; %bb.1191:
	global_load_dword v2, v[0:1], off
.LBB20_1192:
	s_mov_b64 s[0:1], 0
.LBB20_1193:
	s_andn2_b64 vcc, exec, s[0:1]
	s_cbranch_vccnz .LBB20_1195
; %bb.1194:
	global_load_ushort v2, v[0:1], off
	s_waitcnt vmcnt(0)
	v_cvt_f32_f16_e32 v2, v2
.LBB20_1195:
	s_cbranch_execnz .LBB20_1214
.LBB20_1196:
	s_cmp_lt_i32 s24, 2
	s_cbranch_scc1 .LBB20_1200
; %bb.1197:
	s_cmp_lt_i32 s24, 3
	s_cbranch_scc1 .LBB20_1201
; %bb.1198:
	s_cmp_gt_i32 s24, 3
	s_cbranch_scc0 .LBB20_1202
; %bb.1199:
	global_load_dwordx2 v[2:3], v[0:1], off
	s_mov_b64 s[0:1], 0
	s_waitcnt vmcnt(0)
	v_xor_b32_e32 v6, v2, v3
	v_ffbh_i32_e32 v4, v3
	v_ashrrev_i32_e32 v6, 31, v6
	v_add_u32_e32 v4, -1, v4
	v_add_u32_e32 v6, 32, v6
	v_min_u32_e32 v4, v4, v6
	v_lshlrev_b64 v[2:3], v4, v[2:3]
	v_min_u32_e32 v2, 1, v2
	v_or_b32_e32 v2, v3, v2
	v_cvt_f32_i32_e32 v2, v2
	v_sub_u32_e32 v3, 32, v4
	v_ldexp_f32 v2, v2, v3
	s_branch .LBB20_1203
.LBB20_1200:
                                        ; implicit-def: $vgpr2
	s_branch .LBB20_1209
.LBB20_1201:
	s_mov_b64 s[0:1], -1
                                        ; implicit-def: $vgpr2
	s_branch .LBB20_1206
.LBB20_1202:
	s_mov_b64 s[0:1], -1
                                        ; implicit-def: $vgpr2
.LBB20_1203:
	s_andn2_b64 vcc, exec, s[0:1]
	s_cbranch_vccnz .LBB20_1205
; %bb.1204:
	global_load_dword v2, v[0:1], off
	s_waitcnt vmcnt(0)
	v_cvt_f32_i32_e32 v2, v2
.LBB20_1205:
	s_mov_b64 s[0:1], 0
.LBB20_1206:
	s_andn2_b64 vcc, exec, s[0:1]
	s_cbranch_vccnz .LBB20_1208
; %bb.1207:
	global_load_sshort v2, v[0:1], off
	s_waitcnt vmcnt(0)
	v_cvt_f32_i32_e32 v2, v2
.LBB20_1208:
	s_cbranch_execnz .LBB20_1214
.LBB20_1209:
	s_cmp_gt_i32 s24, 0
	s_cbranch_scc0 .LBB20_1211
; %bb.1210:
	global_load_sbyte v2, v[0:1], off
	s_mov_b64 s[0:1], 0
	s_waitcnt vmcnt(0)
	v_cvt_f32_i32_e32 v2, v2
	s_branch .LBB20_1212
.LBB20_1211:
	s_mov_b64 s[0:1], -1
                                        ; implicit-def: $vgpr2
.LBB20_1212:
	s_andn2_b64 vcc, exec, s[0:1]
	s_cbranch_vccnz .LBB20_1214
; %bb.1213:
	global_load_ubyte v0, v[0:1], off
	s_waitcnt vmcnt(0)
	v_cvt_f32_ubyte0_e32 v2, v0
.LBB20_1214:
.LBB20_1215:
	s_waitcnt vmcnt(0)
	v_cmp_gt_f32_e32 vcc, 0, v2
	v_cndmask_b32_e64 v1, v2, -v2, vcc
	s_mov_b32 s0, 0x40a00000
	v_cmp_ge_f32_e32 vcc, s0, v1
	v_mul_f32_e32 v3, v1, v1
                                        ; implicit-def: $vgpr0
	s_and_saveexec_b64 s[0:1], vcc
	s_xor_b64 s[0:1], exec, s[0:1]
	s_cbranch_execz .LBB20_1221
; %bb.1216:
	s_mov_b32 s2, 0x3727c5ac
	v_cmp_ngt_f32_e32 vcc, s2, v1
                                        ; implicit-def: $vgpr0
	s_and_saveexec_b64 s[2:3], vcc
	s_xor_b64 s[2:3], exec, s[2:3]
	s_cbranch_execz .LBB20_1218
; %bb.1217:
	v_mov_b32_e32 v0, 0xcf8ee29d
	v_fmac_f32_e32 v0, 0, v3
	v_mov_b32_e32 v1, 0x53e3ba8e
	v_fmac_f32_e32 v1, v3, v0
	;; [unrolled: 2-line block ×12, first 2 shown]
	v_add_f32_e32 v0, 0xc0b90fdc, v3
	v_add_f32_e32 v3, 0xc1f3c525, v3
	v_mul_f32_e32 v0, v0, v3
	v_mul_f32_e32 v0, v0, v1
	v_div_scale_f32 v1, s[4:5], v2, v2, v0
	v_div_scale_f32 v3, vcc, v0, v2, v0
	v_rcp_f32_e32 v4, v1
	v_fma_f32 v6, -v1, v4, 1.0
	v_fmac_f32_e32 v4, v6, v4
	v_mul_f32_e32 v6, v3, v4
	v_fma_f32 v8, -v1, v6, v3
	v_fmac_f32_e32 v6, v8, v4
	v_fma_f32 v1, -v1, v6, v3
	v_div_fmas_f32 v1, v1, v4, v6
                                        ; implicit-def: $vgpr3
	v_div_fixup_f32 v0, v1, v2, v0
.LBB20_1218:
	s_andn2_saveexec_b64 s[2:3], s[2:3]
; %bb.1219:
	s_mov_b32 s4, 0xbe800000
	v_fma_f32 v0, v3, s4, 1.0
; %bb.1220:
	s_or_b64 exec, exec, s[2:3]
                                        ; implicit-def: $vgpr3
                                        ; implicit-def: $vgpr1
.LBB20_1221:
	s_andn2_saveexec_b64 s[14:15], s[0:1]
	s_cbranch_execz .LBB20_1231
; %bb.1222:
	v_add_f32_e32 v0, 0xbf490fdb, v1
	v_and_b32_e32 v2, 0x7fffffff, v0
	s_brev_b32 s0, 18
	v_cmp_nlt_f32_e64 s[20:21], |v0|, s0
	v_lshrrev_b32_e32 v10, 23, v2
                                        ; implicit-def: $vgpr4
                                        ; implicit-def: $vgpr6
	s_and_saveexec_b64 s[0:1], s[20:21]
	s_xor_b64 s[22:23], exec, s[0:1]
	s_cbranch_execz .LBB20_1224
; %bb.1223:
	v_and_b32_e32 v4, 0x7fffff, v2
	v_or_b32_e32 v4, 0x800000, v4
	s_mov_b32 s0, 0xfe5163ab
	v_mad_u64_u32 v[8:9], s[0:1], v4, s0, 0
	v_mov_b32_e32 v12, 0
	s_mov_b32 s0, 0x3c439041
	v_mov_b32_e32 v11, v9
	v_mad_u64_u32 v[13:14], s[0:1], v4, s0, v[11:12]
	s_mov_b32 s0, 0xdb629599
	v_add_u32_e32 v6, 0xffffff88, v10
	v_mov_b32_e32 v11, v14
	v_mad_u64_u32 v[14:15], s[0:1], v4, s0, v[11:12]
	s_mov_b32 s0, 0xf534ddc0
	v_not_b32_e32 v9, 63
	v_mov_b32_e32 v11, v15
	v_mad_u64_u32 v[15:16], s[0:1], v4, s0, v[11:12]
	s_mov_b32 s0, 0xfc2757d1
	v_cmp_lt_u32_e32 vcc, 63, v6
	v_mov_b32_e32 v11, v16
	v_mad_u64_u32 v[16:17], s[0:1], v4, s0, v[11:12]
	s_mov_b32 s0, 0x4e441529
	v_cndmask_b32_e32 v9, 0, v9, vcc
	v_mov_b32_e32 v11, v17
	v_mad_u64_u32 v[17:18], s[0:1], v4, s0, v[11:12]
	v_add_u32_e32 v6, v9, v6
	v_not_b32_e32 v9, 31
	v_cmp_lt_u32_e64 s[0:1], 31, v6
	v_cndmask_b32_e64 v11, 0, v9, s[0:1]
	v_add_u32_e32 v6, v11, v6
	v_mov_b32_e32 v11, v18
	s_mov_b32 s2, 0xa2f9836e
	v_mad_u64_u32 v[11:12], s[2:3], v4, s2, v[11:12]
	v_cmp_lt_u32_e64 s[2:3], 31, v6
	v_cndmask_b32_e64 v4, 0, v9, s[2:3]
	v_add_u32_e32 v4, v4, v6
	v_cndmask_b32_e32 v6, v17, v15, vcc
	v_cndmask_b32_e32 v9, v11, v16, vcc
	;; [unrolled: 1-line block ×3, first 2 shown]
	v_cndmask_b32_e64 v11, v9, v6, s[0:1]
	v_cndmask_b32_e64 v9, v12, v9, s[0:1]
	v_cndmask_b32_e32 v12, v16, v14, vcc
	v_cndmask_b32_e64 v6, v6, v12, s[0:1]
	v_cndmask_b32_e64 v9, v9, v11, s[2:3]
	;; [unrolled: 1-line block ×3, first 2 shown]
	v_sub_u32_e32 v16, 32, v4
	v_alignbit_b32 v17, v9, v11, v16
	v_cmp_eq_u32_e64 s[4:5], 0, v4
	v_cndmask_b32_e64 v4, v17, v9, s[4:5]
	v_cndmask_b32_e32 v9, v15, v13, vcc
	v_cndmask_b32_e64 v12, v12, v9, s[0:1]
	v_cndmask_b32_e64 v6, v6, v12, s[2:3]
	v_cndmask_b32_e32 v8, v14, v8, vcc
	v_alignbit_b32 v13, v11, v6, v16
	v_cndmask_b32_e64 v8, v9, v8, s[0:1]
	v_cndmask_b32_e64 v11, v13, v11, s[4:5]
	v_bfe_u32 v17, v4, 29, 1
	v_cndmask_b32_e64 v8, v12, v8, s[2:3]
	v_alignbit_b32 v13, v4, v11, 30
	v_sub_u32_e32 v18, 0, v17
	v_alignbit_b32 v9, v6, v8, v16
	v_xor_b32_e32 v13, v13, v18
	v_cndmask_b32_e64 v6, v9, v6, s[4:5]
	v_alignbit_b32 v9, v11, v6, 30
	v_ffbh_u32_e32 v11, v13
	v_min_u32_e32 v11, 32, v11
	v_alignbit_b32 v6, v6, v8, 30
	v_xor_b32_e32 v9, v9, v18
	v_sub_u32_e32 v12, 31, v11
	v_xor_b32_e32 v6, v6, v18
	v_alignbit_b32 v13, v13, v9, v12
	v_alignbit_b32 v6, v9, v6, v12
	;; [unrolled: 1-line block ×3, first 2 shown]
	v_ffbh_u32_e32 v9, v8
	v_min_u32_e32 v9, 32, v9
	v_lshrrev_b32_e32 v15, 29, v4
	v_not_b32_e32 v12, v9
	v_alignbit_b32 v6, v8, v6, v12
	v_lshlrev_b32_e32 v8, 31, v15
	v_or_b32_e32 v12, 0x33000000, v8
	v_add_lshl_u32 v9, v9, v11, 23
	v_lshrrev_b32_e32 v6, 9, v6
	v_sub_u32_e32 v9, v12, v9
	v_or_b32_e32 v8, 0.5, v8
	v_lshlrev_b32_e32 v11, 23, v11
	v_or_b32_e32 v6, v9, v6
	v_lshrrev_b32_e32 v9, 9, v13
	v_sub_u32_e32 v8, v8, v11
	v_or_b32_e32 v8, v9, v8
	s_mov_b32 s0, 0x3fc90fda
	v_mul_f32_e32 v9, 0x3fc90fda, v8
	v_fma_f32 v11, v8, s0, -v9
	v_fmac_f32_e32 v11, 0x33a22168, v8
	v_fmac_f32_e32 v11, 0x3fc90fda, v6
	v_lshrrev_b32_e32 v4, 30, v4
	v_add_f32_e32 v6, v9, v11
	v_add_u32_e32 v4, v17, v4
	s_andn2_saveexec_b64 s[0:1], s[22:23]
	s_cbranch_execz .LBB20_1226
	s_branch .LBB20_1225
.LBB20_1224:
	s_andn2_saveexec_b64 s[0:1], s[22:23]
	s_cbranch_execz .LBB20_1226
.LBB20_1225:
	s_mov_b32 s2, 0x3f22f983
	v_mul_f32_e64 v4, |v0|, s2
	v_rndne_f32_e32 v8, v4
	s_mov_b32 s2, 0xbfc90fda
	v_cvt_i32_f32_e32 v4, v8
	v_fma_f32 v6, v8, s2, |v0|
	v_fmac_f32_e32 v6, 0xb3a22168, v8
	v_fmac_f32_e32 v6, 0xa7c234c4, v8
.LBB20_1226:
	s_or_b64 exec, exec, s[0:1]
                                        ; implicit-def: $vgpr8
                                        ; implicit-def: $vgpr9
	s_and_saveexec_b64 s[0:1], s[20:21]
	s_xor_b64 s[20:21], exec, s[0:1]
	s_cbranch_execz .LBB20_1228
; %bb.1227:
	v_and_b32_e32 v8, 0x7fffff, v2
	v_or_b32_e32 v17, 0x800000, v8
	s_mov_b32 s0, 0xfe5163ab
	v_mad_u64_u32 v[8:9], s[0:1], v17, s0, 0
	v_mov_b32_e32 v12, 0
	s_mov_b32 s0, 0x3c439041
	v_mov_b32_e32 v11, v9
	v_mad_u64_u32 v[13:14], s[0:1], v17, s0, v[11:12]
	s_mov_b32 s0, 0xdb629599
	v_add_u32_e32 v18, 0xffffff88, v10
	v_mov_b32_e32 v11, v14
	v_mad_u64_u32 v[14:15], s[0:1], v17, s0, v[11:12]
	s_mov_b32 s0, 0xf534ddc0
	v_not_b32_e32 v19, 63
	v_mov_b32_e32 v11, v15
	v_mad_u64_u32 v[15:16], s[0:1], v17, s0, v[11:12]
	s_mov_b32 s0, 0xfc2757d1
	v_cmp_lt_u32_e32 vcc, 63, v18
	v_mov_b32_e32 v11, v16
	v_mad_u64_u32 v[9:10], s[0:1], v17, s0, v[11:12]
	v_cndmask_b32_e32 v11, 0, v19, vcc
	v_add_u32_e32 v16, v11, v18
	v_mov_b32_e32 v11, v10
	s_mov_b32 s0, 0x4e441529
	v_mad_u64_u32 v[10:11], s[0:1], v17, s0, v[11:12]
	v_not_b32_e32 v18, 31
	v_cmp_lt_u32_e64 s[0:1], 31, v16
	s_mov_b32 s2, 0xa2f9836e
	v_cndmask_b32_e64 v19, 0, v18, s[0:1]
	v_mad_u64_u32 v[11:12], s[2:3], v17, s2, v[11:12]
	v_add_u32_e32 v16, v19, v16
	v_cmp_lt_u32_e64 s[2:3], 31, v16
	v_cndmask_b32_e64 v17, 0, v18, s[2:3]
	v_add_u32_e32 v16, v17, v16
	v_cndmask_b32_e32 v17, v10, v15, vcc
	v_cndmask_b32_e32 v11, v11, v9, vcc
	;; [unrolled: 1-line block ×4, first 2 shown]
	v_cndmask_b32_e64 v18, v11, v17, s[0:1]
	v_cndmask_b32_e64 v10, v10, v11, s[0:1]
	;; [unrolled: 1-line block ×3, first 2 shown]
	v_cndmask_b32_e32 v13, v15, v13, vcc
	v_cndmask_b32_e64 v10, v10, v18, s[2:3]
	v_cndmask_b32_e64 v12, v18, v11, s[2:3]
	v_sub_u32_e32 v17, 32, v16
	v_cndmask_b32_e64 v9, v9, v13, s[0:1]
	v_alignbit_b32 v18, v10, v12, v17
	v_cmp_eq_u32_e64 s[4:5], 0, v16
	v_cndmask_b32_e64 v11, v11, v9, s[2:3]
	v_cndmask_b32_e32 v8, v14, v8, vcc
	v_cndmask_b32_e64 v10, v18, v10, s[4:5]
	v_alignbit_b32 v15, v12, v11, v17
	v_cndmask_b32_e64 v8, v13, v8, s[0:1]
	v_cndmask_b32_e64 v12, v15, v12, s[4:5]
	v_bfe_u32 v18, v10, 29, 1
	v_cndmask_b32_e64 v8, v9, v8, s[2:3]
	v_alignbit_b32 v15, v10, v12, 30
	v_sub_u32_e32 v19, 0, v18
	v_alignbit_b32 v9, v11, v8, v17
	v_xor_b32_e32 v15, v15, v19
	v_cndmask_b32_e64 v9, v9, v11, s[4:5]
	v_alignbit_b32 v11, v12, v9, 30
	v_ffbh_u32_e32 v12, v15
	v_min_u32_e32 v12, 32, v12
	v_alignbit_b32 v8, v9, v8, 30
	v_xor_b32_e32 v11, v11, v19
	v_sub_u32_e32 v13, 31, v12
	v_xor_b32_e32 v8, v8, v19
	v_alignbit_b32 v14, v15, v11, v13
	v_alignbit_b32 v8, v11, v8, v13
	;; [unrolled: 1-line block ×3, first 2 shown]
	v_ffbh_u32_e32 v11, v9
	v_min_u32_e32 v11, 32, v11
	v_lshrrev_b32_e32 v16, 29, v10
	v_not_b32_e32 v13, v11
	v_alignbit_b32 v8, v9, v8, v13
	v_lshlrev_b32_e32 v9, 31, v16
	v_or_b32_e32 v13, 0x33000000, v9
	v_add_lshl_u32 v11, v11, v12, 23
	v_lshrrev_b32_e32 v8, 9, v8
	v_sub_u32_e32 v11, v13, v11
	v_or_b32_e32 v9, 0.5, v9
	v_lshlrev_b32_e32 v12, 23, v12
	v_or_b32_e32 v8, v11, v8
	v_lshrrev_b32_e32 v11, 9, v14
	v_sub_u32_e32 v9, v9, v12
	v_or_b32_e32 v9, v11, v9
	s_mov_b32 s0, 0x3fc90fda
	v_mul_f32_e32 v11, 0x3fc90fda, v9
	v_fma_f32 v12, v9, s0, -v11
	v_fmac_f32_e32 v12, 0x33a22168, v9
	v_fmac_f32_e32 v12, 0x3fc90fda, v8
	v_lshrrev_b32_e32 v8, 30, v10
	v_add_f32_e32 v9, v11, v12
	v_add_u32_e32 v8, v18, v8
	s_andn2_saveexec_b64 s[0:1], s[20:21]
	s_cbranch_execnz .LBB20_1229
	s_branch .LBB20_1230
.LBB20_1228:
	s_andn2_saveexec_b64 s[0:1], s[20:21]
	s_cbranch_execz .LBB20_1230
.LBB20_1229:
	s_mov_b32 s2, 0x3f22f983
	v_mul_f32_e64 v8, |v0|, s2
	v_rndne_f32_e32 v10, v8
	s_mov_b32 s2, 0xbfc90fda
	v_cvt_i32_f32_e32 v8, v10
	v_fma_f32 v9, v10, s2, |v0|
	v_fmac_f32_e32 v9, 0xb3a22168, v10
	v_fmac_f32_e32 v9, 0xa7c234c4, v10
.LBB20_1230:
	s_or_b64 exec, exec, s[0:1]
	s_mov_b32 s2, 0x41c80000
	v_div_scale_f32 v10, s[0:1], v3, v3, s2
	v_div_scale_f32 v11, vcc, s2, v3, s2
	v_mov_b32_e32 v17, 0x3a725406
	v_mov_b32_e32 v18, 0x3daf5e2d
	;; [unrolled: 1-line block ×9, first 2 shown]
	v_rcp_f32_e32 v12, v10
	v_fma_f32 v13, -v10, v12, 1.0
	v_fmac_f32_e32 v12, v13, v12
	v_mul_f32_e32 v13, v11, v12
	v_fma_f32 v14, -v10, v13, v11
	v_fmac_f32_e32 v13, v14, v12
	v_fma_f32 v10, -v10, v13, v11
	v_div_fmas_f32 v10, v10, v12, v13
	v_mov_b32_e32 v11, 0x3a50e985
	v_mov_b32_e32 v12, 0x3da9a586
	;; [unrolled: 1-line block ×4, first 2 shown]
	v_div_fixup_f32 v3, v10, v3, s2
	v_fmac_f32_e32 v11, 0, v3
	v_fmac_f32_e32 v17, 0, v3
	;; [unrolled: 1-line block ×12, first 2 shown]
	v_fma_f32 v10, v3, v22, 1.0
	v_fma_f32 v12, v3, v16, 1.0
	v_div_scale_f32 v13, s[0:1], v10, v10, v12
	v_div_scale_f32 v14, vcc, v12, v10, v12
	v_mov_b32_e32 v15, 0xbc3a3a12
	v_mov_b32_e32 v16, 0xbfa429da
	v_fmac_f32_e32 v15, 0, v3
	v_mov_b32_e32 v17, 0xc19c6e80
	v_fmac_f32_e32 v16, v3, v15
	v_mov_b32_e32 v18, 0xc2ba697b
	s_mov_b32 s2, 0xc0a00000
	v_fmac_f32_e32 v17, v3, v16
	v_fmac_f32_e32 v18, v3, v17
	v_div_scale_f32 v17, s[0:1], v1, v1, s2
	v_fmac_f32_e32 v23, 0, v3
	v_rcp_f32_e32 v21, v13
	v_mov_b32_e32 v19, 0xc331ae61
	v_mov_b32_e32 v20, 0xc31313d7
	v_fmac_f32_e32 v19, v3, v18
	v_fma_f32 v24, -v13, v21, 1.0
	v_fmac_f32_e32 v21, v24, v21
	v_mul_f32_e32 v24, v14, v21
	v_fma_f32 v25, -v13, v24, v14
	v_fmac_f32_e32 v24, v25, v21
	v_fma_f32 v13, -v13, v24, v14
	v_div_fmas_f32 v13, v13, v21, v24
	v_mov_b32_e32 v25, 0x44561b86
	v_mov_b32_e32 v14, 0x4572a66e
	v_fmac_f32_e32 v25, v3, v23
	v_mov_b32_e32 v21, 0x45e243be
	v_fmac_f32_e32 v14, v3, v25
	v_mov_b32_e32 v24, 0x45b955d1
	v_fmac_f32_e32 v21, v3, v14
	v_mov_b32_e32 v22, 0xc24da463
	v_mov_b32_e32 v15, 0x4500e17e
	v_div_scale_f32 v14, vcc, s2, v1, s2
	v_fmac_f32_e32 v24, v3, v21
	v_fmac_f32_e32 v20, v3, v19
	v_mov_b32_e32 v11, 0xc0c19ac7
	v_mov_b32_e32 v23, 0x43720178
	v_fmac_f32_e32 v15, v3, v24
	v_fmac_f32_e32 v22, v3, v20
	;; [unrolled: 1-line block ×4, first 2 shown]
	v_div_scale_f32 v3, s[0:1], v23, v23, v11
	v_div_scale_f32 v18, s[0:1], v11, v23, v11
	v_mul_f32_e32 v16, v6, v6
	v_div_fixup_f32 v10, v13, v10, v12
	v_mov_b32_e32 v12, 0x3c0881c4
	v_rcp_f32_e32 v15, v17
	v_fmac_f32_e32 v12, 0xb94c1982, v16
	v_mov_b32_e32 v13, 0xbe2aaa9d
	v_fma_f32 v12, v16, v12, v13
	v_mul_f32_e32 v12, v16, v12
	v_fmac_f32_e32 v6, v6, v12
	v_fma_f32 v12, -v17, v15, 1.0
	v_fmac_f32_e32 v15, v12, v15
	v_mul_f32_e32 v12, v14, v15
	v_fma_f32 v19, -v17, v12, v14
	v_fmac_f32_e32 v12, v19, v15
	v_fma_f32 v14, -v17, v12, v14
	v_rcp_f32_e32 v17, v3
	v_div_fmas_f32 v12, v14, v15, v12
	s_mov_b64 vcc, s[0:1]
	v_mov_b32_e32 v25, 0x3c0881c4
	v_fma_f32 v14, -v3, v17, 1.0
	v_fmac_f32_e32 v17, v14, v17
	v_mul_f32_e32 v14, v18, v17
	v_fma_f32 v15, -v3, v14, v18
	v_fmac_f32_e32 v14, v15, v17
	v_fma_f32 v3, -v3, v14, v18
	v_div_fmas_f32 v3, v3, v17, v14
	v_mov_b32_e32 v15, 0xbab64f3b
	v_fmac_f32_e32 v15, 0x37d75334, v16
	v_mov_b32_e32 v18, 0x3d2aabf7
	v_mov_b32_e32 v19, 0xbab64f3b
	v_fma_f32 v14, v16, v15, v18
	v_mov_b32_e32 v15, 0xbf000004
	v_fma_f32 v14, v16, v14, v15
	v_div_fixup_f32 v12, v12, v1, s2
	v_fma_f32 v14, v16, v14, 1.0
	v_and_b32_e32 v16, 1, v4
	v_cmp_eq_u32_e32 vcc, 0, v16
	s_movk_i32 s0, 0x1f8
	v_cndmask_b32_e64 v6, -v6, v14, vcc
	v_lshlrev_b32_e32 v4, 30, v4
	v_cmp_class_f32_e64 vcc, v0, s0
	v_div_fixup_f32 v3, v3, v23, v11
	v_mul_f32_e32 v11, v9, v9
	v_fmac_f32_e32 v25, 0xb94c1982, v11
	v_fmac_f32_e32 v13, v11, v25
	;; [unrolled: 1-line block ×3, first 2 shown]
	v_mul_f32_e32 v3, v12, v3
	v_mul_f32_e32 v12, v11, v13
	v_fmac_f32_e32 v18, v11, v19
	v_fmac_f32_e32 v9, v9, v12
	;; [unrolled: 1-line block ×3, first 2 shown]
	v_and_b32_e32 v12, 1, v8
	v_lshlrev_b32_e32 v8, 30, v8
	v_fma_f32 v11, v11, v15, 1.0
	v_cmp_eq_u32_e64 s[0:1], 0, v12
	v_and_b32_e32 v8, 0x80000000, v8
	v_xor_b32_e32 v0, v2, v0
	v_and_b32_e32 v4, 0x80000000, v4
	v_cndmask_b32_e64 v9, v11, v9, s[0:1]
	v_xor_b32_e32 v0, v0, v8
	v_xor_b32_e32 v4, v4, v6
	v_mov_b32_e32 v6, 0x7fc00000
	v_xor_b32_e32 v0, v0, v9
	s_mov_b32 s0, 0xf800000
	v_cndmask_b32_e32 v4, v6, v4, vcc
	v_cndmask_b32_e32 v0, v6, v0, vcc
	v_mul_f32_e32 v2, 0x4f800000, v1
	v_cmp_gt_f32_e32 vcc, s0, v1
	v_cndmask_b32_e32 v1, v1, v2, vcc
	v_sqrt_f32_e32 v2, v1
	v_mul_f32_e32 v0, v3, v0
	v_fmac_f32_e32 v0, v10, v4
	v_mul_f32_e32 v0, 0x3f4c422a, v0
	v_add_u32_e32 v3, -1, v2
	v_fma_f32 v4, -v3, v2, v1
	v_cmp_ge_f32_e64 s[0:1], 0, v4
	v_add_u32_e32 v4, 1, v2
	v_cndmask_b32_e64 v3, v2, v3, s[0:1]
	v_fma_f32 v2, -v4, v2, v1
	v_cmp_lt_f32_e64 s[0:1], 0, v2
	v_cndmask_b32_e64 v2, v3, v4, s[0:1]
	v_mul_f32_e32 v3, 0x37800000, v2
	v_cndmask_b32_e32 v2, v2, v3, vcc
	v_mov_b32_e32 v3, 0x260
	v_cmp_class_f32_e32 vcc, v1, v3
	v_cndmask_b32_e32 v1, v2, v1, vcc
	v_div_scale_f32 v2, s[0:1], v1, v1, v0
	v_div_scale_f32 v3, vcc, v0, v1, v0
	v_rcp_f32_e32 v4, v2
	v_fma_f32 v6, -v2, v4, 1.0
	v_fmac_f32_e32 v4, v6, v4
	v_mul_f32_e32 v6, v3, v4
	v_fma_f32 v8, -v2, v6, v3
	v_fmac_f32_e32 v6, v8, v4
	v_fma_f32 v2, -v2, v6, v3
	v_div_fmas_f32 v2, v2, v4, v6
	v_div_fixup_f32 v0, v2, v1, v0
.LBB20_1231:
	s_or_b64 exec, exec, s[14:15]
	v_add_u32_e32 v1, 0x80, v7
	v_mul_lo_u32 v1, s13, v1
	v_mov_b32_e32 v2, s11
	s_cmp_lt_i32 s24, 11
	v_ashrrev_i32_e32 v3, 31, v1
	v_add_co_u32_e32 v1, vcc, s10, v1
	v_addc_co_u32_e32 v2, vcc, v2, v3, vcc
	s_cbranch_scc1 .LBB20_1238
; %bb.1232:
	s_cmp_gt_i32 s24, 25
	s_mov_b64 s[2:3], 0
	s_cbranch_scc0 .LBB20_1240
; %bb.1233:
	s_cmp_gt_i32 s24, 28
	s_cbranch_scc0 .LBB20_1241
; %bb.1234:
	s_cmp_gt_i32 s24, 43
	;; [unrolled: 3-line block ×3, first 2 shown]
	s_cbranch_scc0 .LBB20_1244
; %bb.1236:
	s_cmp_eq_u32 s24, 46
	s_mov_b64 s[14:15], 0
	s_cbranch_scc0 .LBB20_1247
; %bb.1237:
	global_load_dword v3, v[1:2], off
	s_mov_b64 s[0:1], 0
	s_mov_b64 s[4:5], -1
	s_waitcnt vmcnt(0)
	v_lshlrev_b32_e32 v3, 16, v3
	s_branch .LBB20_1248
.LBB20_1238:
	s_mov_b64 s[4:5], 0
                                        ; implicit-def: $vgpr3
	s_cbranch_execnz .LBB20_1313
.LBB20_1239:
	s_andn2_b64 vcc, exec, s[4:5]
	s_cbranch_vccnz .LBB20_1660
	s_branch .LBB20_1360
.LBB20_1240:
	s_mov_b64 s[4:5], 0
	s_mov_b64 s[0:1], 0
                                        ; implicit-def: $vgpr3
	s_cbranch_execnz .LBB20_1277
	s_branch .LBB20_1309
.LBB20_1241:
	s_mov_b64 s[14:15], -1
	s_mov_b64 s[4:5], 0
	s_mov_b64 s[0:1], 0
                                        ; implicit-def: $vgpr3
	s_branch .LBB20_1258
.LBB20_1242:
	s_mov_b64 s[14:15], -1
	s_mov_b64 s[4:5], 0
	s_mov_b64 s[0:1], 0
                                        ; implicit-def: $vgpr3
	s_branch .LBB20_1253
.LBB20_1243:
	s_or_b64 s[18:19], s[16:17], exec
	s_trap 2
	s_cbranch_execz .LBB20_1168
	s_branch .LBB20_1169
.LBB20_1244:
	s_mov_b64 s[14:15], -1
	s_mov_b64 s[4:5], 0
	s_mov_b64 s[0:1], 0
                                        ; implicit-def: $vgpr3
	s_branch .LBB20_1248
.LBB20_1245:
	s_andn2_saveexec_b64 s[24:25], s[24:25]
	s_cbranch_execz .LBB20_1015
.LBB20_1246:
	s_mov_b32 s28, 0x42800000
	v_add_f32_e64 v1, |v0|, s28
	v_and_b32_e32 v1, 0xff, v1
	v_cmp_ne_u32_e32 vcc, 0, v1
	s_andn2_b64 s[22:23], s[22:23], exec
	s_and_b64 s[28:29], vcc, exec
	s_or_b64 s[22:23], s[22:23], s[28:29]
	s_or_b64 exec, exec, s[24:25]
	v_mov_b32_e32 v4, 0
	s_and_saveexec_b64 s[24:25], s[22:23]
	s_cbranch_execnz .LBB20_1016
	s_branch .LBB20_1017
.LBB20_1247:
	s_mov_b64 s[0:1], -1
                                        ; implicit-def: $vgpr3
	s_mov_b64 s[4:5], 0
.LBB20_1248:
	s_and_b64 vcc, exec, s[14:15]
	s_cbranch_vccz .LBB20_1252
; %bb.1249:
	s_cmp_eq_u32 s24, 44
	s_cbranch_scc0 .LBB20_1251
; %bb.1250:
	global_load_ubyte v3, v[1:2], off
	s_movk_i32 s4, 0xff
	v_mov_b32_e32 v4, 0x7f800001
	v_mov_b32_e32 v6, 0x400000
	s_mov_b64 s[0:1], 0
	s_waitcnt vmcnt(0)
	v_lshlrev_b32_e32 v8, 23, v3
	v_cmp_ne_u32_e32 vcc, s4, v3
	v_cndmask_b32_e32 v4, v4, v8, vcc
	v_cmp_ne_u32_e32 vcc, 0, v3
	v_cndmask_b32_e32 v3, v6, v4, vcc
	s_mov_b64 s[4:5], -1
	s_branch .LBB20_1252
.LBB20_1251:
	s_mov_b64 s[0:1], -1
                                        ; implicit-def: $vgpr3
.LBB20_1252:
	s_mov_b64 s[14:15], 0
.LBB20_1253:
	s_and_b64 vcc, exec, s[14:15]
	s_cbranch_vccz .LBB20_1257
; %bb.1254:
	s_cmp_eq_u32 s24, 29
	s_cbranch_scc0 .LBB20_1256
; %bb.1255:
	global_load_dwordx2 v[3:4], v[1:2], off
	s_mov_b64 s[0:1], 0
	s_mov_b64 s[4:5], -1
	s_mov_b64 s[14:15], 0
	s_waitcnt vmcnt(0)
	v_ffbh_u32_e32 v6, v4
	v_min_u32_e32 v6, 32, v6
	v_lshlrev_b64 v[3:4], v6, v[3:4]
	v_min_u32_e32 v3, 1, v3
	v_or_b32_e32 v3, v4, v3
	v_cvt_f32_u32_e32 v3, v3
	v_sub_u32_e32 v4, 32, v6
	v_ldexp_f32 v3, v3, v4
	s_branch .LBB20_1258
.LBB20_1256:
	s_mov_b64 s[0:1], -1
                                        ; implicit-def: $vgpr3
.LBB20_1257:
	s_mov_b64 s[14:15], 0
.LBB20_1258:
	s_and_b64 vcc, exec, s[14:15]
	s_cbranch_vccz .LBB20_1276
; %bb.1259:
	s_cmp_lt_i32 s24, 27
	s_cbranch_scc1 .LBB20_1262
; %bb.1260:
	s_cmp_gt_i32 s24, 27
	s_cbranch_scc0 .LBB20_1263
; %bb.1261:
	global_load_dword v3, v[1:2], off
	s_mov_b64 s[4:5], 0
	s_waitcnt vmcnt(0)
	v_cvt_f32_u32_e32 v3, v3
	s_branch .LBB20_1264
.LBB20_1262:
	s_mov_b64 s[4:5], -1
                                        ; implicit-def: $vgpr3
	s_branch .LBB20_1267
.LBB20_1263:
	s_mov_b64 s[4:5], -1
                                        ; implicit-def: $vgpr3
.LBB20_1264:
	s_andn2_b64 vcc, exec, s[4:5]
	s_cbranch_vccnz .LBB20_1266
; %bb.1265:
	global_load_ushort v3, v[1:2], off
	s_waitcnt vmcnt(0)
	v_cvt_f32_u32_e32 v3, v3
.LBB20_1266:
	s_mov_b64 s[4:5], 0
.LBB20_1267:
	s_andn2_b64 vcc, exec, s[4:5]
	s_cbranch_vccnz .LBB20_1275
; %bb.1268:
	global_load_ubyte v4, v[1:2], off
	s_movk_i32 s4, 0x7f
	s_waitcnt vmcnt(0)
	v_cmp_lt_i16_e32 vcc, s4, v4
	s_mov_b64 s[4:5], 0
	s_and_saveexec_b64 s[14:15], vcc
	s_xor_b64 s[14:15], exec, s[14:15]
	s_cbranch_execz .LBB20_1288
; %bb.1269:
	s_movk_i32 s4, 0x80
	v_cmp_eq_u16_e32 vcc, s4, v4
	s_mov_b64 s[4:5], -1
	s_and_saveexec_b64 s[20:21], vcc
; %bb.1270:
	s_xor_b64 s[4:5], exec, -1
; %bb.1271:
	s_or_b64 exec, exec, s[20:21]
	s_and_b64 s[4:5], s[4:5], exec
	s_or_saveexec_b64 s[14:15], s[14:15]
	v_mov_b32_e32 v3, 0x7f800001
	s_xor_b64 exec, exec, s[14:15]
	s_cbranch_execnz .LBB20_1289
.LBB20_1272:
	s_or_b64 exec, exec, s[14:15]
	s_and_saveexec_b64 s[14:15], s[4:5]
	s_cbranch_execz .LBB20_1274
.LBB20_1273:
	v_lshlrev_b32_e32 v3, 24, v4
	v_and_b32_e32 v4, 0xffff, v4
	v_and_b32_e32 v6, 7, v4
	v_ffbh_u32_e32 v9, v6
	v_min_u32_e32 v9, 32, v9
	v_subrev_u32_e32 v10, 28, v9
	v_bfe_u32 v8, v4, 3, 4
	v_lshlrev_b32_e32 v4, v10, v4
	v_sub_u32_e32 v9, 29, v9
	v_and_b32_e32 v4, 7, v4
	v_cmp_eq_u32_e32 vcc, 0, v8
	v_cndmask_b32_e32 v8, v8, v9, vcc
	v_cndmask_b32_e32 v4, v6, v4, vcc
	v_mov_b32_e32 v6, 0x3b800000
	v_lshlrev_b32_e32 v4, 20, v4
	v_and_b32_e32 v3, 0x80000000, v3
	v_lshl_add_u32 v6, v8, 23, v6
	v_or3_b32 v3, v3, v6, v4
.LBB20_1274:
	s_or_b64 exec, exec, s[14:15]
.LBB20_1275:
	s_mov_b64 s[4:5], -1
.LBB20_1276:
	s_branch .LBB20_1309
.LBB20_1277:
	s_cmp_gt_i32 s24, 22
	s_cbranch_scc0 .LBB20_1287
; %bb.1278:
	s_cmp_lt_i32 s24, 24
	s_cbranch_scc1 .LBB20_1290
; %bb.1279:
	s_cmp_gt_i32 s24, 24
	s_cbranch_scc0 .LBB20_1291
; %bb.1280:
	global_load_ubyte v4, v[1:2], off
	s_movk_i32 s2, 0x7f
	s_waitcnt vmcnt(0)
	v_cmp_lt_i16_e32 vcc, s2, v4
	s_mov_b64 s[2:3], 0
	s_and_saveexec_b64 s[4:5], vcc
	s_xor_b64 s[4:5], exec, s[4:5]
	s_cbranch_execz .LBB20_1303
; %bb.1281:
	s_movk_i32 s2, 0x80
	v_cmp_eq_u16_e32 vcc, s2, v4
	s_mov_b64 s[2:3], -1
	s_and_saveexec_b64 s[14:15], vcc
; %bb.1282:
	s_xor_b64 s[2:3], exec, -1
; %bb.1283:
	s_or_b64 exec, exec, s[14:15]
	s_and_b64 s[2:3], s[2:3], exec
	s_or_saveexec_b64 s[4:5], s[4:5]
	v_mov_b32_e32 v3, 0x7f800001
	s_xor_b64 exec, exec, s[4:5]
	s_cbranch_execnz .LBB20_1304
.LBB20_1284:
	s_or_b64 exec, exec, s[4:5]
	s_and_saveexec_b64 s[4:5], s[2:3]
	s_cbranch_execz .LBB20_1286
.LBB20_1285:
	v_lshlrev_b32_e32 v3, 24, v4
	v_and_b32_e32 v4, 0xffff, v4
	v_and_b32_e32 v6, 3, v4
	v_ffbh_u32_e32 v9, v6
	v_min_u32_e32 v9, 32, v9
	v_subrev_u32_e32 v10, 29, v9
	v_bfe_u32 v8, v4, 2, 5
	v_lshlrev_b32_e32 v4, v10, v4
	v_sub_u32_e32 v9, 30, v9
	v_and_b32_e32 v4, 3, v4
	v_cmp_eq_u32_e32 vcc, 0, v8
	v_cndmask_b32_e32 v8, v8, v9, vcc
	v_cndmask_b32_e32 v4, v6, v4, vcc
	v_mov_b32_e32 v6, 0x37800000
	v_lshlrev_b32_e32 v4, 21, v4
	v_and_b32_e32 v3, 0x80000000, v3
	v_lshl_add_u32 v6, v8, 23, v6
	v_or3_b32 v3, v3, v6, v4
.LBB20_1286:
	s_or_b64 exec, exec, s[4:5]
	s_mov_b64 s[2:3], 0
	s_branch .LBB20_1292
.LBB20_1287:
	s_mov_b64 s[2:3], -1
                                        ; implicit-def: $vgpr3
	s_branch .LBB20_1298
.LBB20_1288:
	s_or_saveexec_b64 s[14:15], s[14:15]
	v_mov_b32_e32 v3, 0x7f800001
	s_xor_b64 exec, exec, s[14:15]
	s_cbranch_execz .LBB20_1272
.LBB20_1289:
	v_cmp_ne_u16_e32 vcc, 0, v4
	s_andn2_b64 s[4:5], s[4:5], exec
	s_and_b64 s[20:21], vcc, exec
	v_mov_b32_e32 v3, 0
	s_or_b64 s[4:5], s[4:5], s[20:21]
	s_or_b64 exec, exec, s[14:15]
	s_and_saveexec_b64 s[14:15], s[4:5]
	s_cbranch_execnz .LBB20_1273
	s_branch .LBB20_1274
.LBB20_1290:
	s_mov_b64 s[2:3], -1
                                        ; implicit-def: $vgpr3
	s_branch .LBB20_1295
.LBB20_1291:
	s_mov_b64 s[2:3], -1
                                        ; implicit-def: $vgpr3
.LBB20_1292:
	s_and_b64 vcc, exec, s[2:3]
	s_cbranch_vccz .LBB20_1294
; %bb.1293:
	global_load_ubyte v3, v[1:2], off
	s_mov_b32 s2, 0x7f800000
	s_waitcnt vmcnt(0)
	v_lshlrev_b32_e32 v3, 24, v3
	v_and_b32_e32 v4, 0x7f000000, v3
	v_ffbh_u32_e32 v6, v4
	v_min_u32_e32 v6, 32, v6
	v_sub_u32_e64 v6, v6, 4 clamp
	v_lshlrev_b32_e32 v9, v6, v4
	v_lshlrev_b32_e32 v6, 23, v6
	v_lshrrev_b32_e32 v9, 4, v9
	v_add_u32_e32 v8, 0x1000000, v4
	v_sub_u32_e32 v6, v9, v6
	v_ashrrev_i32_e32 v8, 8, v8
	v_add_u32_e32 v6, 0x3c000000, v6
	v_and_or_b32 v6, v8, s2, v6
	v_cmp_ne_u32_e32 vcc, 0, v4
	v_cndmask_b32_e32 v4, 0, v6, vcc
	s_brev_b32 s2, 1
	v_and_or_b32 v3, v3, s2, v4
.LBB20_1294:
	s_mov_b64 s[2:3], 0
.LBB20_1295:
	s_andn2_b64 vcc, exec, s[2:3]
	s_cbranch_vccnz .LBB20_1297
; %bb.1296:
	global_load_ubyte v3, v[1:2], off
	s_movk_i32 s2, 0x7f00
	s_brev_b32 s3, 16
	s_waitcnt vmcnt(0)
	v_lshlrev_b16_e32 v4, 8, v3
	v_lshlrev_b32_e32 v3, 25, v3
	v_lshrrev_b32_e32 v6, 4, v3
	v_and_or_b32 v8, v4, s2, 0.5
	v_or_b32_e32 v6, 0x70000000, v6
	v_add_f32_e32 v8, -0.5, v8
	v_mul_f32_e32 v6, 0x7800000, v6
	v_cmp_gt_u32_e32 vcc, s3, v3
	v_bfe_i32 v4, v4, 0, 16
	v_cndmask_b32_e32 v3, v6, v8, vcc
	s_brev_b32 s2, 1
	v_and_or_b32 v3, v4, s2, v3
.LBB20_1297:
	s_mov_b64 s[2:3], 0
	s_mov_b64 s[4:5], -1
.LBB20_1298:
	s_andn2_b64 vcc, exec, s[2:3]
	s_mov_b64 s[2:3], 0
	s_cbranch_vccnz .LBB20_1309
; %bb.1299:
	s_cmp_gt_i32 s24, 14
	s_cbranch_scc0 .LBB20_1302
; %bb.1300:
	s_cmp_eq_u32 s24, 15
	s_cbranch_scc0 .LBB20_1305
; %bb.1301:
	global_load_ushort v3, v[1:2], off
	s_mov_b64 s[0:1], 0
	s_mov_b64 s[4:5], -1
	s_waitcnt vmcnt(0)
	v_lshlrev_b32_e32 v3, 16, v3
	s_branch .LBB20_1306
.LBB20_1302:
	s_mov_b64 s[14:15], -1
                                        ; implicit-def: $vgpr3
	s_branch .LBB20_1307
.LBB20_1303:
	s_or_saveexec_b64 s[4:5], s[4:5]
	v_mov_b32_e32 v3, 0x7f800001
	s_xor_b64 exec, exec, s[4:5]
	s_cbranch_execz .LBB20_1284
.LBB20_1304:
	v_cmp_ne_u16_e32 vcc, 0, v4
	s_andn2_b64 s[2:3], s[2:3], exec
	s_and_b64 s[14:15], vcc, exec
	v_mov_b32_e32 v3, 0
	s_or_b64 s[2:3], s[2:3], s[14:15]
	s_or_b64 exec, exec, s[4:5]
	s_and_saveexec_b64 s[4:5], s[2:3]
	s_cbranch_execnz .LBB20_1285
	s_branch .LBB20_1286
.LBB20_1305:
	s_mov_b64 s[0:1], -1
                                        ; implicit-def: $vgpr3
.LBB20_1306:
	s_mov_b64 s[14:15], 0
.LBB20_1307:
	s_and_b64 vcc, exec, s[14:15]
	s_cbranch_vccz .LBB20_1309
; %bb.1308:
	s_cmp_lg_u32 s24, 11
	s_mov_b64 s[2:3], -1
	s_cselect_b64 s[0:1], -1, 0
.LBB20_1309:
	s_and_b64 vcc, exec, s[0:1]
	s_cbranch_vccnz .LBB20_1388
; %bb.1310:
	s_andn2_b64 vcc, exec, s[2:3]
	s_cbranch_vccnz .LBB20_1312
.LBB20_1311:
	global_load_ubyte v3, v[1:2], off
	s_mov_b64 s[4:5], -1
	s_waitcnt vmcnt(0)
	v_cmp_ne_u16_e32 vcc, 0, v3
	v_cndmask_b32_e64 v3, 0, 1.0, vcc
.LBB20_1312:
	s_branch .LBB20_1239
.LBB20_1313:
	s_cmp_lt_i32 s24, 5
	s_cbranch_scc1 .LBB20_1318
; %bb.1314:
	s_cmp_lt_i32 s24, 8
	s_cbranch_scc1 .LBB20_1319
; %bb.1315:
	s_cmp_lt_i32 s24, 9
	s_cbranch_scc1 .LBB20_1320
; %bb.1316:
	s_cmp_gt_i32 s24, 9
	s_cbranch_scc0 .LBB20_1321
; %bb.1317:
	global_load_dwordx2 v[3:4], v[1:2], off
	s_mov_b64 s[0:1], 0
	s_waitcnt vmcnt(0)
	v_cvt_f32_f64_e32 v3, v[3:4]
	s_branch .LBB20_1322
.LBB20_1318:
                                        ; implicit-def: $vgpr3
	s_branch .LBB20_1340
.LBB20_1319:
	s_mov_b64 s[0:1], -1
                                        ; implicit-def: $vgpr3
	s_branch .LBB20_1328
.LBB20_1320:
	s_mov_b64 s[0:1], -1
                                        ; implicit-def: $vgpr3
	s_branch .LBB20_1325
.LBB20_1321:
	s_mov_b64 s[0:1], -1
                                        ; implicit-def: $vgpr3
.LBB20_1322:
	s_andn2_b64 vcc, exec, s[0:1]
	s_cbranch_vccnz .LBB20_1324
; %bb.1323:
	global_load_dword v3, v[1:2], off
.LBB20_1324:
	s_mov_b64 s[0:1], 0
.LBB20_1325:
	s_andn2_b64 vcc, exec, s[0:1]
	s_cbranch_vccnz .LBB20_1327
; %bb.1326:
	global_load_dword v3, v[1:2], off
	s_waitcnt vmcnt(0)
	v_cvt_f32_f16_e32 v3, v3
.LBB20_1327:
	s_mov_b64 s[0:1], 0
.LBB20_1328:
	s_andn2_b64 vcc, exec, s[0:1]
	s_cbranch_vccnz .LBB20_1339
; %bb.1329:
	s_cmp_lt_i32 s24, 6
	s_cbranch_scc1 .LBB20_1332
; %bb.1330:
	s_cmp_gt_i32 s24, 6
	s_cbranch_scc0 .LBB20_1333
; %bb.1331:
	global_load_dwordx2 v[3:4], v[1:2], off
	s_mov_b64 s[0:1], 0
	s_waitcnt vmcnt(0)
	v_cvt_f32_f64_e32 v3, v[3:4]
	s_branch .LBB20_1334
.LBB20_1332:
	s_mov_b64 s[0:1], -1
                                        ; implicit-def: $vgpr3
	s_branch .LBB20_1337
.LBB20_1333:
	s_mov_b64 s[0:1], -1
                                        ; implicit-def: $vgpr3
.LBB20_1334:
	s_andn2_b64 vcc, exec, s[0:1]
	s_cbranch_vccnz .LBB20_1336
; %bb.1335:
	global_load_dword v3, v[1:2], off
.LBB20_1336:
	s_mov_b64 s[0:1], 0
.LBB20_1337:
	s_andn2_b64 vcc, exec, s[0:1]
	s_cbranch_vccnz .LBB20_1339
; %bb.1338:
	global_load_ushort v3, v[1:2], off
	s_waitcnt vmcnt(0)
	v_cvt_f32_f16_e32 v3, v3
.LBB20_1339:
	s_cbranch_execnz .LBB20_1359
.LBB20_1340:
	s_cmp_lt_i32 s24, 2
	s_cbranch_scc1 .LBB20_1344
; %bb.1341:
	s_cmp_lt_i32 s24, 3
	s_cbranch_scc1 .LBB20_1345
; %bb.1342:
	s_cmp_gt_i32 s24, 3
	s_cbranch_scc0 .LBB20_1346
; %bb.1343:
	global_load_dwordx2 v[3:4], v[1:2], off
	s_mov_b64 s[0:1], 0
	s_waitcnt vmcnt(0)
	v_xor_b32_e32 v8, v3, v4
	v_ffbh_i32_e32 v6, v4
	v_ashrrev_i32_e32 v8, 31, v8
	v_add_u32_e32 v6, -1, v6
	v_add_u32_e32 v8, 32, v8
	v_min_u32_e32 v6, v6, v8
	v_lshlrev_b64 v[3:4], v6, v[3:4]
	v_min_u32_e32 v3, 1, v3
	v_or_b32_e32 v3, v4, v3
	v_cvt_f32_i32_e32 v3, v3
	v_sub_u32_e32 v4, 32, v6
	v_ldexp_f32 v3, v3, v4
	s_branch .LBB20_1347
.LBB20_1344:
	s_mov_b64 s[0:1], -1
                                        ; implicit-def: $vgpr3
	s_branch .LBB20_1353
.LBB20_1345:
	s_mov_b64 s[0:1], -1
                                        ; implicit-def: $vgpr3
	s_branch .LBB20_1350
.LBB20_1346:
	s_mov_b64 s[0:1], -1
                                        ; implicit-def: $vgpr3
.LBB20_1347:
	s_andn2_b64 vcc, exec, s[0:1]
	s_cbranch_vccnz .LBB20_1349
; %bb.1348:
	global_load_dword v3, v[1:2], off
	s_waitcnt vmcnt(0)
	v_cvt_f32_i32_e32 v3, v3
.LBB20_1349:
	s_mov_b64 s[0:1], 0
.LBB20_1350:
	s_andn2_b64 vcc, exec, s[0:1]
	s_cbranch_vccnz .LBB20_1352
; %bb.1351:
	global_load_sshort v3, v[1:2], off
	s_waitcnt vmcnt(0)
	v_cvt_f32_i32_e32 v3, v3
.LBB20_1352:
	s_mov_b64 s[0:1], 0
.LBB20_1353:
	s_andn2_b64 vcc, exec, s[0:1]
	s_cbranch_vccnz .LBB20_1359
; %bb.1354:
	s_cmp_gt_i32 s24, 0
	s_cbranch_scc0 .LBB20_1356
; %bb.1355:
	global_load_sbyte v3, v[1:2], off
	s_mov_b64 s[0:1], 0
	s_waitcnt vmcnt(0)
	v_cvt_f32_i32_e32 v3, v3
	s_branch .LBB20_1357
.LBB20_1356:
	s_mov_b64 s[0:1], -1
                                        ; implicit-def: $vgpr3
.LBB20_1357:
	s_andn2_b64 vcc, exec, s[0:1]
	s_cbranch_vccnz .LBB20_1359
; %bb.1358:
	global_load_ubyte v1, v[1:2], off
	s_waitcnt vmcnt(0)
	v_cvt_f32_ubyte0_e32 v3, v1
.LBB20_1359:
.LBB20_1360:
	s_waitcnt vmcnt(0)
	v_cmp_gt_f32_e32 vcc, 0, v3
	v_cndmask_b32_e64 v1, v3, -v3, vcc
	s_mov_b32 s0, 0x40a00000
	v_cmp_ge_f32_e32 vcc, s0, v1
	v_mul_f32_e32 v4, v1, v1
                                        ; implicit-def: $vgpr2
	s_and_saveexec_b64 s[0:1], vcc
	s_xor_b64 s[0:1], exec, s[0:1]
	s_cbranch_execz .LBB20_1366
; %bb.1361:
	s_mov_b32 s2, 0x3727c5ac
	v_cmp_ngt_f32_e32 vcc, s2, v1
                                        ; implicit-def: $vgpr2
	s_and_saveexec_b64 s[2:3], vcc
	s_xor_b64 s[2:3], exec, s[2:3]
	s_cbranch_execz .LBB20_1363
; %bb.1362:
	v_mov_b32_e32 v1, 0xcf8ee29d
	v_fmac_f32_e32 v1, 0, v4
	v_mov_b32_e32 v2, 0x53e3ba8e
	v_fmac_f32_e32 v2, v4, v1
	;; [unrolled: 2-line block ×12, first 2 shown]
	v_add_f32_e32 v1, 0xc0b90fdc, v4
	v_add_f32_e32 v4, 0xc1f3c525, v4
	v_mul_f32_e32 v1, v1, v4
	v_mul_f32_e32 v1, v1, v2
	v_div_scale_f32 v2, s[4:5], v3, v3, v1
	v_div_scale_f32 v4, vcc, v1, v3, v1
	v_rcp_f32_e32 v6, v2
	v_fma_f32 v8, -v2, v6, 1.0
	v_fmac_f32_e32 v6, v8, v6
	v_mul_f32_e32 v8, v4, v6
	v_fma_f32 v9, -v2, v8, v4
	v_fmac_f32_e32 v8, v9, v6
	v_fma_f32 v2, -v2, v8, v4
	v_div_fmas_f32 v2, v2, v6, v8
                                        ; implicit-def: $vgpr4
	v_div_fixup_f32 v2, v2, v3, v1
.LBB20_1363:
	s_andn2_saveexec_b64 s[2:3], s[2:3]
; %bb.1364:
	s_mov_b32 s4, 0xbe800000
	v_fma_f32 v2, v4, s4, 1.0
; %bb.1365:
	s_or_b64 exec, exec, s[2:3]
                                        ; implicit-def: $vgpr4
                                        ; implicit-def: $vgpr1
.LBB20_1366:
	s_andn2_saveexec_b64 s[14:15], s[0:1]
	s_cbranch_execz .LBB20_1376
; %bb.1367:
	v_add_f32_e32 v2, 0xbf490fdb, v1
	v_and_b32_e32 v3, 0x7fffffff, v2
	s_brev_b32 s0, 18
	v_cmp_nlt_f32_e64 s[20:21], |v2|, s0
	v_lshrrev_b32_e32 v11, 23, v3
                                        ; implicit-def: $vgpr6
                                        ; implicit-def: $vgpr8
	s_and_saveexec_b64 s[0:1], s[20:21]
	s_xor_b64 s[22:23], exec, s[0:1]
	s_cbranch_execz .LBB20_1369
; %bb.1368:
	v_and_b32_e32 v6, 0x7fffff, v3
	v_or_b32_e32 v6, 0x800000, v6
	s_mov_b32 s0, 0xfe5163ab
	v_mad_u64_u32 v[8:9], s[0:1], v6, s0, 0
	v_mov_b32_e32 v10, 0
	s_mov_b32 s0, 0x3c439041
	v_mad_u64_u32 v[12:13], s[0:1], v6, s0, v[9:10]
	s_mov_b32 s0, 0xdb629599
	v_add_u32_e32 v17, 0xffffff88, v11
	v_mov_b32_e32 v9, v13
	v_mad_u64_u32 v[13:14], s[0:1], v6, s0, v[9:10]
	s_mov_b32 s0, 0xf534ddc0
	v_not_b32_e32 v18, 63
	v_mov_b32_e32 v9, v14
	v_mad_u64_u32 v[14:15], s[0:1], v6, s0, v[9:10]
	s_mov_b32 s0, 0xfc2757d1
	v_cmp_lt_u32_e32 vcc, 63, v17
	v_mov_b32_e32 v9, v15
	v_mad_u64_u32 v[15:16], s[0:1], v6, s0, v[9:10]
	v_cndmask_b32_e32 v9, 0, v18, vcc
	v_add_u32_e32 v18, v9, v17
	v_mov_b32_e32 v9, v16
	s_mov_b32 s0, 0x4e441529
	v_mad_u64_u32 v[16:17], s[0:1], v6, s0, v[9:10]
	v_not_b32_e32 v19, 31
	v_cmp_lt_u32_e64 s[0:1], 31, v18
	v_cndmask_b32_e64 v9, 0, v19, s[0:1]
	v_add_u32_e32 v18, v9, v18
	v_mov_b32_e32 v9, v17
	s_mov_b32 s2, 0xa2f9836e
	v_mad_u64_u32 v[9:10], s[2:3], v6, s2, v[9:10]
	v_cmp_lt_u32_e64 s[2:3], 31, v18
	v_cndmask_b32_e64 v6, 0, v19, s[2:3]
	v_cndmask_b32_e32 v17, v16, v14, vcc
	v_cndmask_b32_e32 v9, v9, v15, vcc
	;; [unrolled: 1-line block ×3, first 2 shown]
	v_add_u32_e32 v6, v6, v18
	v_cndmask_b32_e64 v18, v9, v17, s[0:1]
	v_cndmask_b32_e64 v9, v10, v9, s[0:1]
	v_cndmask_b32_e32 v10, v15, v13, vcc
	v_cndmask_b32_e64 v15, v17, v10, s[0:1]
	v_cndmask_b32_e64 v9, v9, v18, s[2:3]
	;; [unrolled: 1-line block ×3, first 2 shown]
	v_sub_u32_e32 v17, 32, v6
	v_alignbit_b32 v18, v9, v16, v17
	v_cmp_eq_u32_e64 s[4:5], 0, v6
	v_cndmask_b32_e64 v6, v18, v9, s[4:5]
	v_cndmask_b32_e32 v9, v14, v12, vcc
	v_cndmask_b32_e64 v10, v10, v9, s[0:1]
	v_cndmask_b32_e64 v12, v15, v10, s[2:3]
	v_alignbit_b32 v14, v16, v12, v17
	v_cndmask_b32_e32 v8, v13, v8, vcc
	v_cndmask_b32_e64 v14, v14, v16, s[4:5]
	v_bfe_u32 v18, v6, 29, 1
	v_cndmask_b32_e64 v8, v9, v8, s[0:1]
	v_alignbit_b32 v15, v6, v14, 30
	v_sub_u32_e32 v19, 0, v18
	v_cndmask_b32_e64 v8, v10, v8, s[2:3]
	v_xor_b32_e32 v15, v15, v19
	v_alignbit_b32 v9, v12, v8, v17
	v_cndmask_b32_e64 v9, v9, v12, s[4:5]
	v_ffbh_u32_e32 v12, v15
	v_alignbit_b32 v10, v14, v9, 30
	v_min_u32_e32 v12, 32, v12
	v_alignbit_b32 v8, v9, v8, 30
	v_xor_b32_e32 v10, v10, v19
	v_sub_u32_e32 v13, 31, v12
	v_xor_b32_e32 v8, v8, v19
	v_alignbit_b32 v14, v15, v10, v13
	v_alignbit_b32 v8, v10, v8, v13
	v_alignbit_b32 v9, v14, v8, 9
	v_ffbh_u32_e32 v10, v9
	v_min_u32_e32 v10, 32, v10
	v_lshrrev_b32_e32 v16, 29, v6
	v_not_b32_e32 v13, v10
	v_alignbit_b32 v8, v9, v8, v13
	v_lshlrev_b32_e32 v9, 31, v16
	v_or_b32_e32 v13, 0x33000000, v9
	v_add_lshl_u32 v10, v10, v12, 23
	v_lshrrev_b32_e32 v8, 9, v8
	v_sub_u32_e32 v10, v13, v10
	v_or_b32_e32 v9, 0.5, v9
	v_lshlrev_b32_e32 v12, 23, v12
	v_or_b32_e32 v8, v10, v8
	v_lshrrev_b32_e32 v10, 9, v14
	v_sub_u32_e32 v9, v9, v12
	v_or_b32_e32 v9, v10, v9
	s_mov_b32 s0, 0x3fc90fda
	v_mul_f32_e32 v10, 0x3fc90fda, v9
	v_fma_f32 v12, v9, s0, -v10
	v_fmac_f32_e32 v12, 0x33a22168, v9
	v_fmac_f32_e32 v12, 0x3fc90fda, v8
	v_lshrrev_b32_e32 v6, 30, v6
	v_add_f32_e32 v8, v10, v12
	v_add_u32_e32 v6, v18, v6
	s_andn2_saveexec_b64 s[0:1], s[22:23]
	s_cbranch_execz .LBB20_1371
	s_branch .LBB20_1370
.LBB20_1369:
	s_andn2_saveexec_b64 s[0:1], s[22:23]
	s_cbranch_execz .LBB20_1371
.LBB20_1370:
	s_mov_b32 s2, 0x3f22f983
	v_mul_f32_e64 v6, |v2|, s2
	v_rndne_f32_e32 v9, v6
	s_mov_b32 s2, 0xbfc90fda
	v_cvt_i32_f32_e32 v6, v9
	v_fma_f32 v8, v9, s2, |v2|
	v_fmac_f32_e32 v8, 0xb3a22168, v9
	v_fmac_f32_e32 v8, 0xa7c234c4, v9
.LBB20_1371:
	s_or_b64 exec, exec, s[0:1]
                                        ; implicit-def: $vgpr9
                                        ; implicit-def: $vgpr10
	s_and_saveexec_b64 s[0:1], s[20:21]
	s_xor_b64 s[20:21], exec, s[0:1]
	s_cbranch_execz .LBB20_1373
; %bb.1372:
	v_and_b32_e32 v9, 0x7fffff, v3
	v_or_b32_e32 v18, 0x800000, v9
	s_mov_b32 s0, 0xfe5163ab
	v_mad_u64_u32 v[9:10], s[0:1], v18, s0, 0
	v_mov_b32_e32 v13, 0
	s_mov_b32 s0, 0x3c439041
	v_mov_b32_e32 v12, v10
	v_mad_u64_u32 v[14:15], s[0:1], v18, s0, v[12:13]
	s_mov_b32 s0, 0xdb629599
	v_add_u32_e32 v19, 0xffffff88, v11
	v_mov_b32_e32 v12, v15
	v_mad_u64_u32 v[15:16], s[0:1], v18, s0, v[12:13]
	s_mov_b32 s0, 0xf534ddc0
	v_not_b32_e32 v20, 63
	v_mov_b32_e32 v12, v16
	v_mad_u64_u32 v[16:17], s[0:1], v18, s0, v[12:13]
	s_mov_b32 s0, 0xfc2757d1
	v_cmp_lt_u32_e32 vcc, 63, v19
	v_mov_b32_e32 v12, v17
	v_mad_u64_u32 v[10:11], s[0:1], v18, s0, v[12:13]
	v_cndmask_b32_e32 v12, 0, v20, vcc
	v_add_u32_e32 v17, v12, v19
	v_mov_b32_e32 v12, v11
	s_mov_b32 s0, 0x4e441529
	v_mad_u64_u32 v[11:12], s[0:1], v18, s0, v[12:13]
	v_not_b32_e32 v19, 31
	v_cmp_lt_u32_e64 s[0:1], 31, v17
	s_mov_b32 s2, 0xa2f9836e
	v_cndmask_b32_e64 v20, 0, v19, s[0:1]
	v_mad_u64_u32 v[12:13], s[2:3], v18, s2, v[12:13]
	v_add_u32_e32 v17, v20, v17
	v_cmp_lt_u32_e64 s[2:3], 31, v17
	v_cndmask_b32_e64 v18, 0, v19, s[2:3]
	v_add_u32_e32 v17, v18, v17
	v_cndmask_b32_e32 v18, v11, v16, vcc
	v_cndmask_b32_e32 v12, v12, v10, vcc
	;; [unrolled: 1-line block ×4, first 2 shown]
	v_cndmask_b32_e64 v19, v12, v18, s[0:1]
	v_cndmask_b32_e64 v11, v11, v12, s[0:1]
	;; [unrolled: 1-line block ×3, first 2 shown]
	v_cndmask_b32_e32 v14, v16, v14, vcc
	v_cndmask_b32_e64 v11, v11, v19, s[2:3]
	v_cndmask_b32_e64 v13, v19, v12, s[2:3]
	v_sub_u32_e32 v18, 32, v17
	v_cndmask_b32_e64 v10, v10, v14, s[0:1]
	v_alignbit_b32 v19, v11, v13, v18
	v_cmp_eq_u32_e64 s[4:5], 0, v17
	v_cndmask_b32_e64 v12, v12, v10, s[2:3]
	v_cndmask_b32_e32 v9, v15, v9, vcc
	v_cndmask_b32_e64 v11, v19, v11, s[4:5]
	v_alignbit_b32 v16, v13, v12, v18
	v_cndmask_b32_e64 v9, v14, v9, s[0:1]
	v_cndmask_b32_e64 v13, v16, v13, s[4:5]
	v_bfe_u32 v19, v11, 29, 1
	v_cndmask_b32_e64 v9, v10, v9, s[2:3]
	v_alignbit_b32 v16, v11, v13, 30
	v_sub_u32_e32 v20, 0, v19
	v_alignbit_b32 v10, v12, v9, v18
	v_xor_b32_e32 v16, v16, v20
	v_cndmask_b32_e64 v10, v10, v12, s[4:5]
	v_alignbit_b32 v12, v13, v10, 30
	v_ffbh_u32_e32 v13, v16
	v_min_u32_e32 v13, 32, v13
	v_alignbit_b32 v9, v10, v9, 30
	v_xor_b32_e32 v12, v12, v20
	v_sub_u32_e32 v14, 31, v13
	v_xor_b32_e32 v9, v9, v20
	v_alignbit_b32 v15, v16, v12, v14
	v_alignbit_b32 v9, v12, v9, v14
	;; [unrolled: 1-line block ×3, first 2 shown]
	v_ffbh_u32_e32 v12, v10
	v_min_u32_e32 v12, 32, v12
	v_lshrrev_b32_e32 v17, 29, v11
	v_not_b32_e32 v14, v12
	v_alignbit_b32 v9, v10, v9, v14
	v_lshlrev_b32_e32 v10, 31, v17
	v_or_b32_e32 v14, 0x33000000, v10
	v_add_lshl_u32 v12, v12, v13, 23
	v_lshrrev_b32_e32 v9, 9, v9
	v_sub_u32_e32 v12, v14, v12
	v_or_b32_e32 v10, 0.5, v10
	v_lshlrev_b32_e32 v13, 23, v13
	v_or_b32_e32 v9, v12, v9
	v_lshrrev_b32_e32 v12, 9, v15
	v_sub_u32_e32 v10, v10, v13
	v_or_b32_e32 v10, v12, v10
	s_mov_b32 s0, 0x3fc90fda
	v_mul_f32_e32 v12, 0x3fc90fda, v10
	v_fma_f32 v13, v10, s0, -v12
	v_fmac_f32_e32 v13, 0x33a22168, v10
	v_fmac_f32_e32 v13, 0x3fc90fda, v9
	v_lshrrev_b32_e32 v9, 30, v11
	v_add_f32_e32 v10, v12, v13
	v_add_u32_e32 v9, v19, v9
	s_andn2_saveexec_b64 s[0:1], s[20:21]
	s_cbranch_execnz .LBB20_1374
	s_branch .LBB20_1375
.LBB20_1373:
	s_andn2_saveexec_b64 s[0:1], s[20:21]
	s_cbranch_execz .LBB20_1375
.LBB20_1374:
	s_mov_b32 s2, 0x3f22f983
	v_mul_f32_e64 v9, |v2|, s2
	v_rndne_f32_e32 v11, v9
	s_mov_b32 s2, 0xbfc90fda
	v_cvt_i32_f32_e32 v9, v11
	v_fma_f32 v10, v11, s2, |v2|
	v_fmac_f32_e32 v10, 0xb3a22168, v11
	v_fmac_f32_e32 v10, 0xa7c234c4, v11
.LBB20_1375:
	s_or_b64 exec, exec, s[0:1]
	s_mov_b32 s2, 0x41c80000
	v_div_scale_f32 v11, s[0:1], v4, v4, s2
	v_div_scale_f32 v12, vcc, s2, v4, s2
	v_mov_b32_e32 v18, 0x3a725406
	v_mov_b32_e32 v19, 0x3daf5e2d
	;; [unrolled: 1-line block ×9, first 2 shown]
	v_rcp_f32_e32 v13, v11
	v_fma_f32 v14, -v11, v13, 1.0
	v_fmac_f32_e32 v13, v14, v13
	v_mul_f32_e32 v14, v12, v13
	v_fma_f32 v15, -v11, v14, v12
	v_fmac_f32_e32 v14, v15, v13
	v_fma_f32 v11, -v11, v14, v12
	v_div_fmas_f32 v11, v11, v13, v14
	v_mov_b32_e32 v12, 0x3a50e985
	v_mov_b32_e32 v13, 0x3da9a586
	v_mov_b32_e32 v14, 0x3f9ea90a
	v_mov_b32_e32 v15, 0x40ae4fdf
	v_div_fixup_f32 v4, v11, v4, s2
	v_fmac_f32_e32 v12, 0, v4
	v_fmac_f32_e32 v18, 0, v4
	;; [unrolled: 1-line block ×12, first 2 shown]
	v_fma_f32 v11, v4, v23, 1.0
	v_fma_f32 v13, v4, v17, 1.0
	v_div_scale_f32 v14, s[0:1], v11, v11, v13
	v_div_scale_f32 v15, vcc, v13, v11, v13
	v_mov_b32_e32 v16, 0xbc3a3a12
	v_mov_b32_e32 v17, 0xbfa429da
	v_fmac_f32_e32 v16, 0, v4
	v_mov_b32_e32 v18, 0xc19c6e80
	v_fmac_f32_e32 v17, v4, v16
	v_mov_b32_e32 v19, 0xc2ba697b
	s_mov_b32 s2, 0xc0a00000
	v_fmac_f32_e32 v18, v4, v17
	v_fmac_f32_e32 v19, v4, v18
	v_div_scale_f32 v18, s[0:1], v1, v1, s2
	v_fmac_f32_e32 v24, 0, v4
	v_rcp_f32_e32 v22, v14
	v_mov_b32_e32 v20, 0xc331ae61
	v_mov_b32_e32 v21, 0xc31313d7
	v_fmac_f32_e32 v20, v4, v19
	v_fma_f32 v25, -v14, v22, 1.0
	v_fmac_f32_e32 v22, v25, v22
	v_mul_f32_e32 v25, v15, v22
	v_fma_f32 v26, -v14, v25, v15
	v_fmac_f32_e32 v25, v26, v22
	v_fma_f32 v14, -v14, v25, v15
	v_div_fmas_f32 v14, v14, v22, v25
	v_mov_b32_e32 v26, 0x44561b86
	v_mov_b32_e32 v15, 0x4572a66e
	v_fmac_f32_e32 v26, v4, v24
	v_mov_b32_e32 v22, 0x45e243be
	v_fmac_f32_e32 v15, v4, v26
	;; [unrolled: 2-line block ×3, first 2 shown]
	v_mov_b32_e32 v23, 0xc24da463
	v_mov_b32_e32 v16, 0x4500e17e
	v_div_scale_f32 v15, vcc, s2, v1, s2
	v_fmac_f32_e32 v25, v4, v22
	v_fmac_f32_e32 v21, v4, v20
	v_mov_b32_e32 v12, 0xc0c19ac7
	v_mov_b32_e32 v24, 0x43720178
	v_fmac_f32_e32 v16, v4, v25
	v_fmac_f32_e32 v23, v4, v21
	;; [unrolled: 1-line block ×4, first 2 shown]
	v_div_scale_f32 v4, s[0:1], v24, v24, v12
	v_div_scale_f32 v19, s[0:1], v12, v24, v12
	v_mul_f32_e32 v17, v8, v8
	v_div_fixup_f32 v11, v14, v11, v13
	v_mov_b32_e32 v13, 0x3c0881c4
	v_rcp_f32_e32 v16, v18
	v_fmac_f32_e32 v13, 0xb94c1982, v17
	v_mov_b32_e32 v14, 0xbe2aaa9d
	v_fma_f32 v13, v17, v13, v14
	v_mul_f32_e32 v13, v17, v13
	v_fmac_f32_e32 v8, v8, v13
	v_fma_f32 v13, -v18, v16, 1.0
	v_fmac_f32_e32 v16, v13, v16
	v_mul_f32_e32 v13, v15, v16
	v_fma_f32 v20, -v18, v13, v15
	v_fmac_f32_e32 v13, v20, v16
	v_fma_f32 v15, -v18, v13, v15
	v_rcp_f32_e32 v18, v4
	v_div_fmas_f32 v13, v15, v16, v13
	s_mov_b64 vcc, s[0:1]
	v_mov_b32_e32 v26, 0x3c0881c4
	v_fma_f32 v15, -v4, v18, 1.0
	v_fmac_f32_e32 v18, v15, v18
	v_mul_f32_e32 v15, v19, v18
	v_fma_f32 v16, -v4, v15, v19
	v_fmac_f32_e32 v15, v16, v18
	v_fma_f32 v4, -v4, v15, v19
	v_div_fmas_f32 v4, v4, v18, v15
	v_mov_b32_e32 v16, 0xbab64f3b
	v_fmac_f32_e32 v16, 0x37d75334, v17
	v_mov_b32_e32 v19, 0x3d2aabf7
	v_mov_b32_e32 v20, 0xbab64f3b
	v_fma_f32 v15, v17, v16, v19
	v_mov_b32_e32 v16, 0xbf000004
	v_fma_f32 v15, v17, v15, v16
	v_div_fixup_f32 v13, v13, v1, s2
	v_fma_f32 v15, v17, v15, 1.0
	v_and_b32_e32 v17, 1, v6
	v_cmp_eq_u32_e32 vcc, 0, v17
	s_movk_i32 s0, 0x1f8
	v_cndmask_b32_e64 v8, -v8, v15, vcc
	v_lshlrev_b32_e32 v6, 30, v6
	v_cmp_class_f32_e64 vcc, v2, s0
	v_div_fixup_f32 v4, v4, v24, v12
	v_mul_f32_e32 v12, v10, v10
	v_fmac_f32_e32 v26, 0xb94c1982, v12
	v_fmac_f32_e32 v14, v12, v26
	;; [unrolled: 1-line block ×3, first 2 shown]
	v_mul_f32_e32 v4, v13, v4
	v_mul_f32_e32 v13, v12, v14
	v_fmac_f32_e32 v19, v12, v20
	v_fmac_f32_e32 v10, v10, v13
	;; [unrolled: 1-line block ×3, first 2 shown]
	v_and_b32_e32 v13, 1, v9
	v_lshlrev_b32_e32 v9, 30, v9
	v_fma_f32 v12, v12, v16, 1.0
	v_cmp_eq_u32_e64 s[0:1], 0, v13
	v_and_b32_e32 v9, 0x80000000, v9
	v_xor_b32_e32 v2, v3, v2
	v_and_b32_e32 v6, 0x80000000, v6
	v_cndmask_b32_e64 v10, v12, v10, s[0:1]
	v_xor_b32_e32 v2, v2, v9
	v_xor_b32_e32 v6, v6, v8
	v_mov_b32_e32 v8, 0x7fc00000
	v_xor_b32_e32 v2, v2, v10
	s_mov_b32 s0, 0xf800000
	v_cndmask_b32_e32 v6, v8, v6, vcc
	v_cndmask_b32_e32 v2, v8, v2, vcc
	v_mul_f32_e32 v3, 0x4f800000, v1
	v_cmp_gt_f32_e32 vcc, s0, v1
	v_cndmask_b32_e32 v1, v1, v3, vcc
	v_sqrt_f32_e32 v3, v1
	v_mul_f32_e32 v2, v4, v2
	v_fmac_f32_e32 v2, v11, v6
	v_mul_f32_e32 v2, 0x3f4c422a, v2
	v_add_u32_e32 v4, -1, v3
	v_fma_f32 v6, -v4, v3, v1
	v_cmp_ge_f32_e64 s[0:1], 0, v6
	v_add_u32_e32 v6, 1, v3
	v_cndmask_b32_e64 v4, v3, v4, s[0:1]
	v_fma_f32 v3, -v6, v3, v1
	v_cmp_lt_f32_e64 s[0:1], 0, v3
	v_cndmask_b32_e64 v3, v4, v6, s[0:1]
	v_mul_f32_e32 v4, 0x37800000, v3
	v_cndmask_b32_e32 v3, v3, v4, vcc
	v_mov_b32_e32 v4, 0x260
	v_cmp_class_f32_e32 vcc, v1, v4
	v_cndmask_b32_e32 v1, v3, v1, vcc
	v_div_scale_f32 v3, s[0:1], v1, v1, v2
	v_div_scale_f32 v4, vcc, v2, v1, v2
	v_rcp_f32_e32 v6, v3
	v_fma_f32 v8, -v3, v6, 1.0
	v_fmac_f32_e32 v6, v8, v6
	v_mul_f32_e32 v8, v4, v6
	v_fma_f32 v9, -v3, v8, v4
	v_fmac_f32_e32 v8, v9, v6
	v_fma_f32 v3, -v3, v8, v4
	v_div_fmas_f32 v3, v3, v6, v8
	v_div_fixup_f32 v2, v3, v1, v2
.LBB20_1376:
	s_or_b64 exec, exec, s[14:15]
	v_add_u32_e32 v1, 0x100, v7
	v_mul_lo_u32 v1, s13, v1
	v_mov_b32_e32 v4, s11
	s_cmp_lt_i32 s24, 11
	v_ashrrev_i32_e32 v6, 31, v1
	v_add_co_u32_e32 v3, vcc, s10, v1
	v_addc_co_u32_e32 v4, vcc, v4, v6, vcc
	s_cbranch_scc1 .LBB20_1383
; %bb.1377:
	s_cmp_gt_i32 s24, 25
	s_mov_b64 s[2:3], 0
	s_cbranch_scc0 .LBB20_1385
; %bb.1378:
	s_cmp_gt_i32 s24, 28
	s_cbranch_scc0 .LBB20_1386
; %bb.1379:
	s_cmp_gt_i32 s24, 43
	;; [unrolled: 3-line block ×3, first 2 shown]
	s_cbranch_scc0 .LBB20_1389
; %bb.1381:
	s_cmp_eq_u32 s24, 46
	s_mov_b64 s[14:15], 0
	s_cbranch_scc0 .LBB20_1390
; %bb.1382:
	global_load_dword v1, v[3:4], off
	s_mov_b64 s[0:1], 0
	s_mov_b64 s[4:5], -1
	s_waitcnt vmcnt(0)
	v_lshlrev_b32_e32 v1, 16, v1
	s_branch .LBB20_1391
.LBB20_1383:
	s_mov_b64 s[4:5], 0
                                        ; implicit-def: $vgpr1
	s_cbranch_execnz .LBB20_1457
.LBB20_1384:
	s_andn2_b64 vcc, exec, s[4:5]
	s_cbranch_vccnz .LBB20_1660
	s_branch .LBB20_1505
.LBB20_1385:
	s_mov_b64 s[14:15], -1
	s_mov_b64 s[4:5], 0
	s_mov_b64 s[0:1], 0
                                        ; implicit-def: $vgpr1
	s_branch .LBB20_1420
.LBB20_1386:
	s_mov_b64 s[14:15], -1
	s_mov_b64 s[4:5], 0
	s_mov_b64 s[0:1], 0
                                        ; implicit-def: $vgpr1
	s_branch .LBB20_1401
.LBB20_1387:
	s_mov_b64 s[14:15], -1
	s_mov_b64 s[4:5], 0
	s_mov_b64 s[0:1], 0
                                        ; implicit-def: $vgpr1
	s_branch .LBB20_1396
.LBB20_1388:
	s_trap 2
	s_or_b64 s[18:19], s[18:19], exec
	s_cbranch_execz .LBB20_1311
	s_branch .LBB20_1312
.LBB20_1389:
	s_mov_b64 s[14:15], -1
	s_mov_b64 s[4:5], 0
	s_mov_b64 s[0:1], 0
                                        ; implicit-def: $vgpr1
	s_branch .LBB20_1391
.LBB20_1390:
	s_mov_b64 s[0:1], -1
                                        ; implicit-def: $vgpr1
	s_mov_b64 s[4:5], 0
.LBB20_1391:
	s_and_b64 vcc, exec, s[14:15]
	s_cbranch_vccz .LBB20_1395
; %bb.1392:
	s_cmp_eq_u32 s24, 44
	s_cbranch_scc0 .LBB20_1394
; %bb.1393:
	global_load_ubyte v1, v[3:4], off
	s_movk_i32 s4, 0xff
	v_mov_b32_e32 v6, 0x7f800001
	v_mov_b32_e32 v8, 0x400000
	s_mov_b64 s[0:1], 0
	s_waitcnt vmcnt(0)
	v_lshlrev_b32_e32 v9, 23, v1
	v_cmp_ne_u32_e32 vcc, s4, v1
	v_cndmask_b32_e32 v6, v6, v9, vcc
	v_cmp_ne_u32_e32 vcc, 0, v1
	v_cndmask_b32_e32 v1, v8, v6, vcc
	s_mov_b64 s[4:5], -1
	s_branch .LBB20_1395
.LBB20_1394:
	s_mov_b64 s[0:1], -1
                                        ; implicit-def: $vgpr1
.LBB20_1395:
	s_mov_b64 s[14:15], 0
.LBB20_1396:
	s_and_b64 vcc, exec, s[14:15]
	s_cbranch_vccz .LBB20_1400
; %bb.1397:
	s_cmp_eq_u32 s24, 29
	s_cbranch_scc0 .LBB20_1399
; %bb.1398:
	global_load_dwordx2 v[8:9], v[3:4], off
	s_mov_b64 s[0:1], 0
	s_mov_b64 s[4:5], -1
	s_mov_b64 s[14:15], 0
	s_waitcnt vmcnt(0)
	v_ffbh_u32_e32 v1, v9
	v_min_u32_e32 v1, 32, v1
	v_lshlrev_b64 v[8:9], v1, v[8:9]
	v_sub_u32_e32 v1, 32, v1
	v_min_u32_e32 v6, 1, v8
	v_or_b32_e32 v6, v9, v6
	v_cvt_f32_u32_e32 v6, v6
	v_ldexp_f32 v1, v6, v1
	s_branch .LBB20_1401
.LBB20_1399:
	s_mov_b64 s[0:1], -1
                                        ; implicit-def: $vgpr1
.LBB20_1400:
	s_mov_b64 s[14:15], 0
.LBB20_1401:
	s_and_b64 vcc, exec, s[14:15]
	s_cbranch_vccz .LBB20_1419
; %bb.1402:
	s_cmp_lt_i32 s24, 27
	s_cbranch_scc1 .LBB20_1405
; %bb.1403:
	s_cmp_gt_i32 s24, 27
	s_cbranch_scc0 .LBB20_1406
; %bb.1404:
	global_load_dword v1, v[3:4], off
	s_mov_b64 s[4:5], 0
	s_waitcnt vmcnt(0)
	v_cvt_f32_u32_e32 v1, v1
	s_branch .LBB20_1407
.LBB20_1405:
	s_mov_b64 s[4:5], -1
                                        ; implicit-def: $vgpr1
	s_branch .LBB20_1410
.LBB20_1406:
	s_mov_b64 s[4:5], -1
                                        ; implicit-def: $vgpr1
.LBB20_1407:
	s_andn2_b64 vcc, exec, s[4:5]
	s_cbranch_vccnz .LBB20_1409
; %bb.1408:
	global_load_ushort v1, v[3:4], off
	s_waitcnt vmcnt(0)
	v_cvt_f32_u32_e32 v1, v1
.LBB20_1409:
	s_mov_b64 s[4:5], 0
.LBB20_1410:
	s_andn2_b64 vcc, exec, s[4:5]
	s_cbranch_vccnz .LBB20_1418
; %bb.1411:
	global_load_ubyte v6, v[3:4], off
	s_movk_i32 s4, 0x7f
	s_waitcnt vmcnt(0)
	v_cmp_lt_i16_e32 vcc, s4, v6
	s_mov_b64 s[4:5], 0
	s_and_saveexec_b64 s[14:15], vcc
	s_xor_b64 s[14:15], exec, s[14:15]
	s_cbranch_execz .LBB20_1432
; %bb.1412:
	s_movk_i32 s4, 0x80
	v_cmp_eq_u16_e32 vcc, s4, v6
	s_mov_b64 s[4:5], -1
	s_and_saveexec_b64 s[20:21], vcc
; %bb.1413:
	s_xor_b64 s[4:5], exec, -1
; %bb.1414:
	s_or_b64 exec, exec, s[20:21]
	s_and_b64 s[4:5], s[4:5], exec
	s_or_saveexec_b64 s[14:15], s[14:15]
	v_mov_b32_e32 v1, 0x7f800001
	s_xor_b64 exec, exec, s[14:15]
	s_cbranch_execnz .LBB20_1433
.LBB20_1415:
	s_or_b64 exec, exec, s[14:15]
	s_and_saveexec_b64 s[14:15], s[4:5]
	s_cbranch_execz .LBB20_1417
.LBB20_1416:
	v_lshlrev_b32_e32 v1, 24, v6
	v_and_b32_e32 v6, 0xffff, v6
	v_and_b32_e32 v8, 7, v6
	v_ffbh_u32_e32 v10, v8
	v_min_u32_e32 v10, 32, v10
	v_subrev_u32_e32 v11, 28, v10
	v_bfe_u32 v9, v6, 3, 4
	v_lshlrev_b32_e32 v6, v11, v6
	v_sub_u32_e32 v10, 29, v10
	v_and_b32_e32 v6, 7, v6
	v_cmp_eq_u32_e32 vcc, 0, v9
	v_cndmask_b32_e32 v9, v9, v10, vcc
	v_cndmask_b32_e32 v6, v8, v6, vcc
	v_mov_b32_e32 v8, 0x3b800000
	v_lshlrev_b32_e32 v6, 20, v6
	v_and_b32_e32 v1, 0x80000000, v1
	v_lshl_add_u32 v8, v9, 23, v8
	v_or3_b32 v1, v1, v8, v6
.LBB20_1417:
	s_or_b64 exec, exec, s[14:15]
.LBB20_1418:
	s_mov_b64 s[4:5], -1
.LBB20_1419:
	s_mov_b64 s[14:15], 0
.LBB20_1420:
	s_and_b64 vcc, exec, s[14:15]
	s_cbranch_vccz .LBB20_1453
; %bb.1421:
	s_cmp_gt_i32 s24, 22
	s_cbranch_scc0 .LBB20_1431
; %bb.1422:
	s_cmp_lt_i32 s24, 24
	s_cbranch_scc1 .LBB20_1434
; %bb.1423:
	s_cmp_gt_i32 s24, 24
	s_cbranch_scc0 .LBB20_1435
; %bb.1424:
	global_load_ubyte v6, v[3:4], off
	s_movk_i32 s2, 0x7f
	s_waitcnt vmcnt(0)
	v_cmp_lt_i16_e32 vcc, s2, v6
	s_mov_b64 s[2:3], 0
	s_and_saveexec_b64 s[4:5], vcc
	s_xor_b64 s[4:5], exec, s[4:5]
	s_cbranch_execz .LBB20_1447
; %bb.1425:
	s_movk_i32 s2, 0x80
	v_cmp_eq_u16_e32 vcc, s2, v6
	s_mov_b64 s[2:3], -1
	s_and_saveexec_b64 s[14:15], vcc
; %bb.1426:
	s_xor_b64 s[2:3], exec, -1
; %bb.1427:
	s_or_b64 exec, exec, s[14:15]
	s_and_b64 s[2:3], s[2:3], exec
	s_or_saveexec_b64 s[4:5], s[4:5]
	v_mov_b32_e32 v1, 0x7f800001
	s_xor_b64 exec, exec, s[4:5]
	s_cbranch_execnz .LBB20_1448
.LBB20_1428:
	s_or_b64 exec, exec, s[4:5]
	s_and_saveexec_b64 s[4:5], s[2:3]
	s_cbranch_execz .LBB20_1430
.LBB20_1429:
	v_lshlrev_b32_e32 v1, 24, v6
	v_and_b32_e32 v6, 0xffff, v6
	v_and_b32_e32 v8, 3, v6
	v_ffbh_u32_e32 v10, v8
	v_min_u32_e32 v10, 32, v10
	v_subrev_u32_e32 v11, 29, v10
	v_bfe_u32 v9, v6, 2, 5
	v_lshlrev_b32_e32 v6, v11, v6
	v_sub_u32_e32 v10, 30, v10
	v_and_b32_e32 v6, 3, v6
	v_cmp_eq_u32_e32 vcc, 0, v9
	v_cndmask_b32_e32 v9, v9, v10, vcc
	v_cndmask_b32_e32 v6, v8, v6, vcc
	v_mov_b32_e32 v8, 0x37800000
	v_lshlrev_b32_e32 v6, 21, v6
	v_and_b32_e32 v1, 0x80000000, v1
	v_lshl_add_u32 v8, v9, 23, v8
	v_or3_b32 v1, v1, v8, v6
.LBB20_1430:
	s_or_b64 exec, exec, s[4:5]
	s_mov_b64 s[2:3], 0
	s_branch .LBB20_1436
.LBB20_1431:
	s_mov_b64 s[2:3], -1
                                        ; implicit-def: $vgpr1
	s_branch .LBB20_1442
.LBB20_1432:
	s_or_saveexec_b64 s[14:15], s[14:15]
	v_mov_b32_e32 v1, 0x7f800001
	s_xor_b64 exec, exec, s[14:15]
	s_cbranch_execz .LBB20_1415
.LBB20_1433:
	v_cmp_ne_u16_e32 vcc, 0, v6
	s_andn2_b64 s[4:5], s[4:5], exec
	s_and_b64 s[20:21], vcc, exec
	v_mov_b32_e32 v1, 0
	s_or_b64 s[4:5], s[4:5], s[20:21]
	s_or_b64 exec, exec, s[14:15]
	s_and_saveexec_b64 s[14:15], s[4:5]
	s_cbranch_execnz .LBB20_1416
	s_branch .LBB20_1417
.LBB20_1434:
	s_mov_b64 s[2:3], -1
                                        ; implicit-def: $vgpr1
	s_branch .LBB20_1439
.LBB20_1435:
	s_mov_b64 s[2:3], -1
                                        ; implicit-def: $vgpr1
.LBB20_1436:
	s_and_b64 vcc, exec, s[2:3]
	s_cbranch_vccz .LBB20_1438
; %bb.1437:
	global_load_ubyte v1, v[3:4], off
	s_mov_b32 s2, 0x7f800000
	s_waitcnt vmcnt(0)
	v_lshlrev_b32_e32 v1, 24, v1
	v_and_b32_e32 v6, 0x7f000000, v1
	v_ffbh_u32_e32 v8, v6
	v_min_u32_e32 v8, 32, v8
	v_sub_u32_e64 v8, v8, 4 clamp
	v_lshlrev_b32_e32 v10, v8, v6
	v_lshlrev_b32_e32 v8, 23, v8
	v_lshrrev_b32_e32 v10, 4, v10
	v_add_u32_e32 v9, 0x1000000, v6
	v_sub_u32_e32 v8, v10, v8
	v_ashrrev_i32_e32 v9, 8, v9
	v_add_u32_e32 v8, 0x3c000000, v8
	v_and_or_b32 v8, v9, s2, v8
	v_cmp_ne_u32_e32 vcc, 0, v6
	v_cndmask_b32_e32 v6, 0, v8, vcc
	s_brev_b32 s2, 1
	v_and_or_b32 v1, v1, s2, v6
.LBB20_1438:
	s_mov_b64 s[2:3], 0
.LBB20_1439:
	s_andn2_b64 vcc, exec, s[2:3]
	s_cbranch_vccnz .LBB20_1441
; %bb.1440:
	global_load_ubyte v1, v[3:4], off
	s_movk_i32 s2, 0x7f00
	s_brev_b32 s3, 16
	s_waitcnt vmcnt(0)
	v_lshlrev_b16_e32 v6, 8, v1
	v_lshlrev_b32_e32 v1, 25, v1
	v_lshrrev_b32_e32 v8, 4, v1
	v_and_or_b32 v9, v6, s2, 0.5
	v_or_b32_e32 v8, 0x70000000, v8
	v_add_f32_e32 v9, -0.5, v9
	v_mul_f32_e32 v8, 0x7800000, v8
	v_cmp_gt_u32_e32 vcc, s3, v1
	v_bfe_i32 v6, v6, 0, 16
	v_cndmask_b32_e32 v1, v8, v9, vcc
	s_brev_b32 s2, 1
	v_and_or_b32 v1, v6, s2, v1
.LBB20_1441:
	s_mov_b64 s[2:3], 0
	s_mov_b64 s[4:5], -1
.LBB20_1442:
	s_andn2_b64 vcc, exec, s[2:3]
	s_mov_b64 s[2:3], 0
	s_cbranch_vccnz .LBB20_1453
; %bb.1443:
	s_cmp_gt_i32 s24, 14
	s_cbranch_scc0 .LBB20_1446
; %bb.1444:
	s_cmp_eq_u32 s24, 15
	s_cbranch_scc0 .LBB20_1449
; %bb.1445:
	global_load_ushort v1, v[3:4], off
	s_mov_b64 s[0:1], 0
	s_mov_b64 s[4:5], -1
	s_waitcnt vmcnt(0)
	v_lshlrev_b32_e32 v1, 16, v1
	s_branch .LBB20_1450
.LBB20_1446:
	s_mov_b64 s[14:15], -1
                                        ; implicit-def: $vgpr1
	s_branch .LBB20_1451
.LBB20_1447:
	s_or_saveexec_b64 s[4:5], s[4:5]
	v_mov_b32_e32 v1, 0x7f800001
	s_xor_b64 exec, exec, s[4:5]
	s_cbranch_execz .LBB20_1428
.LBB20_1448:
	v_cmp_ne_u16_e32 vcc, 0, v6
	s_andn2_b64 s[2:3], s[2:3], exec
	s_and_b64 s[14:15], vcc, exec
	v_mov_b32_e32 v1, 0
	s_or_b64 s[2:3], s[2:3], s[14:15]
	s_or_b64 exec, exec, s[4:5]
	s_and_saveexec_b64 s[4:5], s[2:3]
	s_cbranch_execnz .LBB20_1429
	s_branch .LBB20_1430
.LBB20_1449:
	s_mov_b64 s[0:1], -1
                                        ; implicit-def: $vgpr1
.LBB20_1450:
	s_mov_b64 s[14:15], 0
.LBB20_1451:
	s_and_b64 vcc, exec, s[14:15]
	s_cbranch_vccz .LBB20_1453
; %bb.1452:
	s_cmp_lg_u32 s24, 11
	s_mov_b64 s[2:3], -1
	s_cselect_b64 s[0:1], -1, 0
.LBB20_1453:
	s_and_b64 vcc, exec, s[0:1]
	s_cbranch_vccnz .LBB20_1532
; %bb.1454:
	s_andn2_b64 vcc, exec, s[2:3]
	s_cbranch_vccnz .LBB20_1456
.LBB20_1455:
	global_load_ubyte v1, v[3:4], off
	s_mov_b64 s[4:5], -1
	s_waitcnt vmcnt(0)
	v_cmp_ne_u16_e32 vcc, 0, v1
	v_cndmask_b32_e64 v1, 0, 1.0, vcc
.LBB20_1456:
	s_branch .LBB20_1384
.LBB20_1457:
	s_cmp_lt_i32 s24, 5
	s_cbranch_scc1 .LBB20_1462
; %bb.1458:
	s_cmp_lt_i32 s24, 8
	s_cbranch_scc1 .LBB20_1463
; %bb.1459:
	;; [unrolled: 3-line block ×3, first 2 shown]
	s_cmp_gt_i32 s24, 9
	s_cbranch_scc0 .LBB20_1465
; %bb.1461:
	global_load_dwordx2 v[8:9], v[3:4], off
	s_mov_b64 s[0:1], 0
	s_waitcnt vmcnt(0)
	v_cvt_f32_f64_e32 v1, v[8:9]
	s_branch .LBB20_1466
.LBB20_1462:
	s_mov_b64 s[0:1], -1
                                        ; implicit-def: $vgpr1
	s_branch .LBB20_1484
.LBB20_1463:
	s_mov_b64 s[0:1], -1
                                        ; implicit-def: $vgpr1
	s_branch .LBB20_1472
.LBB20_1464:
	s_mov_b64 s[0:1], -1
                                        ; implicit-def: $vgpr1
	s_branch .LBB20_1469
.LBB20_1465:
	s_mov_b64 s[0:1], -1
                                        ; implicit-def: $vgpr1
.LBB20_1466:
	s_andn2_b64 vcc, exec, s[0:1]
	s_cbranch_vccnz .LBB20_1468
; %bb.1467:
	global_load_dword v1, v[3:4], off
.LBB20_1468:
	s_mov_b64 s[0:1], 0
.LBB20_1469:
	s_andn2_b64 vcc, exec, s[0:1]
	s_cbranch_vccnz .LBB20_1471
; %bb.1470:
	global_load_dword v1, v[3:4], off
	s_waitcnt vmcnt(0)
	v_cvt_f32_f16_e32 v1, v1
.LBB20_1471:
	s_mov_b64 s[0:1], 0
.LBB20_1472:
	s_andn2_b64 vcc, exec, s[0:1]
	s_cbranch_vccnz .LBB20_1483
; %bb.1473:
	s_cmp_lt_i32 s24, 6
	s_cbranch_scc1 .LBB20_1476
; %bb.1474:
	s_cmp_gt_i32 s24, 6
	s_cbranch_scc0 .LBB20_1477
; %bb.1475:
	global_load_dwordx2 v[8:9], v[3:4], off
	s_mov_b64 s[0:1], 0
	s_waitcnt vmcnt(0)
	v_cvt_f32_f64_e32 v1, v[8:9]
	s_branch .LBB20_1478
.LBB20_1476:
	s_mov_b64 s[0:1], -1
                                        ; implicit-def: $vgpr1
	s_branch .LBB20_1481
.LBB20_1477:
	s_mov_b64 s[0:1], -1
                                        ; implicit-def: $vgpr1
.LBB20_1478:
	s_andn2_b64 vcc, exec, s[0:1]
	s_cbranch_vccnz .LBB20_1480
; %bb.1479:
	global_load_dword v1, v[3:4], off
.LBB20_1480:
	s_mov_b64 s[0:1], 0
.LBB20_1481:
	s_andn2_b64 vcc, exec, s[0:1]
	s_cbranch_vccnz .LBB20_1483
; %bb.1482:
	global_load_ushort v1, v[3:4], off
	s_waitcnt vmcnt(0)
	v_cvt_f32_f16_e32 v1, v1
.LBB20_1483:
	s_mov_b64 s[0:1], 0
.LBB20_1484:
	s_andn2_b64 vcc, exec, s[0:1]
	s_cbranch_vccnz .LBB20_1504
; %bb.1485:
	s_cmp_lt_i32 s24, 2
	s_cbranch_scc1 .LBB20_1489
; %bb.1486:
	s_cmp_lt_i32 s24, 3
	s_cbranch_scc1 .LBB20_1490
; %bb.1487:
	s_cmp_gt_i32 s24, 3
	s_cbranch_scc0 .LBB20_1491
; %bb.1488:
	global_load_dwordx2 v[8:9], v[3:4], off
	s_mov_b64 s[0:1], 0
	s_waitcnt vmcnt(0)
	v_xor_b32_e32 v6, v8, v9
	v_ffbh_i32_e32 v1, v9
	v_ashrrev_i32_e32 v6, 31, v6
	v_add_u32_e32 v1, -1, v1
	v_add_u32_e32 v6, 32, v6
	v_min_u32_e32 v1, v1, v6
	v_lshlrev_b64 v[8:9], v1, v[8:9]
	v_sub_u32_e32 v1, 32, v1
	v_min_u32_e32 v6, 1, v8
	v_or_b32_e32 v6, v9, v6
	v_cvt_f32_i32_e32 v6, v6
	v_ldexp_f32 v1, v6, v1
	s_branch .LBB20_1492
.LBB20_1489:
	s_mov_b64 s[0:1], -1
                                        ; implicit-def: $vgpr1
	s_branch .LBB20_1498
.LBB20_1490:
	s_mov_b64 s[0:1], -1
                                        ; implicit-def: $vgpr1
	s_branch .LBB20_1495
.LBB20_1491:
	s_mov_b64 s[0:1], -1
                                        ; implicit-def: $vgpr1
.LBB20_1492:
	s_andn2_b64 vcc, exec, s[0:1]
	s_cbranch_vccnz .LBB20_1494
; %bb.1493:
	global_load_dword v1, v[3:4], off
	s_waitcnt vmcnt(0)
	v_cvt_f32_i32_e32 v1, v1
.LBB20_1494:
	s_mov_b64 s[0:1], 0
.LBB20_1495:
	s_andn2_b64 vcc, exec, s[0:1]
	s_cbranch_vccnz .LBB20_1497
; %bb.1496:
	global_load_sshort v1, v[3:4], off
	s_waitcnt vmcnt(0)
	v_cvt_f32_i32_e32 v1, v1
.LBB20_1497:
	s_mov_b64 s[0:1], 0
.LBB20_1498:
	s_andn2_b64 vcc, exec, s[0:1]
	s_cbranch_vccnz .LBB20_1504
; %bb.1499:
	s_cmp_gt_i32 s24, 0
	s_cbranch_scc0 .LBB20_1501
; %bb.1500:
	global_load_sbyte v1, v[3:4], off
	s_mov_b64 s[0:1], 0
	s_waitcnt vmcnt(0)
	v_cvt_f32_i32_e32 v1, v1
	s_branch .LBB20_1502
.LBB20_1501:
	s_mov_b64 s[0:1], -1
                                        ; implicit-def: $vgpr1
.LBB20_1502:
	s_andn2_b64 vcc, exec, s[0:1]
	s_cbranch_vccnz .LBB20_1504
; %bb.1503:
	global_load_ubyte v1, v[3:4], off
	s_waitcnt vmcnt(0)
	v_cvt_f32_ubyte0_e32 v1, v1
.LBB20_1504:
.LBB20_1505:
	s_waitcnt vmcnt(0)
	v_cmp_gt_f32_e32 vcc, 0, v1
	v_cndmask_b32_e64 v1, v1, -v1, vcc
	s_mov_b32 s0, 0x40a00000
	v_cmp_ge_f32_e32 vcc, s0, v1
	v_mul_f32_e32 v6, v1, v1
                                        ; implicit-def: $vgpr4
	s_and_saveexec_b64 s[0:1], vcc
	s_xor_b64 s[0:1], exec, s[0:1]
	s_cbranch_execz .LBB20_1511
; %bb.1506:
	s_mov_b32 s2, 0x3727c5ac
	v_cmp_ngt_f32_e32 vcc, s2, v1
                                        ; implicit-def: $vgpr4
	s_and_saveexec_b64 s[2:3], vcc
	s_xor_b64 s[2:3], exec, s[2:3]
	s_cbranch_execz .LBB20_1508
; %bb.1507:
	v_mov_b32_e32 v1, 0xcf8ee29d
	v_fmac_f32_e32 v1, 0, v6
	v_mov_b32_e32 v3, 0x53e3ba8e
	v_fmac_f32_e32 v3, v6, v1
	;; [unrolled: 2-line block ×12, first 2 shown]
	v_add_f32_e32 v1, 0xc0b90fdc, v6
	v_add_f32_e32 v6, 0xc1f3c525, v6
	v_mul_f32_e32 v1, v1, v6
	v_mul_f32_e32 v1, v1, v3
	v_div_scale_f32 v3, s[4:5], v4, v4, v1
	v_div_scale_f32 v6, vcc, v1, v4, v1
	v_rcp_f32_e32 v8, v3
	v_fma_f32 v9, -v3, v8, 1.0
	v_fmac_f32_e32 v8, v9, v8
	v_mul_f32_e32 v9, v6, v8
	v_fma_f32 v10, -v3, v9, v6
	v_fmac_f32_e32 v9, v10, v8
	v_fma_f32 v3, -v3, v9, v6
	v_div_fmas_f32 v3, v3, v8, v9
                                        ; implicit-def: $vgpr6
	v_div_fixup_f32 v4, v3, v4, v1
.LBB20_1508:
	s_andn2_saveexec_b64 s[2:3], s[2:3]
; %bb.1509:
	s_mov_b32 s4, 0xbe800000
	v_fma_f32 v4, v6, s4, 1.0
; %bb.1510:
	s_or_b64 exec, exec, s[2:3]
                                        ; implicit-def: $vgpr6
                                        ; implicit-def: $vgpr1
.LBB20_1511:
	s_andn2_saveexec_b64 s[14:15], s[0:1]
	s_cbranch_execz .LBB20_1521
; %bb.1512:
	v_add_f32_e32 v3, 0xbf490fdb, v1
	v_and_b32_e32 v4, 0x7fffffff, v3
	s_brev_b32 s0, 18
	v_cmp_nlt_f32_e64 s[20:21], |v3|, s0
	v_lshrrev_b32_e32 v12, 23, v4
                                        ; implicit-def: $vgpr8
                                        ; implicit-def: $vgpr9
	s_and_saveexec_b64 s[0:1], s[20:21]
	s_xor_b64 s[22:23], exec, s[0:1]
	s_cbranch_execz .LBB20_1514
; %bb.1513:
	v_and_b32_e32 v8, 0x7fffff, v4
	v_or_b32_e32 v11, 0x800000, v8
	s_mov_b32 s0, 0xfe5163ab
	v_mad_u64_u32 v[8:9], s[0:1], v11, s0, 0
	v_mov_b32_e32 v10, 0
	s_mov_b32 s0, 0x3c439041
	v_mad_u64_u32 v[13:14], s[0:1], v11, s0, v[9:10]
	s_mov_b32 s0, 0xdb629599
	v_add_u32_e32 v18, 0xffffff88, v12
	v_mov_b32_e32 v9, v14
	v_mad_u64_u32 v[14:15], s[0:1], v11, s0, v[9:10]
	s_mov_b32 s0, 0xf534ddc0
	v_not_b32_e32 v19, 63
	v_mov_b32_e32 v9, v15
	v_mad_u64_u32 v[15:16], s[0:1], v11, s0, v[9:10]
	s_mov_b32 s0, 0xfc2757d1
	v_cmp_lt_u32_e32 vcc, 63, v18
	v_mov_b32_e32 v9, v16
	v_mad_u64_u32 v[16:17], s[0:1], v11, s0, v[9:10]
	v_cndmask_b32_e32 v9, 0, v19, vcc
	v_add_u32_e32 v19, v9, v18
	v_mov_b32_e32 v9, v17
	s_mov_b32 s0, 0x4e441529
	v_mad_u64_u32 v[17:18], s[0:1], v11, s0, v[9:10]
	v_not_b32_e32 v20, 31
	v_cmp_lt_u32_e64 s[0:1], 31, v19
	v_cndmask_b32_e64 v9, 0, v20, s[0:1]
	v_add_u32_e32 v19, v9, v19
	v_mov_b32_e32 v9, v18
	s_mov_b32 s2, 0xa2f9836e
	v_mad_u64_u32 v[9:10], s[2:3], v11, s2, v[9:10]
	v_cmp_lt_u32_e64 s[2:3], 31, v19
	v_cndmask_b32_e64 v11, 0, v20, s[2:3]
	v_cndmask_b32_e32 v18, v17, v15, vcc
	v_cndmask_b32_e32 v9, v9, v16, vcc
	;; [unrolled: 1-line block ×3, first 2 shown]
	v_add_u32_e32 v11, v11, v19
	v_cndmask_b32_e64 v19, v9, v18, s[0:1]
	v_cndmask_b32_e64 v9, v10, v9, s[0:1]
	v_cndmask_b32_e32 v10, v16, v14, vcc
	v_cndmask_b32_e64 v16, v18, v10, s[0:1]
	v_cndmask_b32_e64 v9, v9, v19, s[2:3]
	;; [unrolled: 1-line block ×3, first 2 shown]
	v_sub_u32_e32 v18, 32, v11
	v_alignbit_b32 v19, v9, v17, v18
	v_cmp_eq_u32_e64 s[4:5], 0, v11
	v_cndmask_b32_e64 v11, v19, v9, s[4:5]
	v_cndmask_b32_e32 v9, v15, v13, vcc
	v_cndmask_b32_e64 v10, v10, v9, s[0:1]
	v_cndmask_b32_e64 v13, v16, v10, s[2:3]
	v_alignbit_b32 v15, v17, v13, v18
	v_cndmask_b32_e32 v8, v14, v8, vcc
	v_cndmask_b32_e64 v15, v15, v17, s[4:5]
	v_bfe_u32 v19, v11, 29, 1
	v_cndmask_b32_e64 v8, v9, v8, s[0:1]
	v_alignbit_b32 v16, v11, v15, 30
	v_sub_u32_e32 v20, 0, v19
	v_cndmask_b32_e64 v8, v10, v8, s[2:3]
	v_xor_b32_e32 v16, v16, v20
	v_alignbit_b32 v9, v13, v8, v18
	v_cndmask_b32_e64 v9, v9, v13, s[4:5]
	v_ffbh_u32_e32 v13, v16
	v_alignbit_b32 v10, v15, v9, 30
	v_min_u32_e32 v13, 32, v13
	v_alignbit_b32 v8, v9, v8, 30
	v_xor_b32_e32 v10, v10, v20
	v_sub_u32_e32 v14, 31, v13
	v_xor_b32_e32 v8, v8, v20
	v_alignbit_b32 v15, v16, v10, v14
	v_alignbit_b32 v8, v10, v8, v14
	;; [unrolled: 1-line block ×3, first 2 shown]
	v_ffbh_u32_e32 v10, v9
	v_min_u32_e32 v10, 32, v10
	v_lshrrev_b32_e32 v17, 29, v11
	v_not_b32_e32 v14, v10
	v_alignbit_b32 v8, v9, v8, v14
	v_lshlrev_b32_e32 v9, 31, v17
	v_or_b32_e32 v14, 0x33000000, v9
	v_add_lshl_u32 v10, v10, v13, 23
	v_lshrrev_b32_e32 v8, 9, v8
	v_sub_u32_e32 v10, v14, v10
	v_or_b32_e32 v9, 0.5, v9
	v_lshlrev_b32_e32 v13, 23, v13
	v_or_b32_e32 v8, v10, v8
	v_lshrrev_b32_e32 v10, 9, v15
	v_sub_u32_e32 v9, v9, v13
	v_or_b32_e32 v9, v10, v9
	s_mov_b32 s0, 0x3fc90fda
	v_mul_f32_e32 v10, 0x3fc90fda, v9
	v_fma_f32 v13, v9, s0, -v10
	v_fmac_f32_e32 v13, 0x33a22168, v9
	v_fmac_f32_e32 v13, 0x3fc90fda, v8
	v_lshrrev_b32_e32 v8, 30, v11
	v_add_f32_e32 v9, v10, v13
	v_add_u32_e32 v8, v19, v8
	s_andn2_saveexec_b64 s[0:1], s[22:23]
	s_cbranch_execz .LBB20_1516
	s_branch .LBB20_1515
.LBB20_1514:
	s_andn2_saveexec_b64 s[0:1], s[22:23]
	s_cbranch_execz .LBB20_1516
.LBB20_1515:
	s_mov_b32 s2, 0x3f22f983
	v_mul_f32_e64 v8, |v3|, s2
	v_rndne_f32_e32 v10, v8
	s_mov_b32 s2, 0xbfc90fda
	v_cvt_i32_f32_e32 v8, v10
	v_fma_f32 v9, v10, s2, |v3|
	v_fmac_f32_e32 v9, 0xb3a22168, v10
	v_fmac_f32_e32 v9, 0xa7c234c4, v10
.LBB20_1516:
	s_or_b64 exec, exec, s[0:1]
                                        ; implicit-def: $vgpr10
                                        ; implicit-def: $vgpr11
	s_and_saveexec_b64 s[0:1], s[20:21]
	s_xor_b64 s[20:21], exec, s[0:1]
	s_cbranch_execz .LBB20_1518
; %bb.1517:
	v_and_b32_e32 v10, 0x7fffff, v4
	v_or_b32_e32 v19, 0x800000, v10
	s_mov_b32 s0, 0xfe5163ab
	v_mad_u64_u32 v[10:11], s[0:1], v19, s0, 0
	v_mov_b32_e32 v14, 0
	s_mov_b32 s0, 0x3c439041
	v_mov_b32_e32 v13, v11
	v_mad_u64_u32 v[15:16], s[0:1], v19, s0, v[13:14]
	s_mov_b32 s0, 0xdb629599
	v_add_u32_e32 v20, 0xffffff88, v12
	v_mov_b32_e32 v13, v16
	v_mad_u64_u32 v[16:17], s[0:1], v19, s0, v[13:14]
	s_mov_b32 s0, 0xf534ddc0
	v_not_b32_e32 v21, 63
	v_mov_b32_e32 v13, v17
	v_mad_u64_u32 v[17:18], s[0:1], v19, s0, v[13:14]
	s_mov_b32 s0, 0xfc2757d1
	v_cmp_lt_u32_e32 vcc, 63, v20
	v_mov_b32_e32 v13, v18
	v_mad_u64_u32 v[11:12], s[0:1], v19, s0, v[13:14]
	v_cndmask_b32_e32 v13, 0, v21, vcc
	v_add_u32_e32 v18, v13, v20
	v_mov_b32_e32 v13, v12
	s_mov_b32 s0, 0x4e441529
	v_mad_u64_u32 v[12:13], s[0:1], v19, s0, v[13:14]
	v_not_b32_e32 v20, 31
	v_cmp_lt_u32_e64 s[0:1], 31, v18
	s_mov_b32 s2, 0xa2f9836e
	v_cndmask_b32_e64 v21, 0, v20, s[0:1]
	v_mad_u64_u32 v[13:14], s[2:3], v19, s2, v[13:14]
	v_add_u32_e32 v18, v21, v18
	v_cmp_lt_u32_e64 s[2:3], 31, v18
	v_cndmask_b32_e64 v19, 0, v20, s[2:3]
	v_add_u32_e32 v18, v19, v18
	v_cndmask_b32_e32 v19, v12, v17, vcc
	v_cndmask_b32_e32 v13, v13, v11, vcc
	;; [unrolled: 1-line block ×4, first 2 shown]
	v_cndmask_b32_e64 v20, v13, v19, s[0:1]
	v_cndmask_b32_e64 v12, v12, v13, s[0:1]
	;; [unrolled: 1-line block ×3, first 2 shown]
	v_cndmask_b32_e32 v15, v17, v15, vcc
	v_cndmask_b32_e64 v12, v12, v20, s[2:3]
	v_cndmask_b32_e64 v14, v20, v13, s[2:3]
	v_sub_u32_e32 v19, 32, v18
	v_cndmask_b32_e64 v11, v11, v15, s[0:1]
	v_alignbit_b32 v20, v12, v14, v19
	v_cmp_eq_u32_e64 s[4:5], 0, v18
	v_cndmask_b32_e64 v13, v13, v11, s[2:3]
	v_cndmask_b32_e32 v10, v16, v10, vcc
	v_cndmask_b32_e64 v12, v20, v12, s[4:5]
	v_alignbit_b32 v17, v14, v13, v19
	v_cndmask_b32_e64 v10, v15, v10, s[0:1]
	v_cndmask_b32_e64 v14, v17, v14, s[4:5]
	v_bfe_u32 v20, v12, 29, 1
	v_cndmask_b32_e64 v10, v11, v10, s[2:3]
	v_alignbit_b32 v17, v12, v14, 30
	v_sub_u32_e32 v21, 0, v20
	v_alignbit_b32 v11, v13, v10, v19
	v_xor_b32_e32 v17, v17, v21
	v_cndmask_b32_e64 v11, v11, v13, s[4:5]
	v_alignbit_b32 v13, v14, v11, 30
	v_ffbh_u32_e32 v14, v17
	v_min_u32_e32 v14, 32, v14
	v_alignbit_b32 v10, v11, v10, 30
	v_xor_b32_e32 v13, v13, v21
	v_sub_u32_e32 v15, 31, v14
	v_xor_b32_e32 v10, v10, v21
	v_alignbit_b32 v16, v17, v13, v15
	v_alignbit_b32 v10, v13, v10, v15
	;; [unrolled: 1-line block ×3, first 2 shown]
	v_ffbh_u32_e32 v13, v11
	v_min_u32_e32 v13, 32, v13
	v_lshrrev_b32_e32 v18, 29, v12
	v_not_b32_e32 v15, v13
	v_alignbit_b32 v10, v11, v10, v15
	v_lshlrev_b32_e32 v11, 31, v18
	v_or_b32_e32 v15, 0x33000000, v11
	v_add_lshl_u32 v13, v13, v14, 23
	v_lshrrev_b32_e32 v10, 9, v10
	v_sub_u32_e32 v13, v15, v13
	v_or_b32_e32 v11, 0.5, v11
	v_lshlrev_b32_e32 v14, 23, v14
	v_or_b32_e32 v10, v13, v10
	v_lshrrev_b32_e32 v13, 9, v16
	v_sub_u32_e32 v11, v11, v14
	v_or_b32_e32 v11, v13, v11
	s_mov_b32 s0, 0x3fc90fda
	v_mul_f32_e32 v13, 0x3fc90fda, v11
	v_fma_f32 v14, v11, s0, -v13
	v_fmac_f32_e32 v14, 0x33a22168, v11
	v_fmac_f32_e32 v14, 0x3fc90fda, v10
	v_lshrrev_b32_e32 v10, 30, v12
	v_add_f32_e32 v11, v13, v14
	v_add_u32_e32 v10, v20, v10
	s_andn2_saveexec_b64 s[0:1], s[20:21]
	s_cbranch_execnz .LBB20_1519
	s_branch .LBB20_1520
.LBB20_1518:
	s_andn2_saveexec_b64 s[0:1], s[20:21]
	s_cbranch_execz .LBB20_1520
.LBB20_1519:
	s_mov_b32 s2, 0x3f22f983
	v_mul_f32_e64 v10, |v3|, s2
	v_rndne_f32_e32 v12, v10
	s_mov_b32 s2, 0xbfc90fda
	v_cvt_i32_f32_e32 v10, v12
	v_fma_f32 v11, v12, s2, |v3|
	v_fmac_f32_e32 v11, 0xb3a22168, v12
	v_fmac_f32_e32 v11, 0xa7c234c4, v12
.LBB20_1520:
	s_or_b64 exec, exec, s[0:1]
	s_mov_b32 s2, 0x41c80000
	v_div_scale_f32 v12, s[0:1], v6, v6, s2
	v_div_scale_f32 v13, vcc, s2, v6, s2
	v_mov_b32_e32 v19, 0x3a725406
	v_mov_b32_e32 v20, 0x3daf5e2d
	;; [unrolled: 1-line block ×9, first 2 shown]
	v_rcp_f32_e32 v14, v12
	v_fma_f32 v15, -v12, v14, 1.0
	v_fmac_f32_e32 v14, v15, v14
	v_mul_f32_e32 v15, v13, v14
	v_fma_f32 v16, -v12, v15, v13
	v_fmac_f32_e32 v15, v16, v14
	v_fma_f32 v12, -v12, v15, v13
	v_div_fmas_f32 v12, v12, v14, v15
	v_mov_b32_e32 v13, 0x3a50e985
	v_mov_b32_e32 v14, 0x3da9a586
	;; [unrolled: 1-line block ×4, first 2 shown]
	v_div_fixup_f32 v6, v12, v6, s2
	v_fmac_f32_e32 v13, 0, v6
	v_fmac_f32_e32 v19, 0, v6
	;; [unrolled: 1-line block ×12, first 2 shown]
	v_fma_f32 v12, v6, v24, 1.0
	v_fma_f32 v14, v6, v18, 1.0
	v_div_scale_f32 v15, s[0:1], v12, v12, v14
	v_div_scale_f32 v16, vcc, v14, v12, v14
	v_mov_b32_e32 v17, 0xbc3a3a12
	v_mov_b32_e32 v18, 0xbfa429da
	v_fmac_f32_e32 v17, 0, v6
	v_mov_b32_e32 v19, 0xc19c6e80
	v_fmac_f32_e32 v18, v6, v17
	v_mov_b32_e32 v20, 0xc2ba697b
	s_mov_b32 s2, 0xc0a00000
	v_fmac_f32_e32 v19, v6, v18
	v_fmac_f32_e32 v20, v6, v19
	v_div_scale_f32 v19, s[0:1], v1, v1, s2
	v_fmac_f32_e32 v25, 0, v6
	v_rcp_f32_e32 v23, v15
	v_mov_b32_e32 v21, 0xc331ae61
	v_mov_b32_e32 v22, 0xc31313d7
	v_fmac_f32_e32 v21, v6, v20
	v_fma_f32 v26, -v15, v23, 1.0
	v_fmac_f32_e32 v23, v26, v23
	v_mul_f32_e32 v26, v16, v23
	v_fma_f32 v27, -v15, v26, v16
	v_fmac_f32_e32 v26, v27, v23
	v_fma_f32 v15, -v15, v26, v16
	v_div_fmas_f32 v15, v15, v23, v26
	v_mov_b32_e32 v27, 0x44561b86
	v_mov_b32_e32 v16, 0x4572a66e
	v_fmac_f32_e32 v27, v6, v25
	v_mov_b32_e32 v23, 0x45e243be
	v_fmac_f32_e32 v16, v6, v27
	;; [unrolled: 2-line block ×3, first 2 shown]
	v_mov_b32_e32 v24, 0xc24da463
	v_mov_b32_e32 v17, 0x4500e17e
	v_div_scale_f32 v16, vcc, s2, v1, s2
	v_fmac_f32_e32 v26, v6, v23
	v_fmac_f32_e32 v22, v6, v21
	v_mov_b32_e32 v13, 0xc0c19ac7
	v_mov_b32_e32 v25, 0x43720178
	v_fmac_f32_e32 v17, v6, v26
	v_fmac_f32_e32 v24, v6, v22
	;; [unrolled: 1-line block ×4, first 2 shown]
	v_div_scale_f32 v6, s[0:1], v25, v25, v13
	v_div_scale_f32 v20, s[0:1], v13, v25, v13
	v_mul_f32_e32 v18, v9, v9
	v_div_fixup_f32 v12, v15, v12, v14
	v_mov_b32_e32 v14, 0x3c0881c4
	v_rcp_f32_e32 v17, v19
	v_fmac_f32_e32 v14, 0xb94c1982, v18
	v_mov_b32_e32 v15, 0xbe2aaa9d
	v_fma_f32 v14, v18, v14, v15
	v_mul_f32_e32 v14, v18, v14
	v_fmac_f32_e32 v9, v9, v14
	v_fma_f32 v14, -v19, v17, 1.0
	v_fmac_f32_e32 v17, v14, v17
	v_mul_f32_e32 v14, v16, v17
	v_fma_f32 v21, -v19, v14, v16
	v_fmac_f32_e32 v14, v21, v17
	v_fma_f32 v16, -v19, v14, v16
	v_rcp_f32_e32 v19, v6
	v_div_fmas_f32 v14, v16, v17, v14
	s_mov_b64 vcc, s[0:1]
	v_mov_b32_e32 v27, 0x3c0881c4
	v_fma_f32 v16, -v6, v19, 1.0
	v_fmac_f32_e32 v19, v16, v19
	v_mul_f32_e32 v16, v20, v19
	v_fma_f32 v17, -v6, v16, v20
	v_fmac_f32_e32 v16, v17, v19
	v_fma_f32 v6, -v6, v16, v20
	v_div_fmas_f32 v6, v6, v19, v16
	v_mov_b32_e32 v17, 0xbab64f3b
	v_fmac_f32_e32 v17, 0x37d75334, v18
	v_mov_b32_e32 v20, 0x3d2aabf7
	v_mov_b32_e32 v21, 0xbab64f3b
	v_fma_f32 v16, v18, v17, v20
	v_mov_b32_e32 v17, 0xbf000004
	v_fma_f32 v16, v18, v16, v17
	v_div_fixup_f32 v14, v14, v1, s2
	v_fma_f32 v16, v18, v16, 1.0
	v_and_b32_e32 v18, 1, v8
	v_cmp_eq_u32_e32 vcc, 0, v18
	s_movk_i32 s0, 0x1f8
	v_cndmask_b32_e64 v9, -v9, v16, vcc
	v_lshlrev_b32_e32 v8, 30, v8
	v_cmp_class_f32_e64 vcc, v3, s0
	v_div_fixup_f32 v6, v6, v25, v13
	v_mul_f32_e32 v13, v11, v11
	v_fmac_f32_e32 v27, 0xb94c1982, v13
	v_fmac_f32_e32 v15, v13, v27
	;; [unrolled: 1-line block ×3, first 2 shown]
	v_mul_f32_e32 v6, v14, v6
	v_mul_f32_e32 v14, v13, v15
	v_fmac_f32_e32 v20, v13, v21
	v_fmac_f32_e32 v11, v11, v14
	;; [unrolled: 1-line block ×3, first 2 shown]
	v_and_b32_e32 v14, 1, v10
	v_lshlrev_b32_e32 v10, 30, v10
	v_fma_f32 v13, v13, v17, 1.0
	v_cmp_eq_u32_e64 s[0:1], 0, v14
	v_and_b32_e32 v10, 0x80000000, v10
	v_xor_b32_e32 v3, v4, v3
	v_and_b32_e32 v8, 0x80000000, v8
	v_cndmask_b32_e64 v11, v13, v11, s[0:1]
	v_xor_b32_e32 v3, v3, v10
	v_xor_b32_e32 v8, v8, v9
	v_mov_b32_e32 v9, 0x7fc00000
	v_xor_b32_e32 v3, v3, v11
	s_mov_b32 s0, 0xf800000
	v_cndmask_b32_e32 v8, v9, v8, vcc
	v_cndmask_b32_e32 v3, v9, v3, vcc
	v_mul_f32_e32 v4, 0x4f800000, v1
	v_cmp_gt_f32_e32 vcc, s0, v1
	v_cndmask_b32_e32 v1, v1, v4, vcc
	v_sqrt_f32_e32 v4, v1
	v_mul_f32_e32 v3, v6, v3
	v_fmac_f32_e32 v3, v12, v8
	v_mul_f32_e32 v3, 0x3f4c422a, v3
	v_add_u32_e32 v6, -1, v4
	v_fma_f32 v8, -v6, v4, v1
	v_cmp_ge_f32_e64 s[0:1], 0, v8
	v_add_u32_e32 v8, 1, v4
	v_cndmask_b32_e64 v6, v4, v6, s[0:1]
	v_fma_f32 v4, -v8, v4, v1
	v_cmp_lt_f32_e64 s[0:1], 0, v4
	v_cndmask_b32_e64 v4, v6, v8, s[0:1]
	v_mul_f32_e32 v6, 0x37800000, v4
	v_cndmask_b32_e32 v4, v4, v6, vcc
	v_mov_b32_e32 v6, 0x260
	v_cmp_class_f32_e32 vcc, v1, v6
	v_cndmask_b32_e32 v1, v4, v1, vcc
	v_div_scale_f32 v4, s[0:1], v1, v1, v3
	v_div_scale_f32 v6, vcc, v3, v1, v3
	v_rcp_f32_e32 v8, v4
	v_fma_f32 v9, -v4, v8, 1.0
	v_fmac_f32_e32 v8, v9, v8
	v_mul_f32_e32 v9, v6, v8
	v_fma_f32 v10, -v4, v9, v6
	v_fmac_f32_e32 v9, v10, v8
	v_fma_f32 v4, -v4, v9, v6
	v_div_fmas_f32 v4, v4, v8, v9
	v_div_fixup_f32 v4, v4, v1, v3
.LBB20_1521:
	s_or_b64 exec, exec, s[14:15]
	v_mul_lo_u32 v1, s13, v5
	v_mov_b32_e32 v3, s11
	s_cmp_lt_i32 s24, 11
	v_ashrrev_i32_e32 v6, 31, v1
	v_add_co_u32_e32 v5, vcc, s10, v1
	v_addc_co_u32_e32 v6, vcc, v3, v6, vcc
	s_cbranch_scc1 .LBB20_1528
; %bb.1522:
	s_cmp_gt_i32 s24, 25
	s_mov_b64 s[2:3], 0
	s_cbranch_scc0 .LBB20_1529
; %bb.1523:
	s_cmp_gt_i32 s24, 28
	s_cbranch_scc0 .LBB20_1530
; %bb.1524:
	s_cmp_gt_i32 s24, 43
	s_cbranch_scc0 .LBB20_1531
; %bb.1525:
	s_cmp_gt_i32 s24, 45
	s_cbranch_scc0 .LBB20_1533
; %bb.1526:
	s_cmp_eq_u32 s24, 46
	s_mov_b64 s[10:11], 0
	s_cbranch_scc0 .LBB20_1534
; %bb.1527:
	global_load_dword v1, v[5:6], off
	s_mov_b64 s[0:1], 0
	s_mov_b64 s[4:5], -1
	s_waitcnt vmcnt(0)
	v_lshlrev_b32_e32 v1, 16, v1
	s_branch .LBB20_1535
.LBB20_1528:
	s_mov_b64 s[0:1], -1
	s_mov_b64 s[4:5], 0
                                        ; implicit-def: $vgpr1
	s_branch .LBB20_1601
.LBB20_1529:
	s_mov_b64 s[10:11], -1
	s_mov_b64 s[4:5], 0
	s_mov_b64 s[0:1], 0
                                        ; implicit-def: $vgpr1
	s_branch .LBB20_1564
.LBB20_1530:
	s_mov_b64 s[10:11], -1
	s_mov_b64 s[4:5], 0
	s_mov_b64 s[0:1], 0
                                        ; implicit-def: $vgpr1
	s_branch .LBB20_1545
.LBB20_1531:
	s_mov_b64 s[10:11], -1
	s_mov_b64 s[4:5], 0
	s_mov_b64 s[0:1], 0
                                        ; implicit-def: $vgpr1
	s_branch .LBB20_1540
.LBB20_1532:
	s_trap 2
	s_or_b64 s[18:19], s[18:19], exec
	s_cbranch_execz .LBB20_1455
	s_branch .LBB20_1456
.LBB20_1533:
	s_mov_b64 s[10:11], -1
	s_mov_b64 s[4:5], 0
	s_mov_b64 s[0:1], 0
                                        ; implicit-def: $vgpr1
	s_branch .LBB20_1535
.LBB20_1534:
	s_mov_b64 s[0:1], -1
                                        ; implicit-def: $vgpr1
	s_mov_b64 s[4:5], 0
.LBB20_1535:
	s_and_b64 vcc, exec, s[10:11]
	s_cbranch_vccz .LBB20_1539
; %bb.1536:
	s_cmp_eq_u32 s24, 44
	s_cbranch_scc0 .LBB20_1538
; %bb.1537:
	global_load_ubyte v1, v[5:6], off
	s_movk_i32 s4, 0xff
	v_mov_b32_e32 v3, 0x7f800001
	v_mov_b32_e32 v8, 0x400000
	s_mov_b64 s[0:1], 0
	s_waitcnt vmcnt(0)
	v_lshlrev_b32_e32 v9, 23, v1
	v_cmp_ne_u32_e32 vcc, s4, v1
	v_cndmask_b32_e32 v3, v3, v9, vcc
	v_cmp_ne_u32_e32 vcc, 0, v1
	v_cndmask_b32_e32 v1, v8, v3, vcc
	s_mov_b64 s[4:5], -1
	s_branch .LBB20_1539
.LBB20_1538:
	s_mov_b64 s[0:1], -1
                                        ; implicit-def: $vgpr1
.LBB20_1539:
	s_mov_b64 s[10:11], 0
.LBB20_1540:
	s_and_b64 vcc, exec, s[10:11]
	s_cbranch_vccz .LBB20_1544
; %bb.1541:
	s_cmp_eq_u32 s24, 29
	s_cbranch_scc0 .LBB20_1543
; %bb.1542:
	global_load_dwordx2 v[8:9], v[5:6], off
	s_mov_b64 s[0:1], 0
	s_mov_b64 s[4:5], -1
	s_mov_b64 s[10:11], 0
	s_waitcnt vmcnt(0)
	v_ffbh_u32_e32 v1, v9
	v_min_u32_e32 v1, 32, v1
	v_lshlrev_b64 v[8:9], v1, v[8:9]
	v_sub_u32_e32 v1, 32, v1
	v_min_u32_e32 v3, 1, v8
	v_or_b32_e32 v3, v9, v3
	v_cvt_f32_u32_e32 v3, v3
	v_ldexp_f32 v1, v3, v1
	s_branch .LBB20_1545
.LBB20_1543:
	s_mov_b64 s[0:1], -1
                                        ; implicit-def: $vgpr1
.LBB20_1544:
	s_mov_b64 s[10:11], 0
.LBB20_1545:
	s_and_b64 vcc, exec, s[10:11]
	s_cbranch_vccz .LBB20_1563
; %bb.1546:
	s_cmp_lt_i32 s24, 27
	s_cbranch_scc1 .LBB20_1549
; %bb.1547:
	s_cmp_gt_i32 s24, 27
	s_cbranch_scc0 .LBB20_1550
; %bb.1548:
	global_load_dword v1, v[5:6], off
	s_mov_b64 s[4:5], 0
	s_waitcnt vmcnt(0)
	v_cvt_f32_u32_e32 v1, v1
	s_branch .LBB20_1551
.LBB20_1549:
	s_mov_b64 s[4:5], -1
                                        ; implicit-def: $vgpr1
	s_branch .LBB20_1554
.LBB20_1550:
	s_mov_b64 s[4:5], -1
                                        ; implicit-def: $vgpr1
.LBB20_1551:
	s_andn2_b64 vcc, exec, s[4:5]
	s_cbranch_vccnz .LBB20_1553
; %bb.1552:
	global_load_ushort v1, v[5:6], off
	s_waitcnt vmcnt(0)
	v_cvt_f32_u32_e32 v1, v1
.LBB20_1553:
	s_mov_b64 s[4:5], 0
.LBB20_1554:
	s_andn2_b64 vcc, exec, s[4:5]
	s_cbranch_vccnz .LBB20_1562
; %bb.1555:
	global_load_ubyte v3, v[5:6], off
	s_movk_i32 s4, 0x7f
	s_waitcnt vmcnt(0)
	v_cmp_lt_i16_e32 vcc, s4, v3
	s_mov_b64 s[4:5], 0
	s_and_saveexec_b64 s[10:11], vcc
	s_xor_b64 s[10:11], exec, s[10:11]
	s_cbranch_execz .LBB20_1576
; %bb.1556:
	s_movk_i32 s4, 0x80
	v_cmp_eq_u16_e32 vcc, s4, v3
	s_mov_b64 s[4:5], -1
	s_and_saveexec_b64 s[14:15], vcc
; %bb.1557:
	s_xor_b64 s[4:5], exec, -1
; %bb.1558:
	s_or_b64 exec, exec, s[14:15]
	s_and_b64 s[4:5], s[4:5], exec
	s_or_saveexec_b64 s[10:11], s[10:11]
	v_mov_b32_e32 v1, 0x7f800001
	s_xor_b64 exec, exec, s[10:11]
	s_cbranch_execnz .LBB20_1577
.LBB20_1559:
	s_or_b64 exec, exec, s[10:11]
	s_and_saveexec_b64 s[10:11], s[4:5]
	s_cbranch_execz .LBB20_1561
.LBB20_1560:
	v_lshlrev_b32_e32 v1, 24, v3
	v_and_b32_e32 v3, 0xffff, v3
	v_and_b32_e32 v8, 7, v3
	v_ffbh_u32_e32 v10, v8
	v_min_u32_e32 v10, 32, v10
	v_subrev_u32_e32 v11, 28, v10
	v_bfe_u32 v9, v3, 3, 4
	v_lshlrev_b32_e32 v3, v11, v3
	v_sub_u32_e32 v10, 29, v10
	v_and_b32_e32 v3, 7, v3
	v_cmp_eq_u32_e32 vcc, 0, v9
	v_cndmask_b32_e32 v9, v9, v10, vcc
	v_cndmask_b32_e32 v3, v8, v3, vcc
	v_mov_b32_e32 v8, 0x3b800000
	v_lshlrev_b32_e32 v3, 20, v3
	v_and_b32_e32 v1, 0x80000000, v1
	v_lshl_add_u32 v8, v9, 23, v8
	v_or3_b32 v1, v1, v8, v3
.LBB20_1561:
	s_or_b64 exec, exec, s[10:11]
.LBB20_1562:
	s_mov_b64 s[4:5], -1
.LBB20_1563:
	s_mov_b64 s[10:11], 0
.LBB20_1564:
	s_and_b64 vcc, exec, s[10:11]
	s_cbranch_vccz .LBB20_1597
; %bb.1565:
	s_cmp_gt_i32 s24, 22
	s_cbranch_scc0 .LBB20_1575
; %bb.1566:
	s_cmp_lt_i32 s24, 24
	s_cbranch_scc1 .LBB20_1578
; %bb.1567:
	s_cmp_gt_i32 s24, 24
	s_cbranch_scc0 .LBB20_1579
; %bb.1568:
	global_load_ubyte v3, v[5:6], off
	s_movk_i32 s2, 0x7f
	s_waitcnt vmcnt(0)
	v_cmp_lt_i16_e32 vcc, s2, v3
	s_mov_b64 s[2:3], 0
	s_and_saveexec_b64 s[4:5], vcc
	s_xor_b64 s[4:5], exec, s[4:5]
	s_cbranch_execz .LBB20_1591
; %bb.1569:
	s_movk_i32 s2, 0x80
	v_cmp_eq_u16_e32 vcc, s2, v3
	s_mov_b64 s[2:3], -1
	s_and_saveexec_b64 s[10:11], vcc
; %bb.1570:
	s_xor_b64 s[2:3], exec, -1
; %bb.1571:
	s_or_b64 exec, exec, s[10:11]
	s_and_b64 s[2:3], s[2:3], exec
	s_or_saveexec_b64 s[4:5], s[4:5]
	v_mov_b32_e32 v1, 0x7f800001
	s_xor_b64 exec, exec, s[4:5]
	s_cbranch_execnz .LBB20_1592
.LBB20_1572:
	s_or_b64 exec, exec, s[4:5]
	s_and_saveexec_b64 s[4:5], s[2:3]
	s_cbranch_execz .LBB20_1574
.LBB20_1573:
	v_lshlrev_b32_e32 v1, 24, v3
	v_and_b32_e32 v3, 0xffff, v3
	v_and_b32_e32 v8, 3, v3
	v_ffbh_u32_e32 v10, v8
	v_min_u32_e32 v10, 32, v10
	v_subrev_u32_e32 v11, 29, v10
	v_bfe_u32 v9, v3, 2, 5
	v_lshlrev_b32_e32 v3, v11, v3
	v_sub_u32_e32 v10, 30, v10
	v_and_b32_e32 v3, 3, v3
	v_cmp_eq_u32_e32 vcc, 0, v9
	v_cndmask_b32_e32 v9, v9, v10, vcc
	v_cndmask_b32_e32 v3, v8, v3, vcc
	v_mov_b32_e32 v8, 0x37800000
	v_lshlrev_b32_e32 v3, 21, v3
	v_and_b32_e32 v1, 0x80000000, v1
	v_lshl_add_u32 v8, v9, 23, v8
	v_or3_b32 v1, v1, v8, v3
.LBB20_1574:
	s_or_b64 exec, exec, s[4:5]
	s_mov_b64 s[2:3], 0
	s_branch .LBB20_1580
.LBB20_1575:
	s_mov_b64 s[2:3], -1
                                        ; implicit-def: $vgpr1
	s_branch .LBB20_1586
.LBB20_1576:
	s_or_saveexec_b64 s[10:11], s[10:11]
	v_mov_b32_e32 v1, 0x7f800001
	s_xor_b64 exec, exec, s[10:11]
	s_cbranch_execz .LBB20_1559
.LBB20_1577:
	v_cmp_ne_u16_e32 vcc, 0, v3
	s_andn2_b64 s[4:5], s[4:5], exec
	s_and_b64 s[14:15], vcc, exec
	v_mov_b32_e32 v1, 0
	s_or_b64 s[4:5], s[4:5], s[14:15]
	s_or_b64 exec, exec, s[10:11]
	s_and_saveexec_b64 s[10:11], s[4:5]
	s_cbranch_execnz .LBB20_1560
	s_branch .LBB20_1561
.LBB20_1578:
	s_mov_b64 s[2:3], -1
                                        ; implicit-def: $vgpr1
	s_branch .LBB20_1583
.LBB20_1579:
	s_mov_b64 s[2:3], -1
                                        ; implicit-def: $vgpr1
.LBB20_1580:
	s_and_b64 vcc, exec, s[2:3]
	s_cbranch_vccz .LBB20_1582
; %bb.1581:
	global_load_ubyte v1, v[5:6], off
	s_mov_b32 s2, 0x7f800000
	s_waitcnt vmcnt(0)
	v_lshlrev_b32_e32 v1, 24, v1
	v_and_b32_e32 v3, 0x7f000000, v1
	v_ffbh_u32_e32 v8, v3
	v_min_u32_e32 v8, 32, v8
	v_sub_u32_e64 v8, v8, 4 clamp
	v_lshlrev_b32_e32 v10, v8, v3
	v_lshlrev_b32_e32 v8, 23, v8
	v_lshrrev_b32_e32 v10, 4, v10
	v_add_u32_e32 v9, 0x1000000, v3
	v_sub_u32_e32 v8, v10, v8
	v_ashrrev_i32_e32 v9, 8, v9
	v_add_u32_e32 v8, 0x3c000000, v8
	v_and_or_b32 v8, v9, s2, v8
	v_cmp_ne_u32_e32 vcc, 0, v3
	v_cndmask_b32_e32 v3, 0, v8, vcc
	s_brev_b32 s2, 1
	v_and_or_b32 v1, v1, s2, v3
.LBB20_1582:
	s_mov_b64 s[2:3], 0
.LBB20_1583:
	s_andn2_b64 vcc, exec, s[2:3]
	s_cbranch_vccnz .LBB20_1585
; %bb.1584:
	global_load_ubyte v1, v[5:6], off
	s_movk_i32 s2, 0x7f00
	s_brev_b32 s3, 16
	s_waitcnt vmcnt(0)
	v_lshlrev_b16_e32 v3, 8, v1
	v_lshlrev_b32_e32 v1, 25, v1
	v_lshrrev_b32_e32 v8, 4, v1
	v_and_or_b32 v9, v3, s2, 0.5
	v_or_b32_e32 v8, 0x70000000, v8
	v_add_f32_e32 v9, -0.5, v9
	v_mul_f32_e32 v8, 0x7800000, v8
	v_cmp_gt_u32_e32 vcc, s3, v1
	v_bfe_i32 v3, v3, 0, 16
	v_cndmask_b32_e32 v1, v8, v9, vcc
	s_brev_b32 s2, 1
	v_and_or_b32 v1, v3, s2, v1
.LBB20_1585:
	s_mov_b64 s[2:3], 0
	s_mov_b64 s[4:5], -1
.LBB20_1586:
	s_andn2_b64 vcc, exec, s[2:3]
	s_mov_b64 s[2:3], 0
	s_cbranch_vccnz .LBB20_1597
; %bb.1587:
	s_cmp_gt_i32 s24, 14
	s_cbranch_scc0 .LBB20_1590
; %bb.1588:
	s_cmp_eq_u32 s24, 15
	s_cbranch_scc0 .LBB20_1593
; %bb.1589:
	global_load_ushort v1, v[5:6], off
	s_mov_b64 s[0:1], 0
	s_mov_b64 s[4:5], -1
	s_waitcnt vmcnt(0)
	v_lshlrev_b32_e32 v1, 16, v1
	s_branch .LBB20_1594
.LBB20_1590:
	s_mov_b64 s[10:11], -1
                                        ; implicit-def: $vgpr1
	s_branch .LBB20_1595
.LBB20_1591:
	s_or_saveexec_b64 s[4:5], s[4:5]
	v_mov_b32_e32 v1, 0x7f800001
	s_xor_b64 exec, exec, s[4:5]
	s_cbranch_execz .LBB20_1572
.LBB20_1592:
	v_cmp_ne_u16_e32 vcc, 0, v3
	s_andn2_b64 s[2:3], s[2:3], exec
	s_and_b64 s[10:11], vcc, exec
	v_mov_b32_e32 v1, 0
	s_or_b64 s[2:3], s[2:3], s[10:11]
	s_or_b64 exec, exec, s[4:5]
	s_and_saveexec_b64 s[4:5], s[2:3]
	s_cbranch_execnz .LBB20_1573
	s_branch .LBB20_1574
.LBB20_1593:
	s_mov_b64 s[0:1], -1
                                        ; implicit-def: $vgpr1
.LBB20_1594:
	s_mov_b64 s[10:11], 0
.LBB20_1595:
	s_and_b64 vcc, exec, s[10:11]
	s_cbranch_vccz .LBB20_1597
; %bb.1596:
	s_cmp_lg_u32 s24, 11
	s_mov_b64 s[2:3], -1
	s_cselect_b64 s[0:1], -1, 0
.LBB20_1597:
	s_and_b64 vcc, exec, s[0:1]
	s_cbranch_vccnz .LBB20_2148
; %bb.1598:
	s_andn2_b64 vcc, exec, s[2:3]
	s_cbranch_vccnz .LBB20_1600
.LBB20_1599:
	global_load_ubyte v1, v[5:6], off
	s_mov_b64 s[4:5], -1
	s_waitcnt vmcnt(0)
	v_cmp_ne_u16_e32 vcc, 0, v1
	v_cndmask_b32_e64 v1, 0, 1.0, vcc
.LBB20_1600:
	s_mov_b64 s[0:1], 0
.LBB20_1601:
	s_and_b64 vcc, exec, s[0:1]
	s_cbranch_vccz .LBB20_1650
; %bb.1602:
	s_cmp_lt_i32 s24, 5
	s_cbranch_scc1 .LBB20_1607
; %bb.1603:
	s_cmp_lt_i32 s24, 8
	s_cbranch_scc1 .LBB20_1608
	;; [unrolled: 3-line block ×3, first 2 shown]
; %bb.1605:
	s_cmp_gt_i32 s24, 9
	s_cbranch_scc0 .LBB20_1610
; %bb.1606:
	global_load_dwordx2 v[8:9], v[5:6], off
	s_mov_b64 s[0:1], 0
	s_waitcnt vmcnt(0)
	v_cvt_f32_f64_e32 v1, v[8:9]
	s_branch .LBB20_1611
.LBB20_1607:
	s_mov_b64 s[0:1], -1
                                        ; implicit-def: $vgpr1
	s_branch .LBB20_1629
.LBB20_1608:
	s_mov_b64 s[0:1], -1
                                        ; implicit-def: $vgpr1
	s_branch .LBB20_1617
.LBB20_1609:
	s_mov_b64 s[0:1], -1
                                        ; implicit-def: $vgpr1
	s_branch .LBB20_1614
.LBB20_1610:
	s_mov_b64 s[0:1], -1
                                        ; implicit-def: $vgpr1
.LBB20_1611:
	s_andn2_b64 vcc, exec, s[0:1]
	s_cbranch_vccnz .LBB20_1613
; %bb.1612:
	global_load_dword v1, v[5:6], off
.LBB20_1613:
	s_mov_b64 s[0:1], 0
.LBB20_1614:
	s_andn2_b64 vcc, exec, s[0:1]
	s_cbranch_vccnz .LBB20_1616
; %bb.1615:
	global_load_dword v1, v[5:6], off
	s_waitcnt vmcnt(0)
	v_cvt_f32_f16_e32 v1, v1
.LBB20_1616:
	s_mov_b64 s[0:1], 0
.LBB20_1617:
	s_andn2_b64 vcc, exec, s[0:1]
	s_cbranch_vccnz .LBB20_1628
; %bb.1618:
	s_cmp_lt_i32 s24, 6
	s_cbranch_scc1 .LBB20_1621
; %bb.1619:
	s_cmp_gt_i32 s24, 6
	s_cbranch_scc0 .LBB20_1622
; %bb.1620:
	global_load_dwordx2 v[8:9], v[5:6], off
	s_mov_b64 s[0:1], 0
	s_waitcnt vmcnt(0)
	v_cvt_f32_f64_e32 v1, v[8:9]
	s_branch .LBB20_1623
.LBB20_1621:
	s_mov_b64 s[0:1], -1
                                        ; implicit-def: $vgpr1
	s_branch .LBB20_1626
.LBB20_1622:
	s_mov_b64 s[0:1], -1
                                        ; implicit-def: $vgpr1
.LBB20_1623:
	s_andn2_b64 vcc, exec, s[0:1]
	s_cbranch_vccnz .LBB20_1625
; %bb.1624:
	global_load_dword v1, v[5:6], off
.LBB20_1625:
	s_mov_b64 s[0:1], 0
.LBB20_1626:
	s_andn2_b64 vcc, exec, s[0:1]
	s_cbranch_vccnz .LBB20_1628
; %bb.1627:
	global_load_ushort v1, v[5:6], off
	s_waitcnt vmcnt(0)
	v_cvt_f32_f16_e32 v1, v1
.LBB20_1628:
	s_mov_b64 s[0:1], 0
.LBB20_1629:
	s_andn2_b64 vcc, exec, s[0:1]
	s_cbranch_vccnz .LBB20_1649
; %bb.1630:
	s_cmp_lt_i32 s24, 2
	s_cbranch_scc1 .LBB20_1634
; %bb.1631:
	s_cmp_lt_i32 s24, 3
	s_cbranch_scc1 .LBB20_1635
; %bb.1632:
	s_cmp_gt_i32 s24, 3
	s_cbranch_scc0 .LBB20_1636
; %bb.1633:
	global_load_dwordx2 v[8:9], v[5:6], off
	s_mov_b64 s[0:1], 0
	s_waitcnt vmcnt(0)
	v_xor_b32_e32 v3, v8, v9
	v_ffbh_i32_e32 v1, v9
	v_ashrrev_i32_e32 v3, 31, v3
	v_add_u32_e32 v1, -1, v1
	v_add_u32_e32 v3, 32, v3
	v_min_u32_e32 v1, v1, v3
	v_lshlrev_b64 v[8:9], v1, v[8:9]
	v_sub_u32_e32 v1, 32, v1
	v_min_u32_e32 v3, 1, v8
	v_or_b32_e32 v3, v9, v3
	v_cvt_f32_i32_e32 v3, v3
	v_ldexp_f32 v1, v3, v1
	s_branch .LBB20_1637
.LBB20_1634:
	s_mov_b64 s[0:1], -1
                                        ; implicit-def: $vgpr1
	s_branch .LBB20_1643
.LBB20_1635:
	s_mov_b64 s[0:1], -1
                                        ; implicit-def: $vgpr1
	s_branch .LBB20_1640
.LBB20_1636:
	s_mov_b64 s[0:1], -1
                                        ; implicit-def: $vgpr1
.LBB20_1637:
	s_andn2_b64 vcc, exec, s[0:1]
	s_cbranch_vccnz .LBB20_1639
; %bb.1638:
	global_load_dword v1, v[5:6], off
	s_waitcnt vmcnt(0)
	v_cvt_f32_i32_e32 v1, v1
.LBB20_1639:
	s_mov_b64 s[0:1], 0
.LBB20_1640:
	s_andn2_b64 vcc, exec, s[0:1]
	s_cbranch_vccnz .LBB20_1642
; %bb.1641:
	global_load_sshort v1, v[5:6], off
	s_waitcnt vmcnt(0)
	v_cvt_f32_i32_e32 v1, v1
.LBB20_1642:
	s_mov_b64 s[0:1], 0
.LBB20_1643:
	s_andn2_b64 vcc, exec, s[0:1]
	s_cbranch_vccnz .LBB20_1649
; %bb.1644:
	s_cmp_gt_i32 s24, 0
	s_cbranch_scc0 .LBB20_1646
; %bb.1645:
	global_load_sbyte v1, v[5:6], off
	s_mov_b64 s[0:1], 0
	s_waitcnt vmcnt(0)
	v_cvt_f32_i32_e32 v1, v1
	s_branch .LBB20_1647
.LBB20_1646:
	s_mov_b64 s[0:1], -1
                                        ; implicit-def: $vgpr1
.LBB20_1647:
	s_andn2_b64 vcc, exec, s[0:1]
	s_cbranch_vccnz .LBB20_1649
; %bb.1648:
	global_load_ubyte v1, v[5:6], off
	s_waitcnt vmcnt(0)
	v_cvt_f32_ubyte0_e32 v1, v1
.LBB20_1649:
	s_mov_b64 s[4:5], -1
.LBB20_1650:
	s_andn2_b64 vcc, exec, s[4:5]
	s_cbranch_vccnz .LBB20_1660
; %bb.1651:
	s_waitcnt vmcnt(0)
	v_cmp_gt_f32_e32 vcc, 0, v1
	v_cndmask_b32_e64 v1, v1, -v1, vcc
	s_mov_b32 s0, 0x40a00000
	v_cmp_ge_f32_e32 vcc, s0, v1
	v_mul_f32_e32 v9, v1, v1
                                        ; implicit-def: $vgpr6
	s_and_saveexec_b64 s[0:1], vcc
	s_xor_b64 s[0:1], exec, s[0:1]
	s_cbranch_execz .LBB20_1657
; %bb.1652:
	s_mov_b32 s2, 0x3727c5ac
	v_cmp_ngt_f32_e32 vcc, s2, v1
                                        ; implicit-def: $vgpr6
	s_and_saveexec_b64 s[2:3], vcc
	s_xor_b64 s[2:3], exec, s[2:3]
	s_cbranch_execz .LBB20_1654
; %bb.1653:
	v_mov_b32_e32 v1, 0xcf8ee29d
	v_fmac_f32_e32 v1, 0, v9
	v_mov_b32_e32 v3, 0x53e3ba8e
	v_fmac_f32_e32 v3, v9, v1
	;; [unrolled: 2-line block ×12, first 2 shown]
	v_add_f32_e32 v1, 0xc0b90fdc, v9
	v_add_f32_e32 v6, 0xc1f3c525, v9
	v_mul_f32_e32 v1, v1, v6
	v_mul_f32_e32 v1, v1, v3
	v_div_scale_f32 v3, s[4:5], v5, v5, v1
	v_div_scale_f32 v6, vcc, v1, v5, v1
	v_rcp_f32_e32 v8, v3
	v_fma_f32 v9, -v3, v8, 1.0
	v_fmac_f32_e32 v8, v9, v8
	v_mul_f32_e32 v9, v6, v8
	v_fma_f32 v10, -v3, v9, v6
	v_fmac_f32_e32 v9, v10, v8
	v_fma_f32 v3, -v3, v9, v6
	v_div_fmas_f32 v3, v3, v8, v9
                                        ; implicit-def: $vgpr9
	v_div_fixup_f32 v6, v3, v5, v1
.LBB20_1654:
	s_andn2_saveexec_b64 s[2:3], s[2:3]
; %bb.1655:
	s_mov_b32 s4, 0xbe800000
	v_fma_f32 v6, v9, s4, 1.0
; %bb.1656:
	s_or_b64 exec, exec, s[2:3]
                                        ; implicit-def: $vgpr9
                                        ; implicit-def: $vgpr1
.LBB20_1657:
	s_andn2_saveexec_b64 s[10:11], s[0:1]
	s_cbranch_execz .LBB20_1713
; %bb.1658:
	v_add_f32_e32 v3, 0xbf490fdb, v1
	v_and_b32_e32 v5, 0x7fffffff, v3
	s_brev_b32 s0, 18
	v_cmp_nlt_f32_e64 s[14:15], |v3|, s0
	v_lshrrev_b32_e32 v12, 23, v5
                                        ; implicit-def: $vgpr6
                                        ; implicit-def: $vgpr8
	s_and_saveexec_b64 s[0:1], s[14:15]
	s_xor_b64 s[20:21], exec, s[0:1]
	s_cbranch_execz .LBB20_1706
; %bb.1659:
	v_and_b32_e32 v6, 0x7fffff, v5
	v_or_b32_e32 v6, 0x800000, v6
	s_mov_b32 s0, 0xfe5163ab
	v_mad_u64_u32 v[10:11], s[0:1], v6, s0, 0
	v_mov_b32_e32 v14, 0
	s_mov_b32 s0, 0x3c439041
	v_mov_b32_e32 v13, v11
	v_mad_u64_u32 v[15:16], s[0:1], v6, s0, v[13:14]
	s_mov_b32 s0, 0xdb629599
	v_add_u32_e32 v8, 0xffffff88, v12
	v_mov_b32_e32 v13, v16
	v_mad_u64_u32 v[16:17], s[0:1], v6, s0, v[13:14]
	s_mov_b32 s0, 0xf534ddc0
	v_not_b32_e32 v11, 63
	v_mov_b32_e32 v13, v17
	v_mad_u64_u32 v[17:18], s[0:1], v6, s0, v[13:14]
	s_mov_b32 s0, 0xfc2757d1
	v_cmp_lt_u32_e32 vcc, 63, v8
	v_mov_b32_e32 v13, v18
	v_mad_u64_u32 v[18:19], s[0:1], v6, s0, v[13:14]
	s_mov_b32 s0, 0x4e441529
	v_cndmask_b32_e32 v11, 0, v11, vcc
	v_mov_b32_e32 v13, v19
	v_mad_u64_u32 v[19:20], s[0:1], v6, s0, v[13:14]
	v_add_u32_e32 v8, v11, v8
	v_not_b32_e32 v11, 31
	v_cmp_lt_u32_e64 s[0:1], 31, v8
	v_cndmask_b32_e64 v13, 0, v11, s[0:1]
	v_add_u32_e32 v8, v13, v8
	v_mov_b32_e32 v13, v20
	s_mov_b32 s2, 0xa2f9836e
	v_mad_u64_u32 v[13:14], s[2:3], v6, s2, v[13:14]
	v_cmp_lt_u32_e64 s[2:3], 31, v8
	v_cndmask_b32_e64 v6, 0, v11, s[2:3]
	v_add_u32_e32 v6, v6, v8
	v_cndmask_b32_e32 v8, v19, v17, vcc
	v_cndmask_b32_e32 v11, v13, v18, vcc
	;; [unrolled: 1-line block ×3, first 2 shown]
	v_cndmask_b32_e64 v13, v11, v8, s[0:1]
	v_cndmask_b32_e64 v11, v14, v11, s[0:1]
	v_cndmask_b32_e32 v14, v18, v16, vcc
	v_cndmask_b32_e64 v8, v8, v14, s[0:1]
	v_cndmask_b32_e64 v11, v11, v13, s[2:3]
	;; [unrolled: 1-line block ×3, first 2 shown]
	v_sub_u32_e32 v18, 32, v6
	v_alignbit_b32 v19, v11, v13, v18
	v_cmp_eq_u32_e64 s[4:5], 0, v6
	v_cndmask_b32_e64 v6, v19, v11, s[4:5]
	v_cndmask_b32_e32 v11, v17, v15, vcc
	v_cndmask_b32_e64 v14, v14, v11, s[0:1]
	v_cndmask_b32_e64 v8, v8, v14, s[2:3]
	v_cndmask_b32_e32 v10, v16, v10, vcc
	v_alignbit_b32 v15, v13, v8, v18
	v_cndmask_b32_e64 v10, v11, v10, s[0:1]
	v_cndmask_b32_e64 v13, v15, v13, s[4:5]
	v_bfe_u32 v19, v6, 29, 1
	v_cndmask_b32_e64 v10, v14, v10, s[2:3]
	v_alignbit_b32 v15, v6, v13, 30
	v_sub_u32_e32 v20, 0, v19
	v_alignbit_b32 v11, v8, v10, v18
	v_xor_b32_e32 v15, v15, v20
	v_cndmask_b32_e64 v8, v11, v8, s[4:5]
	v_alignbit_b32 v11, v13, v8, 30
	v_ffbh_u32_e32 v13, v15
	v_min_u32_e32 v13, 32, v13
	v_alignbit_b32 v8, v8, v10, 30
	v_xor_b32_e32 v11, v11, v20
	v_sub_u32_e32 v14, 31, v13
	v_xor_b32_e32 v8, v8, v20
	v_alignbit_b32 v15, v15, v11, v14
	v_alignbit_b32 v8, v11, v8, v14
	;; [unrolled: 1-line block ×3, first 2 shown]
	v_ffbh_u32_e32 v11, v10
	v_min_u32_e32 v11, 32, v11
	v_lshrrev_b32_e32 v17, 29, v6
	v_not_b32_e32 v14, v11
	v_alignbit_b32 v8, v10, v8, v14
	v_lshlrev_b32_e32 v10, 31, v17
	v_or_b32_e32 v14, 0x33000000, v10
	v_add_lshl_u32 v11, v11, v13, 23
	v_lshrrev_b32_e32 v8, 9, v8
	v_sub_u32_e32 v11, v14, v11
	v_or_b32_e32 v10, 0.5, v10
	v_lshlrev_b32_e32 v13, 23, v13
	v_or_b32_e32 v8, v11, v8
	v_lshrrev_b32_e32 v11, 9, v15
	v_sub_u32_e32 v10, v10, v13
	v_or_b32_e32 v10, v11, v10
	s_mov_b32 s0, 0x3fc90fda
	v_mul_f32_e32 v11, 0x3fc90fda, v10
	v_fma_f32 v13, v10, s0, -v11
	v_fmac_f32_e32 v13, 0x33a22168, v10
	v_fmac_f32_e32 v13, 0x3fc90fda, v8
	v_lshrrev_b32_e32 v6, 30, v6
	v_add_f32_e32 v8, v11, v13
	v_add_u32_e32 v6, v19, v6
	s_andn2_saveexec_b64 s[0:1], s[20:21]
	s_cbranch_execz .LBB20_1708
	s_branch .LBB20_1707
.LBB20_1660:
	s_mov_b64 s[0:1], 0
                                        ; implicit-def: $sgpr20
                                        ; implicit-def: $vgpr0_vgpr1
                                        ; implicit-def: $vgpr6
.LBB20_1661:
	s_mov_b64 s[2:3], 0
.LBB20_1662:
	s_and_b64 s[14:15], s[2:3], exec
	s_andn2_b64 s[2:3], s[16:17], exec
	s_and_b64 s[4:5], s[18:19], exec
	s_and_b64 s[0:1], s[0:1], exec
	s_or_b64 s[16:17], s[2:3], s[4:5]
.LBB20_1663:
	s_or_b64 exec, exec, s[6:7]
	s_and_saveexec_b64 s[2:3], s[16:17]
	s_cbranch_execz .LBB20_1666
; %bb.1664:
	; divergent unreachable
	s_or_b64 exec, exec, s[2:3]
	s_and_saveexec_b64 s[2:3], s[14:15]
	s_xor_b64 s[2:3], exec, s[2:3]
	s_cbranch_execnz .LBB20_1667
.LBB20_1665:
	s_or_b64 exec, exec, s[2:3]
	s_and_saveexec_b64 s[2:3], s[0:1]
	s_cbranch_execnz .LBB20_1668
	s_branch .LBB20_1705
.LBB20_1666:
	s_or_b64 exec, exec, s[2:3]
	s_and_saveexec_b64 s[2:3], s[14:15]
	s_xor_b64 s[2:3], exec, s[2:3]
	s_cbranch_execz .LBB20_1665
.LBB20_1667:
	v_cmp_neq_f32_e32 vcc, 0, v6
	s_waitcnt vmcnt(0)
	v_cndmask_b32_e64 v2, 0, 1, vcc
	global_store_byte v[0:1], v2, off
	s_or_b64 exec, exec, s[2:3]
	s_and_saveexec_b64 s[2:3], s[0:1]
	s_cbranch_execz .LBB20_1705
.LBB20_1668:
	s_sext_i32_i16 s2, s20
	s_cmp_lt_i32 s2, 5
	s_mov_b64 s[0:1], -1
	s_cbranch_scc1 .LBB20_1689
; %bb.1669:
	s_cmp_lt_i32 s2, 8
	s_cbranch_scc1 .LBB20_1679
; %bb.1670:
	s_cmp_lt_i32 s2, 9
	s_cbranch_scc1 .LBB20_1676
; %bb.1671:
	s_cmp_gt_i32 s2, 9
	s_cbranch_scc0 .LBB20_1673
; %bb.1672:
	s_waitcnt vmcnt(0)
	v_cvt_f64_f32_e32 v[2:3], v6
	v_mov_b32_e32 v4, 0
	v_mov_b32_e32 v5, v4
	s_mov_b64 s[0:1], 0
	global_store_dwordx4 v[0:1], v[2:5], off
.LBB20_1673:
	s_andn2_b64 vcc, exec, s[0:1]
	s_cbranch_vccnz .LBB20_1675
; %bb.1674:
	v_mov_b32_e32 v7, 0
	s_waitcnt vmcnt(0)
	global_store_dwordx2 v[0:1], v[6:7], off
.LBB20_1675:
	s_mov_b64 s[0:1], 0
.LBB20_1676:
	s_andn2_b64 vcc, exec, s[0:1]
	s_cbranch_vccnz .LBB20_1678
; %bb.1677:
	s_waitcnt vmcnt(0)
	v_cvt_f16_f32_e32 v2, v6
	global_store_dword v[0:1], v2, off
.LBB20_1678:
	s_mov_b64 s[0:1], 0
.LBB20_1679:
	s_andn2_b64 vcc, exec, s[0:1]
	s_cbranch_vccnz .LBB20_1688
; %bb.1680:
	s_sext_i32_i16 s2, s20
	s_cmp_lt_i32 s2, 6
	s_mov_b64 s[0:1], -1
	s_cbranch_scc1 .LBB20_1686
; %bb.1681:
	s_cmp_gt_i32 s2, 6
	s_cbranch_scc0 .LBB20_1683
; %bb.1682:
	s_waitcnt vmcnt(0)
	v_cvt_f64_f32_e32 v[2:3], v6
	s_mov_b64 s[0:1], 0
	global_store_dwordx2 v[0:1], v[2:3], off
.LBB20_1683:
	s_andn2_b64 vcc, exec, s[0:1]
	s_cbranch_vccnz .LBB20_1685
; %bb.1684:
	s_waitcnt vmcnt(0)
	global_store_dword v[0:1], v6, off
.LBB20_1685:
	s_mov_b64 s[0:1], 0
.LBB20_1686:
	s_andn2_b64 vcc, exec, s[0:1]
	s_cbranch_vccnz .LBB20_1688
; %bb.1687:
	s_waitcnt vmcnt(0)
	v_cvt_f16_f32_e32 v2, v6
	global_store_short v[0:1], v2, off
.LBB20_1688:
	s_mov_b64 s[0:1], 0
.LBB20_1689:
	s_andn2_b64 vcc, exec, s[0:1]
	s_cbranch_vccnz .LBB20_1705
; %bb.1690:
	s_sext_i32_i16 s2, s20
	s_cmp_lt_i32 s2, 2
	s_mov_b64 s[0:1], -1
	s_cbranch_scc1 .LBB20_1700
; %bb.1691:
	s_cmp_lt_i32 s2, 3
	s_cbranch_scc1 .LBB20_1697
; %bb.1692:
	s_cmp_gt_i32 s2, 3
	s_cbranch_scc0 .LBB20_1694
; %bb.1693:
	s_waitcnt vmcnt(0)
	v_trunc_f32_e32 v2, v6
	s_mov_b32 s0, 0x2f800000
	v_mul_f32_e64 v3, |v2|, s0
	v_floor_f32_e32 v3, v3
	s_mov_b32 s0, 0xcf800000
	v_cvt_u32_f32_e32 v4, v3
	v_fma_f32 v3, v3, s0, |v2|
	v_cvt_u32_f32_e32 v3, v3
	v_ashrrev_i32_e32 v5, 31, v2
	v_xor_b32_e32 v4, v4, v5
	s_mov_b64 s[0:1], 0
	v_xor_b32_e32 v2, v3, v5
	v_sub_co_u32_e32 v2, vcc, v2, v5
	v_subb_co_u32_e32 v3, vcc, v4, v5, vcc
	global_store_dwordx2 v[0:1], v[2:3], off
.LBB20_1694:
	s_andn2_b64 vcc, exec, s[0:1]
	s_cbranch_vccnz .LBB20_1696
; %bb.1695:
	s_waitcnt vmcnt(0)
	v_cvt_i32_f32_e32 v2, v6
	global_store_dword v[0:1], v2, off
.LBB20_1696:
	s_mov_b64 s[0:1], 0
.LBB20_1697:
	s_andn2_b64 vcc, exec, s[0:1]
	s_cbranch_vccnz .LBB20_1699
; %bb.1698:
	s_waitcnt vmcnt(0)
	v_cvt_i32_f32_e32 v2, v6
	global_store_short v[0:1], v2, off
.LBB20_1699:
	s_mov_b64 s[0:1], 0
.LBB20_1700:
	s_andn2_b64 vcc, exec, s[0:1]
	s_cbranch_vccnz .LBB20_1705
; %bb.1701:
	s_sext_i32_i16 s0, s20
	s_cmp_gt_i32 s0, 0
	s_mov_b64 s[0:1], -1
	s_cbranch_scc0 .LBB20_1703
; %bb.1702:
	s_waitcnt vmcnt(0)
	v_cvt_i32_f32_e32 v2, v6
	s_mov_b64 s[0:1], 0
	global_store_byte v[0:1], v2, off
.LBB20_1703:
	s_andn2_b64 vcc, exec, s[0:1]
	s_cbranch_vccnz .LBB20_1705
; %bb.1704:
	s_waitcnt vmcnt(0)
	v_trunc_f32_e32 v2, v6
	s_mov_b32 s0, 0x2f800000
	v_mul_f32_e64 v3, |v2|, s0
	v_floor_f32_e32 v3, v3
	s_mov_b32 s0, 0xcf800000
	v_fma_f32 v3, v3, s0, |v2|
	v_cvt_u32_f32_e32 v3, v3
	v_ashrrev_i32_e32 v2, 31, v2
	v_xor_b32_e32 v3, v3, v2
	v_sub_u32_e32 v2, v3, v2
	global_store_byte v[0:1], v2, off
	s_endpgm
.LBB20_1705:
	s_endpgm
.LBB20_1706:
	s_andn2_saveexec_b64 s[0:1], s[20:21]
	s_cbranch_execz .LBB20_1708
.LBB20_1707:
	s_mov_b32 s2, 0x3f22f983
	v_mul_f32_e64 v6, |v3|, s2
	v_rndne_f32_e32 v10, v6
	s_mov_b32 s2, 0xbfc90fda
	v_cvt_i32_f32_e32 v6, v10
	v_fma_f32 v8, v10, s2, |v3|
	v_fmac_f32_e32 v8, 0xb3a22168, v10
	v_fmac_f32_e32 v8, 0xa7c234c4, v10
.LBB20_1708:
	s_or_b64 exec, exec, s[0:1]
                                        ; implicit-def: $vgpr10
                                        ; implicit-def: $vgpr11
	s_and_saveexec_b64 s[0:1], s[14:15]
	s_xor_b64 s[14:15], exec, s[0:1]
	s_cbranch_execz .LBB20_1710
; %bb.1709:
	v_and_b32_e32 v10, 0x7fffff, v5
	v_or_b32_e32 v19, 0x800000, v10
	s_mov_b32 s0, 0xfe5163ab
	v_mad_u64_u32 v[10:11], s[0:1], v19, s0, 0
	v_mov_b32_e32 v14, 0
	s_mov_b32 s0, 0x3c439041
	v_mov_b32_e32 v13, v11
	v_mad_u64_u32 v[15:16], s[0:1], v19, s0, v[13:14]
	s_mov_b32 s0, 0xdb629599
	v_add_u32_e32 v20, 0xffffff88, v12
	v_mov_b32_e32 v13, v16
	v_mad_u64_u32 v[16:17], s[0:1], v19, s0, v[13:14]
	s_mov_b32 s0, 0xf534ddc0
	v_not_b32_e32 v21, 63
	v_mov_b32_e32 v13, v17
	v_mad_u64_u32 v[17:18], s[0:1], v19, s0, v[13:14]
	s_mov_b32 s0, 0xfc2757d1
	v_cmp_lt_u32_e32 vcc, 63, v20
	v_mov_b32_e32 v13, v18
	v_mad_u64_u32 v[11:12], s[0:1], v19, s0, v[13:14]
	v_cndmask_b32_e32 v13, 0, v21, vcc
	v_add_u32_e32 v18, v13, v20
	v_mov_b32_e32 v13, v12
	s_mov_b32 s0, 0x4e441529
	v_mad_u64_u32 v[12:13], s[0:1], v19, s0, v[13:14]
	v_not_b32_e32 v20, 31
	v_cmp_lt_u32_e64 s[0:1], 31, v18
	s_mov_b32 s2, 0xa2f9836e
	v_cndmask_b32_e64 v21, 0, v20, s[0:1]
	v_mad_u64_u32 v[13:14], s[2:3], v19, s2, v[13:14]
	v_add_u32_e32 v18, v21, v18
	v_cmp_lt_u32_e64 s[2:3], 31, v18
	v_cndmask_b32_e64 v19, 0, v20, s[2:3]
	v_add_u32_e32 v18, v19, v18
	v_cndmask_b32_e32 v19, v12, v17, vcc
	v_cndmask_b32_e32 v13, v13, v11, vcc
	;; [unrolled: 1-line block ×4, first 2 shown]
	v_cndmask_b32_e64 v20, v13, v19, s[0:1]
	v_cndmask_b32_e64 v12, v12, v13, s[0:1]
	;; [unrolled: 1-line block ×3, first 2 shown]
	v_cndmask_b32_e32 v15, v17, v15, vcc
	v_cndmask_b32_e64 v12, v12, v20, s[2:3]
	v_cndmask_b32_e64 v14, v20, v13, s[2:3]
	v_sub_u32_e32 v19, 32, v18
	v_cndmask_b32_e64 v11, v11, v15, s[0:1]
	v_alignbit_b32 v20, v12, v14, v19
	v_cmp_eq_u32_e64 s[4:5], 0, v18
	v_cndmask_b32_e64 v13, v13, v11, s[2:3]
	v_cndmask_b32_e32 v10, v16, v10, vcc
	v_cndmask_b32_e64 v12, v20, v12, s[4:5]
	v_alignbit_b32 v17, v14, v13, v19
	v_cndmask_b32_e64 v10, v15, v10, s[0:1]
	v_cndmask_b32_e64 v14, v17, v14, s[4:5]
	v_bfe_u32 v20, v12, 29, 1
	v_cndmask_b32_e64 v10, v11, v10, s[2:3]
	v_alignbit_b32 v17, v12, v14, 30
	v_sub_u32_e32 v21, 0, v20
	v_alignbit_b32 v11, v13, v10, v19
	v_xor_b32_e32 v17, v17, v21
	v_cndmask_b32_e64 v11, v11, v13, s[4:5]
	v_alignbit_b32 v13, v14, v11, 30
	v_ffbh_u32_e32 v14, v17
	v_min_u32_e32 v14, 32, v14
	v_alignbit_b32 v10, v11, v10, 30
	v_xor_b32_e32 v13, v13, v21
	v_sub_u32_e32 v15, 31, v14
	v_xor_b32_e32 v10, v10, v21
	v_alignbit_b32 v16, v17, v13, v15
	v_alignbit_b32 v10, v13, v10, v15
	;; [unrolled: 1-line block ×3, first 2 shown]
	v_ffbh_u32_e32 v13, v11
	v_min_u32_e32 v13, 32, v13
	v_lshrrev_b32_e32 v18, 29, v12
	v_not_b32_e32 v15, v13
	v_alignbit_b32 v10, v11, v10, v15
	v_lshlrev_b32_e32 v11, 31, v18
	v_or_b32_e32 v15, 0x33000000, v11
	v_add_lshl_u32 v13, v13, v14, 23
	v_lshrrev_b32_e32 v10, 9, v10
	v_sub_u32_e32 v13, v15, v13
	v_or_b32_e32 v11, 0.5, v11
	v_lshlrev_b32_e32 v14, 23, v14
	v_or_b32_e32 v10, v13, v10
	v_lshrrev_b32_e32 v13, 9, v16
	v_sub_u32_e32 v11, v11, v14
	v_or_b32_e32 v11, v13, v11
	s_mov_b32 s0, 0x3fc90fda
	v_mul_f32_e32 v13, 0x3fc90fda, v11
	v_fma_f32 v14, v11, s0, -v13
	v_fmac_f32_e32 v14, 0x33a22168, v11
	v_fmac_f32_e32 v14, 0x3fc90fda, v10
	v_lshrrev_b32_e32 v10, 30, v12
	v_add_f32_e32 v11, v13, v14
	v_add_u32_e32 v10, v20, v10
	s_andn2_saveexec_b64 s[0:1], s[14:15]
	s_cbranch_execnz .LBB20_1711
	s_branch .LBB20_1712
.LBB20_1710:
	s_andn2_saveexec_b64 s[0:1], s[14:15]
	s_cbranch_execz .LBB20_1712
.LBB20_1711:
	s_mov_b32 s2, 0x3f22f983
	v_mul_f32_e64 v10, |v3|, s2
	v_rndne_f32_e32 v12, v10
	s_mov_b32 s2, 0xbfc90fda
	v_cvt_i32_f32_e32 v10, v12
	v_fma_f32 v11, v12, s2, |v3|
	v_fmac_f32_e32 v11, 0xb3a22168, v12
	v_fmac_f32_e32 v11, 0xa7c234c4, v12
.LBB20_1712:
	s_or_b64 exec, exec, s[0:1]
	s_mov_b32 s2, 0x41c80000
	v_div_scale_f32 v12, s[0:1], v9, v9, s2
	v_div_scale_f32 v13, vcc, s2, v9, s2
	v_mov_b32_e32 v19, 0x3a725406
	v_mov_b32_e32 v20, 0x3daf5e2d
	;; [unrolled: 1-line block ×11, first 2 shown]
	v_rcp_f32_e32 v14, v12
	v_fma_f32 v15, -v12, v14, 1.0
	v_fmac_f32_e32 v14, v15, v14
	v_mul_f32_e32 v15, v13, v14
	v_fma_f32 v16, -v12, v15, v13
	v_fmac_f32_e32 v15, v16, v14
	v_fma_f32 v12, -v12, v15, v13
	v_div_fmas_f32 v12, v12, v14, v15
	v_mov_b32_e32 v13, 0x3a50e985
	v_mov_b32_e32 v14, 0x3da9a586
	;; [unrolled: 1-line block ×4, first 2 shown]
	v_div_fixup_f32 v9, v12, v9, s2
	v_fmac_f32_e32 v13, 0, v9
	v_fmac_f32_e32 v19, 0, v9
	;; [unrolled: 1-line block ×12, first 2 shown]
	v_fma_f32 v12, v9, v24, 1.0
	v_fma_f32 v13, v9, v18, 1.0
	v_div_scale_f32 v14, s[0:1], v12, v12, v13
	v_div_scale_f32 v18, vcc, v13, v12, v13
	s_mov_b32 s2, 0xc0a00000
	v_div_scale_f32 v29, s[0:1], v1, v1, s2
	v_mov_b32_e32 v15, 0xbc3a3a12
	v_mov_b32_e32 v16, 0xbfa429da
	;; [unrolled: 1-line block ×3, first 2 shown]
	v_fmac_f32_e32 v15, 0, v9
	v_mov_b32_e32 v17, 0xc19c6e80
	v_mov_b32_e32 v22, 0x44561b86
	v_fmac_f32_e32 v16, v9, v15
	v_fmac_f32_e32 v21, 0, v9
	v_mov_b32_e32 v19, 0xc2ba697b
	v_rcp_f32_e32 v27, v14
	v_mov_b32_e32 v24, 0x4572a66e
	v_fmac_f32_e32 v22, v9, v21
	v_fmac_f32_e32 v17, v9, v16
	v_fma_f32 v30, -v14, v27, 1.0
	v_fmac_f32_e32 v27, v30, v27
	v_mul_f32_e32 v30, v18, v27
	v_fma_f32 v31, -v14, v30, v18
	v_fmac_f32_e32 v30, v31, v27
	v_fma_f32 v14, -v14, v30, v18
	v_div_fmas_f32 v14, v14, v27, v30
	v_mov_b32_e32 v20, 0xc331ae61
	v_fmac_f32_e32 v24, v9, v22
	v_fmac_f32_e32 v19, v9, v17
	v_mov_b32_e32 v23, 0xc31313d7
	v_div_scale_f32 v30, vcc, s2, v1, s2
	v_fmac_f32_e32 v25, v9, v24
	v_fmac_f32_e32 v20, v9, v19
	v_mov_b32_e32 v31, 0x4500e17e
	v_fmac_f32_e32 v28, v9, v25
	v_fmac_f32_e32 v23, v9, v20
	v_mov_b32_e32 v18, 0xc0c19ac7
	v_mov_b32_e32 v27, 0x43720178
	v_fmac_f32_e32 v31, v9, v28
	v_fmac_f32_e32 v26, v9, v23
	;; [unrolled: 1-line block ×4, first 2 shown]
	v_div_scale_f32 v9, s[0:1], v27, v27, v18
	v_rcp_f32_e32 v15, v29
	v_div_fixup_f32 v12, v14, v12, v13
	v_div_scale_f32 v13, s[0:1], v18, v27, v18
	v_fma_f32 v14, -v29, v15, 1.0
	v_fmac_f32_e32 v15, v14, v15
	v_mul_f32_e32 v14, v30, v15
	v_fma_f32 v16, -v29, v14, v30
	v_fmac_f32_e32 v14, v16, v15
	v_fma_f32 v17, -v29, v14, v30
	v_mul_f32_e32 v16, v8, v8
	v_mov_b32_e32 v19, 0x3c0881c4
	v_div_fmas_f32 v14, v17, v15, v14
	v_fmac_f32_e32 v19, 0xb94c1982, v16
	v_rcp_f32_e32 v17, v9
	v_mov_b32_e32 v15, 0xbe2aaa9d
	v_fma_f32 v19, v16, v19, v15
	v_mul_f32_e32 v19, v16, v19
	v_fmac_f32_e32 v8, v8, v19
	v_fma_f32 v19, -v9, v17, 1.0
	v_fmac_f32_e32 v17, v19, v17
	v_mul_f32_e32 v19, v13, v17
	v_fma_f32 v20, -v9, v19, v13
	v_fmac_f32_e32 v19, v20, v17
	v_fma_f32 v9, -v9, v19, v13
	s_mov_b64 vcc, s[0:1]
	v_div_fmas_f32 v9, v9, v17, v19
	v_mov_b32_e32 v13, 0xbab64f3b
	v_fmac_f32_e32 v13, 0x37d75334, v16
	v_mov_b32_e32 v17, 0x3d2aabf7
	v_fma_f32 v13, v16, v13, v17
	v_mov_b32_e32 v19, 0xbf000004
	v_fma_f32 v13, v16, v13, v19
	v_fma_f32 v13, v16, v13, 1.0
	v_and_b32_e32 v16, 1, v6
	v_cmp_eq_u32_e32 vcc, 0, v16
	v_div_fixup_f32 v14, v14, v1, s2
	v_cndmask_b32_e64 v8, -v8, v13, vcc
	v_mov_b32_e32 v13, 0xbab64f3b
	v_mov_b32_e32 v20, 0x3c0881c4
	s_movk_i32 s0, 0x1f8
	v_lshlrev_b32_e32 v6, 30, v6
	v_div_fixup_f32 v9, v9, v27, v18
	v_mul_f32_e32 v9, v14, v9
	v_mul_f32_e32 v14, v11, v11
	v_fmac_f32_e32 v13, 0x37d75334, v14
	v_fmac_f32_e32 v20, 0xb94c1982, v14
	v_fmac_f32_e32 v17, v14, v13
	v_fmac_f32_e32 v15, v14, v20
	v_fmac_f32_e32 v19, v14, v17
	v_mul_f32_e32 v15, v14, v15
	v_fma_f32 v13, v14, v19, 1.0
	v_and_b32_e32 v14, 1, v10
	v_lshlrev_b32_e32 v10, 30, v10
	v_cmp_class_f32_e64 vcc, v3, s0
	v_fmac_f32_e32 v11, v11, v15
	v_cmp_eq_u32_e64 s[0:1], 0, v14
	v_and_b32_e32 v10, 0x80000000, v10
	v_xor_b32_e32 v3, v5, v3
	v_and_b32_e32 v6, 0x80000000, v6
	v_cndmask_b32_e64 v11, v13, v11, s[0:1]
	v_xor_b32_e32 v3, v3, v10
	v_xor_b32_e32 v6, v6, v8
	v_mov_b32_e32 v8, 0x7fc00000
	v_xor_b32_e32 v3, v3, v11
	s_mov_b32 s0, 0xf800000
	v_cndmask_b32_e32 v6, v8, v6, vcc
	v_cndmask_b32_e32 v3, v8, v3, vcc
	v_mul_f32_e32 v5, 0x4f800000, v1
	v_cmp_gt_f32_e32 vcc, s0, v1
	v_cndmask_b32_e32 v1, v1, v5, vcc
	v_sqrt_f32_e32 v5, v1
	v_mul_f32_e32 v3, v9, v3
	v_fmac_f32_e32 v3, v12, v6
	v_mul_f32_e32 v3, 0x3f4c422a, v3
	v_add_u32_e32 v6, -1, v5
	v_fma_f32 v8, -v6, v5, v1
	v_cmp_ge_f32_e64 s[0:1], 0, v8
	v_add_u32_e32 v8, 1, v5
	v_cndmask_b32_e64 v6, v5, v6, s[0:1]
	v_fma_f32 v5, -v8, v5, v1
	v_cmp_lt_f32_e64 s[0:1], 0, v5
	v_cndmask_b32_e64 v5, v6, v8, s[0:1]
	v_mul_f32_e32 v6, 0x37800000, v5
	v_cndmask_b32_e32 v5, v5, v6, vcc
	v_mov_b32_e32 v6, 0x260
	v_cmp_class_f32_e32 vcc, v1, v6
	v_cndmask_b32_e32 v1, v5, v1, vcc
	v_div_scale_f32 v5, s[0:1], v1, v1, v3
	v_div_scale_f32 v6, vcc, v3, v1, v3
	v_rcp_f32_e32 v8, v5
	v_fma_f32 v9, -v5, v8, 1.0
	v_fmac_f32_e32 v8, v9, v8
	v_mul_f32_e32 v9, v6, v8
	v_fma_f32 v10, -v5, v9, v6
	v_fmac_f32_e32 v9, v10, v8
	v_fma_f32 v5, -v5, v9, v6
	v_div_fmas_f32 v5, v5, v8, v9
	v_div_fixup_f32 v6, v5, v1, v3
.LBB20_1713:
	s_or_b64 exec, exec, s[10:11]
	v_mul_lo_u32 v3, s12, v7
	v_mov_b32_e32 v1, s9
	s_and_b32 s20, s33, 0xff
	s_cmp_lt_i32 s20, 11
	v_ashrrev_i32_e32 v5, 31, v3
	v_add_co_u32_e32 v7, vcc, s8, v3
	v_addc_co_u32_e32 v8, vcc, v1, v5, vcc
	s_cbranch_scc1 .LBB20_1791
; %bb.1714:
	s_and_b32 s13, 0xffff, s20
	s_mov_b64 s[10:11], -1
	s_mov_b64 s[2:3], 0
	s_cmp_gt_i32 s13, 25
	s_mov_b64 s[4:5], 0
	s_mov_b64 s[0:1], 0
	s_cbranch_scc0 .LBB20_1747
; %bb.1715:
	s_cmp_gt_i32 s13, 28
	s_cbranch_scc0 .LBB20_1730
; %bb.1716:
	s_cmp_gt_i32 s13, 43
	;; [unrolled: 3-line block ×3, first 2 shown]
	s_cbranch_scc0 .LBB20_1720
; %bb.1718:
	s_mov_b64 s[0:1], -1
	s_mov_b64 s[10:11], 0
	s_cmp_eq_u32 s13, 46
	s_cbranch_scc0 .LBB20_1720
; %bb.1719:
	v_bfe_u32 v1, v0, 16, 1
	s_movk_i32 s0, 0x7fff
	v_add3_u32 v1, v0, v1, s0
	v_cmp_o_f32_e32 vcc, v0, v0
	v_mov_b32_e32 v5, 0x7fc0
	v_cndmask_b32_sdwa v1, v5, v1, vcc dst_sel:DWORD dst_unused:UNUSED_PAD src0_sel:DWORD src1_sel:WORD_1
	global_store_dword v[7:8], v1, off
	s_mov_b64 s[0:1], 0
	s_mov_b64 s[4:5], -1
.LBB20_1720:
	s_and_b64 vcc, exec, s[10:11]
	s_cbranch_vccz .LBB20_1725
; %bb.1721:
	s_cmp_eq_u32 s13, 44
	s_mov_b64 s[0:1], -1
	s_cbranch_scc0 .LBB20_1725
; %bb.1722:
	v_bfe_u32 v1, v0, 23, 8
	s_movk_i32 s0, 0xff
	v_cmp_ne_u32_e32 vcc, s0, v1
	v_mov_b32_e32 v5, 0xff
	s_and_saveexec_b64 s[4:5], vcc
; %bb.1723:
	s_mov_b32 s0, 0x3fffff
	v_and_b32_e32 v9, 0x400000, v0
	v_and_or_b32 v1, v0, s0, v1
	v_cmp_ne_u32_e32 vcc, 0, v9
	v_cmp_ne_u32_e64 s[0:1], 0, v1
	s_and_b64 s[0:1], vcc, s[0:1]
	v_lshrrev_b32_e32 v5, 23, v0
	v_cndmask_b32_e64 v1, 0, 1, s[0:1]
	v_add_u32_e32 v5, v5, v1
; %bb.1724:
	s_or_b64 exec, exec, s[4:5]
	s_mov_b64 s[0:1], 0
	s_mov_b64 s[4:5], -1
	global_store_byte v[7:8], v5, off
.LBB20_1725:
	s_mov_b64 s[10:11], 0
.LBB20_1726:
	s_and_b64 vcc, exec, s[10:11]
	s_cbranch_vccz .LBB20_1729
; %bb.1727:
	s_cmp_eq_u32 s13, 29
	s_mov_b64 s[0:1], -1
	s_cbranch_scc0 .LBB20_1729
; %bb.1728:
	v_trunc_f32_e32 v1, v0
	v_mul_f32_e32 v5, 0x2f800000, v1
	v_floor_f32_e32 v5, v5
	v_fmac_f32_e32 v1, 0xcf800000, v5
	v_cvt_u32_f32_e32 v10, v5
	v_cvt_u32_f32_e32 v9, v1
	s_mov_b64 s[0:1], 0
	s_mov_b64 s[4:5], -1
	global_store_dwordx2 v[7:8], v[9:10], off
.LBB20_1729:
	s_mov_b64 s[10:11], 0
.LBB20_1730:
	s_and_b64 vcc, exec, s[10:11]
	s_cbranch_vccz .LBB20_1746
; %bb.1731:
	s_cmp_lt_i32 s13, 27
	s_mov_b64 s[4:5], -1
	s_cbranch_scc1 .LBB20_1737
; %bb.1732:
	v_cvt_u32_f32_e32 v1, v0
	s_cmp_gt_i32 s13, 27
	s_cbranch_scc0 .LBB20_1734
; %bb.1733:
	s_mov_b64 s[4:5], 0
	global_store_dword v[7:8], v1, off
.LBB20_1734:
	s_andn2_b64 vcc, exec, s[4:5]
	s_cbranch_vccnz .LBB20_1736
; %bb.1735:
	global_store_short v[7:8], v1, off
.LBB20_1736:
	s_mov_b64 s[4:5], 0
.LBB20_1737:
	s_andn2_b64 vcc, exec, s[4:5]
	s_cbranch_vccnz .LBB20_1745
; %bb.1738:
	v_and_b32_e32 v1, 0x7fffffff, v0
	s_mov_b32 s4, 0x43800000
	v_cmp_gt_u32_e32 vcc, s4, v1
	v_mov_b32_e32 v5, 0x80
	s_and_saveexec_b64 s[4:5], vcc
	s_cbranch_execz .LBB20_1744
; %bb.1739:
	s_mov_b32 s10, 0x3bffffff
	v_cmp_lt_u32_e32 vcc, s10, v1
	s_mov_b64 s[10:11], 0
                                        ; implicit-def: $vgpr1
	s_and_saveexec_b64 s[14:15], vcc
	s_xor_b64 s[14:15], exec, s[14:15]
	s_cbranch_execz .LBB20_2149
; %bb.1740:
	v_bfe_u32 v1, v0, 20, 1
	s_mov_b32 s21, 0x487ffff
	v_add3_u32 v1, v0, v1, s21
	s_mov_b64 s[10:11], exec
	v_lshrrev_b32_e32 v1, 20, v1
	s_andn2_saveexec_b64 s[14:15], s[14:15]
	s_cbranch_execnz .LBB20_2150
.LBB20_1741:
	s_or_b64 exec, exec, s[14:15]
	v_mov_b32_e32 v5, 0
	s_and_saveexec_b64 s[14:15], s[10:11]
.LBB20_1742:
	v_lshrrev_b32_e32 v5, 24, v0
	s_movk_i32 s10, 0x80
	v_and_or_b32 v5, v5, s10, v1
.LBB20_1743:
	s_or_b64 exec, exec, s[14:15]
.LBB20_1744:
	s_or_b64 exec, exec, s[4:5]
	global_store_byte v[7:8], v5, off
.LBB20_1745:
	s_mov_b64 s[4:5], -1
.LBB20_1746:
	s_mov_b64 s[10:11], 0
.LBB20_1747:
	s_and_b64 vcc, exec, s[10:11]
	s_cbranch_vccz .LBB20_1787
; %bb.1748:
	s_cmp_gt_i32 s13, 22
	s_mov_b64 s[2:3], -1
	s_cbranch_scc0 .LBB20_1780
; %bb.1749:
	s_cmp_lt_i32 s13, 24
	s_cbranch_scc1 .LBB20_1769
; %bb.1750:
	s_cmp_gt_i32 s13, 24
	s_cbranch_scc0 .LBB20_1758
; %bb.1751:
	v_and_b32_e32 v1, 0x7fffffff, v0
	s_mov_b32 s2, 0x47800000
	v_cmp_gt_u32_e32 vcc, s2, v1
	v_mov_b32_e32 v5, 0x80
	s_and_saveexec_b64 s[2:3], vcc
	s_cbranch_execz .LBB20_1757
; %bb.1752:
	s_mov_b32 s4, 0x37ffffff
	v_cmp_lt_u32_e32 vcc, s4, v1
	s_mov_b64 s[4:5], 0
                                        ; implicit-def: $vgpr1
	s_and_saveexec_b64 s[10:11], vcc
	s_xor_b64 s[10:11], exec, s[10:11]
	s_cbranch_execz .LBB20_2152
; %bb.1753:
	v_bfe_u32 v1, v0, 21, 1
	s_mov_b32 s14, 0x88fffff
	v_add3_u32 v1, v0, v1, s14
	s_mov_b64 s[4:5], exec
	v_lshrrev_b32_e32 v1, 21, v1
	s_andn2_saveexec_b64 s[10:11], s[10:11]
	s_cbranch_execnz .LBB20_2153
.LBB20_1754:
	s_or_b64 exec, exec, s[10:11]
	v_mov_b32_e32 v5, 0
	s_and_saveexec_b64 s[10:11], s[4:5]
.LBB20_1755:
	v_lshrrev_b32_e32 v5, 24, v0
	s_movk_i32 s4, 0x80
	v_and_or_b32 v5, v5, s4, v1
.LBB20_1756:
	s_or_b64 exec, exec, s[10:11]
.LBB20_1757:
	s_or_b64 exec, exec, s[2:3]
	s_mov_b64 s[2:3], 0
	global_store_byte v[7:8], v5, off
.LBB20_1758:
	s_and_b64 vcc, exec, s[2:3]
	s_cbranch_vccz .LBB20_1768
; %bb.1759:
	v_and_b32_e32 v5, 0x7fffffff, v0
	s_mov_b32 s2, 0x43f00000
	v_cmp_gt_u32_e32 vcc, s2, v5
                                        ; implicit-def: $vgpr1
	s_and_saveexec_b64 s[2:3], vcc
	s_xor_b64 s[2:3], exec, s[2:3]
	s_cbranch_execz .LBB20_1765
; %bb.1760:
	s_mov_b32 s4, 0x3c7fffff
	v_cmp_lt_u32_e32 vcc, s4, v5
                                        ; implicit-def: $vgpr1
	s_and_saveexec_b64 s[4:5], vcc
	s_xor_b64 s[4:5], exec, s[4:5]
; %bb.1761:
	v_bfe_u32 v1, v0, 20, 1
	s_mov_b32 s10, 0x407ffff
	v_add3_u32 v1, v0, v1, s10
	v_lshrrev_b32_e32 v5, 20, v1
	v_and_b32_e32 v1, 0xff00000, v1
	s_mov_b32 s10, 0x7f00000
	v_mov_b32_e32 v9, 0x7e
	v_cmp_ne_u32_e32 vcc, s10, v1
	v_cndmask_b32_e32 v1, v9, v5, vcc
; %bb.1762:
	s_andn2_saveexec_b64 s[4:5], s[4:5]
; %bb.1763:
	s_mov_b32 s10, 0x46800000
	v_add_f32_e64 v1, |v0|, s10
; %bb.1764:
	s_or_b64 exec, exec, s[4:5]
                                        ; implicit-def: $vgpr5
.LBB20_1765:
	s_andn2_saveexec_b64 s[2:3], s[2:3]
; %bb.1766:
	s_mov_b32 s4, 0x7f800000
	v_mov_b32_e32 v1, 0x7e
	v_mov_b32_e32 v9, 0x7f
	v_cmp_lt_u32_e32 vcc, s4, v5
	v_cndmask_b32_e32 v1, v1, v9, vcc
; %bb.1767:
	s_or_b64 exec, exec, s[2:3]
	v_lshrrev_b32_e32 v5, 24, v0
	s_movk_i32 s2, 0x80
	v_and_or_b32 v1, v5, s2, v1
	global_store_byte v[7:8], v1, off
.LBB20_1768:
	s_mov_b64 s[2:3], 0
.LBB20_1769:
	s_andn2_b64 vcc, exec, s[2:3]
	s_cbranch_vccnz .LBB20_1779
; %bb.1770:
	v_and_b32_e32 v5, 0x7fffffff, v0
	s_mov_b32 s2, 0x47800000
	v_cmp_gt_u32_e32 vcc, s2, v5
                                        ; implicit-def: $vgpr1
	s_and_saveexec_b64 s[2:3], vcc
	s_xor_b64 s[2:3], exec, s[2:3]
	s_cbranch_execz .LBB20_1776
; %bb.1771:
	s_mov_b32 s4, 0x387fffff
	v_cmp_lt_u32_e32 vcc, s4, v5
                                        ; implicit-def: $vgpr1
	s_and_saveexec_b64 s[4:5], vcc
	s_xor_b64 s[4:5], exec, s[4:5]
; %bb.1772:
	v_bfe_u32 v1, v0, 21, 1
	s_mov_b32 s10, 0x80fffff
	v_add3_u32 v1, v0, v1, s10
	v_lshrrev_b32_e32 v1, 21, v1
; %bb.1773:
	s_andn2_saveexec_b64 s[4:5], s[4:5]
; %bb.1774:
	s_mov_b32 s10, 0x43000000
	v_add_f32_e64 v1, |v0|, s10
; %bb.1775:
	s_or_b64 exec, exec, s[4:5]
                                        ; implicit-def: $vgpr5
.LBB20_1776:
	s_andn2_saveexec_b64 s[2:3], s[2:3]
; %bb.1777:
	s_mov_b32 s4, 0x7f800000
	v_mov_b32_e32 v1, 0x7c
	v_mov_b32_e32 v9, 0x7f
	v_cmp_lt_u32_e32 vcc, s4, v5
	v_cndmask_b32_e32 v1, v1, v9, vcc
; %bb.1778:
	s_or_b64 exec, exec, s[2:3]
	v_lshrrev_b32_e32 v5, 24, v0
	s_movk_i32 s2, 0x80
	v_and_or_b32 v1, v5, s2, v1
	global_store_byte v[7:8], v1, off
.LBB20_1779:
	s_mov_b64 s[2:3], 0
	s_mov_b64 s[4:5], -1
.LBB20_1780:
	s_andn2_b64 vcc, exec, s[2:3]
	s_mov_b64 s[2:3], 0
	s_cbranch_vccnz .LBB20_1787
; %bb.1781:
	s_cmp_gt_i32 s13, 14
	s_mov_b64 s[10:11], -1
	s_cbranch_scc0 .LBB20_1785
; %bb.1782:
	s_cmp_eq_u32 s13, 15
	s_mov_b64 s[0:1], -1
	s_cbranch_scc0 .LBB20_1784
; %bb.1783:
	v_bfe_u32 v1, v0, 16, 1
	s_movk_i32 s0, 0x7fff
	v_add3_u32 v1, v0, v1, s0
	v_cmp_o_f32_e32 vcc, v0, v0
	v_mov_b32_e32 v5, 0x7fc0
	v_cndmask_b32_sdwa v1, v5, v1, vcc dst_sel:DWORD dst_unused:UNUSED_PAD src0_sel:DWORD src1_sel:WORD_1
	global_store_short v[7:8], v1, off
	s_mov_b64 s[0:1], 0
	s_mov_b64 s[4:5], -1
.LBB20_1784:
	s_mov_b64 s[10:11], 0
.LBB20_1785:
	s_and_b64 vcc, exec, s[10:11]
	s_cbranch_vccz .LBB20_1787
; %bb.1786:
	s_cmp_lg_u32 s13, 11
	s_mov_b64 s[2:3], -1
	s_cselect_b64 s[0:1], -1, 0
.LBB20_1787:
	s_and_b64 vcc, exec, s[0:1]
	s_cbranch_vccnz .LBB20_2151
; %bb.1788:
	s_andn2_b64 vcc, exec, s[2:3]
	s_cbranch_vccnz .LBB20_1790
.LBB20_1789:
	v_cmp_neq_f32_e32 vcc, 0, v0
	v_cndmask_b32_e64 v1, 0, 1, vcc
	s_mov_b64 s[4:5], -1
	global_store_byte v[7:8], v1, off
.LBB20_1790:
	s_mov_b64 s[0:1], 0
	s_branch .LBB20_1792
.LBB20_1791:
	s_mov_b64 s[0:1], -1
	s_mov_b64 s[4:5], 0
.LBB20_1792:
	s_and_b64 vcc, exec, s[0:1]
	s_cbranch_vccz .LBB20_1831
; %bb.1793:
	s_and_b32 s2, 0xffff, s20
	s_cmp_lt_i32 s2, 5
	s_mov_b64 s[0:1], -1
	s_cbranch_scc1 .LBB20_1814
; %bb.1794:
	s_cmp_lt_i32 s2, 8
	s_cbranch_scc1 .LBB20_1804
; %bb.1795:
	s_cmp_lt_i32 s2, 9
	s_cbranch_scc1 .LBB20_1801
; %bb.1796:
	s_cmp_gt_i32 s2, 9
	s_cbranch_scc0 .LBB20_1798
; %bb.1797:
	v_cvt_f64_f32_e32 v[9:10], v0
	v_mov_b32_e32 v11, 0
	v_mov_b32_e32 v12, v11
	s_mov_b64 s[0:1], 0
	global_store_dwordx4 v[7:8], v[9:12], off
.LBB20_1798:
	s_andn2_b64 vcc, exec, s[0:1]
	s_cbranch_vccnz .LBB20_1800
; %bb.1799:
	v_mov_b32_e32 v1, 0
	global_store_dwordx2 v[7:8], v[0:1], off
.LBB20_1800:
	s_mov_b64 s[0:1], 0
.LBB20_1801:
	s_andn2_b64 vcc, exec, s[0:1]
	s_cbranch_vccnz .LBB20_1803
; %bb.1802:
	v_cvt_f16_f32_e32 v1, v0
	global_store_dword v[7:8], v1, off
.LBB20_1803:
	s_mov_b64 s[0:1], 0
.LBB20_1804:
	s_andn2_b64 vcc, exec, s[0:1]
	s_cbranch_vccnz .LBB20_1813
; %bb.1805:
	s_cmp_lt_i32 s2, 6
	s_mov_b64 s[0:1], -1
	s_cbranch_scc1 .LBB20_1811
; %bb.1806:
	s_cmp_gt_i32 s2, 6
	s_cbranch_scc0 .LBB20_1808
; %bb.1807:
	v_cvt_f64_f32_e32 v[9:10], v0
	s_mov_b64 s[0:1], 0
	global_store_dwordx2 v[7:8], v[9:10], off
.LBB20_1808:
	s_andn2_b64 vcc, exec, s[0:1]
	s_cbranch_vccnz .LBB20_1810
; %bb.1809:
	global_store_dword v[7:8], v0, off
.LBB20_1810:
	s_mov_b64 s[0:1], 0
.LBB20_1811:
	s_andn2_b64 vcc, exec, s[0:1]
	s_cbranch_vccnz .LBB20_1813
; %bb.1812:
	v_cvt_f16_f32_e32 v1, v0
	global_store_short v[7:8], v1, off
.LBB20_1813:
	s_mov_b64 s[0:1], 0
.LBB20_1814:
	s_andn2_b64 vcc, exec, s[0:1]
	s_cbranch_vccnz .LBB20_1830
; %bb.1815:
	s_cmp_lt_i32 s2, 2
	s_mov_b64 s[0:1], -1
	s_cbranch_scc1 .LBB20_1825
; %bb.1816:
	s_cmp_lt_i32 s2, 3
	s_cbranch_scc1 .LBB20_1822
; %bb.1817:
	s_cmp_gt_i32 s2, 3
	s_cbranch_scc0 .LBB20_1819
; %bb.1818:
	v_trunc_f32_e32 v1, v0
	s_mov_b32 s0, 0x2f800000
	v_mul_f32_e64 v5, |v1|, s0
	v_floor_f32_e32 v5, v5
	s_mov_b32 s0, 0xcf800000
	v_cvt_u32_f32_e32 v9, v5
	v_fma_f32 v5, v5, s0, |v1|
	v_cvt_u32_f32_e32 v5, v5
	v_ashrrev_i32_e32 v1, 31, v1
	v_xor_b32_e32 v10, v9, v1
	s_mov_b64 s[0:1], 0
	v_xor_b32_e32 v5, v5, v1
	v_sub_co_u32_e32 v9, vcc, v5, v1
	v_subb_co_u32_e32 v10, vcc, v10, v1, vcc
	global_store_dwordx2 v[7:8], v[9:10], off
.LBB20_1819:
	s_andn2_b64 vcc, exec, s[0:1]
	s_cbranch_vccnz .LBB20_1821
; %bb.1820:
	v_cvt_i32_f32_e32 v1, v0
	global_store_dword v[7:8], v1, off
.LBB20_1821:
	s_mov_b64 s[0:1], 0
.LBB20_1822:
	s_andn2_b64 vcc, exec, s[0:1]
	s_cbranch_vccnz .LBB20_1824
; %bb.1823:
	v_cvt_i32_f32_e32 v1, v0
	global_store_short v[7:8], v1, off
.LBB20_1824:
	s_mov_b64 s[0:1], 0
.LBB20_1825:
	s_andn2_b64 vcc, exec, s[0:1]
	s_cbranch_vccnz .LBB20_1830
; %bb.1826:
	s_cmp_gt_i32 s2, 0
	s_mov_b64 s[0:1], -1
	s_cbranch_scc0 .LBB20_1828
; %bb.1827:
	v_cvt_i32_f32_e32 v1, v0
	s_mov_b64 s[0:1], 0
	global_store_byte v[7:8], v1, off
.LBB20_1828:
	s_andn2_b64 vcc, exec, s[0:1]
	s_cbranch_vccnz .LBB20_1830
; %bb.1829:
	v_trunc_f32_e32 v0, v0
	s_mov_b32 s0, 0x2f800000
	v_mul_f32_e64 v1, |v0|, s0
	v_floor_f32_e32 v1, v1
	s_mov_b32 s0, 0xcf800000
	v_fma_f32 v1, v1, s0, |v0|
	v_cvt_u32_f32_e32 v1, v1
	v_ashrrev_i32_e32 v0, 31, v0
	v_xor_b32_e32 v1, v1, v0
	v_sub_u32_e32 v0, v1, v0
	global_store_byte v[7:8], v0, off
.LBB20_1830:
	s_mov_b64 s[4:5], -1
.LBB20_1831:
	s_andn2_b64 vcc, exec, s[4:5]
	s_cbranch_vccnz .LBB20_2146
; %bb.1832:
	s_lshl_b32 s14, s12, 7
	v_add_u32_e32 v5, s14, v3
	v_ashrrev_i32_e32 v1, 31, v5
	v_mov_b32_e32 v3, s9
	v_add_co_u32_e32 v0, vcc, s8, v5
	s_cmp_lt_i32 s20, 11
	v_addc_co_u32_e32 v1, vcc, v3, v1, vcc
	s_cbranch_scc1 .LBB20_1910
; %bb.1833:
	s_and_b32 s15, 0xffff, s20
	s_mov_b64 s[10:11], -1
	s_mov_b64 s[2:3], 0
	s_cmp_gt_i32 s15, 25
	s_mov_b64 s[4:5], 0
	s_mov_b64 s[0:1], 0
	s_cbranch_scc0 .LBB20_1866
; %bb.1834:
	s_cmp_gt_i32 s15, 28
	s_cbranch_scc0 .LBB20_1849
; %bb.1835:
	s_cmp_gt_i32 s15, 43
	;; [unrolled: 3-line block ×3, first 2 shown]
	s_cbranch_scc0 .LBB20_1839
; %bb.1837:
	s_mov_b64 s[0:1], -1
	s_mov_b64 s[10:11], 0
	s_cmp_eq_u32 s15, 46
	s_cbranch_scc0 .LBB20_1839
; %bb.1838:
	v_bfe_u32 v3, v2, 16, 1
	s_movk_i32 s0, 0x7fff
	v_add3_u32 v3, v2, v3, s0
	v_cmp_o_f32_e32 vcc, v2, v2
	v_mov_b32_e32 v7, 0x7fc0
	v_cndmask_b32_sdwa v3, v7, v3, vcc dst_sel:DWORD dst_unused:UNUSED_PAD src0_sel:DWORD src1_sel:WORD_1
	global_store_dword v[0:1], v3, off
	s_mov_b64 s[0:1], 0
	s_mov_b64 s[4:5], -1
.LBB20_1839:
	s_and_b64 vcc, exec, s[10:11]
	s_cbranch_vccz .LBB20_1844
; %bb.1840:
	s_cmp_eq_u32 s15, 44
	s_mov_b64 s[0:1], -1
	s_cbranch_scc0 .LBB20_1844
; %bb.1841:
	v_bfe_u32 v3, v2, 23, 8
	s_movk_i32 s0, 0xff
	v_cmp_ne_u32_e32 vcc, s0, v3
	v_mov_b32_e32 v7, 0xff
	s_and_saveexec_b64 s[4:5], vcc
; %bb.1842:
	s_mov_b32 s0, 0x3fffff
	v_and_b32_e32 v8, 0x400000, v2
	v_and_or_b32 v3, v2, s0, v3
	v_cmp_ne_u32_e32 vcc, 0, v8
	v_cmp_ne_u32_e64 s[0:1], 0, v3
	s_and_b64 s[0:1], vcc, s[0:1]
	v_lshrrev_b32_e32 v7, 23, v2
	v_cndmask_b32_e64 v3, 0, 1, s[0:1]
	v_add_u32_e32 v7, v7, v3
; %bb.1843:
	s_or_b64 exec, exec, s[4:5]
	s_mov_b64 s[0:1], 0
	s_mov_b64 s[4:5], -1
	global_store_byte v[0:1], v7, off
.LBB20_1844:
	s_mov_b64 s[10:11], 0
.LBB20_1845:
	s_and_b64 vcc, exec, s[10:11]
	s_cbranch_vccz .LBB20_1848
; %bb.1846:
	s_cmp_eq_u32 s15, 29
	s_mov_b64 s[0:1], -1
	s_cbranch_scc0 .LBB20_1848
; %bb.1847:
	v_trunc_f32_e32 v3, v2
	v_mul_f32_e32 v7, 0x2f800000, v3
	v_floor_f32_e32 v7, v7
	v_fmac_f32_e32 v3, 0xcf800000, v7
	v_cvt_u32_f32_e32 v8, v7
	v_cvt_u32_f32_e32 v7, v3
	s_mov_b64 s[0:1], 0
	s_mov_b64 s[4:5], -1
	global_store_dwordx2 v[0:1], v[7:8], off
.LBB20_1848:
	s_mov_b64 s[10:11], 0
.LBB20_1849:
	s_and_b64 vcc, exec, s[10:11]
	s_cbranch_vccz .LBB20_1865
; %bb.1850:
	s_cmp_lt_i32 s15, 27
	s_mov_b64 s[4:5], -1
	s_cbranch_scc1 .LBB20_1856
; %bb.1851:
	v_cvt_u32_f32_e32 v3, v2
	s_cmp_gt_i32 s15, 27
	s_cbranch_scc0 .LBB20_1853
; %bb.1852:
	s_mov_b64 s[4:5], 0
	global_store_dword v[0:1], v3, off
.LBB20_1853:
	s_andn2_b64 vcc, exec, s[4:5]
	s_cbranch_vccnz .LBB20_1855
; %bb.1854:
	global_store_short v[0:1], v3, off
.LBB20_1855:
	s_mov_b64 s[4:5], 0
.LBB20_1856:
	s_andn2_b64 vcc, exec, s[4:5]
	s_cbranch_vccnz .LBB20_1864
; %bb.1857:
	v_and_b32_e32 v3, 0x7fffffff, v2
	s_mov_b32 s4, 0x43800000
	v_cmp_gt_u32_e32 vcc, s4, v3
	v_mov_b32_e32 v7, 0x80
	s_and_saveexec_b64 s[4:5], vcc
	s_cbranch_execz .LBB20_1863
; %bb.1858:
	s_mov_b32 s10, 0x3bffffff
	v_cmp_lt_u32_e32 vcc, s10, v3
	s_mov_b64 s[10:11], 0
                                        ; implicit-def: $vgpr3
	s_and_saveexec_b64 s[12:13], vcc
	s_xor_b64 s[12:13], exec, s[12:13]
	s_cbranch_execz .LBB20_2154
; %bb.1859:
	v_bfe_u32 v3, v2, 20, 1
	s_mov_b32 s21, 0x487ffff
	v_add3_u32 v3, v2, v3, s21
	s_mov_b64 s[10:11], exec
	v_lshrrev_b32_e32 v3, 20, v3
	s_andn2_saveexec_b64 s[12:13], s[12:13]
	s_cbranch_execnz .LBB20_2155
.LBB20_1860:
	s_or_b64 exec, exec, s[12:13]
	v_mov_b32_e32 v7, 0
	s_and_saveexec_b64 s[12:13], s[10:11]
.LBB20_1861:
	v_lshrrev_b32_e32 v7, 24, v2
	s_movk_i32 s10, 0x80
	v_and_or_b32 v7, v7, s10, v3
.LBB20_1862:
	s_or_b64 exec, exec, s[12:13]
.LBB20_1863:
	s_or_b64 exec, exec, s[4:5]
	global_store_byte v[0:1], v7, off
.LBB20_1864:
	s_mov_b64 s[4:5], -1
.LBB20_1865:
	s_mov_b64 s[10:11], 0
.LBB20_1866:
	s_and_b64 vcc, exec, s[10:11]
	s_cbranch_vccz .LBB20_1906
; %bb.1867:
	s_cmp_gt_i32 s15, 22
	s_mov_b64 s[2:3], -1
	s_cbranch_scc0 .LBB20_1899
; %bb.1868:
	s_cmp_lt_i32 s15, 24
	s_cbranch_scc1 .LBB20_1888
; %bb.1869:
	s_cmp_gt_i32 s15, 24
	s_cbranch_scc0 .LBB20_1877
; %bb.1870:
	v_and_b32_e32 v3, 0x7fffffff, v2
	s_mov_b32 s2, 0x47800000
	v_cmp_gt_u32_e32 vcc, s2, v3
	v_mov_b32_e32 v7, 0x80
	s_and_saveexec_b64 s[2:3], vcc
	s_cbranch_execz .LBB20_1876
; %bb.1871:
	s_mov_b32 s4, 0x37ffffff
	v_cmp_lt_u32_e32 vcc, s4, v3
	s_mov_b64 s[4:5], 0
                                        ; implicit-def: $vgpr3
	s_and_saveexec_b64 s[10:11], vcc
	s_xor_b64 s[10:11], exec, s[10:11]
	s_cbranch_execz .LBB20_2157
; %bb.1872:
	v_bfe_u32 v3, v2, 21, 1
	s_mov_b32 s12, 0x88fffff
	v_add3_u32 v3, v2, v3, s12
	s_mov_b64 s[4:5], exec
	v_lshrrev_b32_e32 v3, 21, v3
	s_andn2_saveexec_b64 s[10:11], s[10:11]
	s_cbranch_execnz .LBB20_2158
.LBB20_1873:
	s_or_b64 exec, exec, s[10:11]
	v_mov_b32_e32 v7, 0
	s_and_saveexec_b64 s[10:11], s[4:5]
.LBB20_1874:
	v_lshrrev_b32_e32 v7, 24, v2
	s_movk_i32 s4, 0x80
	v_and_or_b32 v7, v7, s4, v3
.LBB20_1875:
	s_or_b64 exec, exec, s[10:11]
.LBB20_1876:
	s_or_b64 exec, exec, s[2:3]
	s_mov_b64 s[2:3], 0
	global_store_byte v[0:1], v7, off
.LBB20_1877:
	s_and_b64 vcc, exec, s[2:3]
	s_cbranch_vccz .LBB20_1887
; %bb.1878:
	v_and_b32_e32 v7, 0x7fffffff, v2
	s_mov_b32 s2, 0x43f00000
	v_cmp_gt_u32_e32 vcc, s2, v7
                                        ; implicit-def: $vgpr3
	s_and_saveexec_b64 s[2:3], vcc
	s_xor_b64 s[2:3], exec, s[2:3]
	s_cbranch_execz .LBB20_1884
; %bb.1879:
	s_mov_b32 s4, 0x3c7fffff
	v_cmp_lt_u32_e32 vcc, s4, v7
                                        ; implicit-def: $vgpr3
	s_and_saveexec_b64 s[4:5], vcc
	s_xor_b64 s[4:5], exec, s[4:5]
; %bb.1880:
	v_bfe_u32 v3, v2, 20, 1
	s_mov_b32 s10, 0x407ffff
	v_add3_u32 v3, v2, v3, s10
	v_lshrrev_b32_e32 v7, 20, v3
	v_and_b32_e32 v3, 0xff00000, v3
	s_mov_b32 s10, 0x7f00000
	v_mov_b32_e32 v8, 0x7e
	v_cmp_ne_u32_e32 vcc, s10, v3
	v_cndmask_b32_e32 v3, v8, v7, vcc
; %bb.1881:
	s_andn2_saveexec_b64 s[4:5], s[4:5]
; %bb.1882:
	s_mov_b32 s10, 0x46800000
	v_add_f32_e64 v3, |v2|, s10
; %bb.1883:
	s_or_b64 exec, exec, s[4:5]
                                        ; implicit-def: $vgpr7
.LBB20_1884:
	s_andn2_saveexec_b64 s[2:3], s[2:3]
; %bb.1885:
	s_mov_b32 s4, 0x7f800000
	v_mov_b32_e32 v3, 0x7e
	v_mov_b32_e32 v8, 0x7f
	v_cmp_lt_u32_e32 vcc, s4, v7
	v_cndmask_b32_e32 v3, v3, v8, vcc
; %bb.1886:
	s_or_b64 exec, exec, s[2:3]
	v_lshrrev_b32_e32 v7, 24, v2
	s_movk_i32 s2, 0x80
	v_and_or_b32 v3, v7, s2, v3
	global_store_byte v[0:1], v3, off
.LBB20_1887:
	s_mov_b64 s[2:3], 0
.LBB20_1888:
	s_andn2_b64 vcc, exec, s[2:3]
	s_cbranch_vccnz .LBB20_1898
; %bb.1889:
	v_and_b32_e32 v7, 0x7fffffff, v2
	s_mov_b32 s2, 0x47800000
	v_cmp_gt_u32_e32 vcc, s2, v7
                                        ; implicit-def: $vgpr3
	s_and_saveexec_b64 s[2:3], vcc
	s_xor_b64 s[2:3], exec, s[2:3]
	s_cbranch_execz .LBB20_1895
; %bb.1890:
	s_mov_b32 s4, 0x387fffff
	v_cmp_lt_u32_e32 vcc, s4, v7
                                        ; implicit-def: $vgpr3
	s_and_saveexec_b64 s[4:5], vcc
	s_xor_b64 s[4:5], exec, s[4:5]
; %bb.1891:
	v_bfe_u32 v3, v2, 21, 1
	s_mov_b32 s10, 0x80fffff
	v_add3_u32 v3, v2, v3, s10
	v_lshrrev_b32_e32 v3, 21, v3
; %bb.1892:
	s_andn2_saveexec_b64 s[4:5], s[4:5]
; %bb.1893:
	s_mov_b32 s10, 0x43000000
	v_add_f32_e64 v3, |v2|, s10
; %bb.1894:
	s_or_b64 exec, exec, s[4:5]
                                        ; implicit-def: $vgpr7
.LBB20_1895:
	s_andn2_saveexec_b64 s[2:3], s[2:3]
; %bb.1896:
	s_mov_b32 s4, 0x7f800000
	v_mov_b32_e32 v3, 0x7c
	v_mov_b32_e32 v8, 0x7f
	v_cmp_lt_u32_e32 vcc, s4, v7
	v_cndmask_b32_e32 v3, v3, v8, vcc
; %bb.1897:
	s_or_b64 exec, exec, s[2:3]
	v_lshrrev_b32_e32 v7, 24, v2
	s_movk_i32 s2, 0x80
	v_and_or_b32 v3, v7, s2, v3
	global_store_byte v[0:1], v3, off
.LBB20_1898:
	s_mov_b64 s[2:3], 0
	s_mov_b64 s[4:5], -1
.LBB20_1899:
	s_andn2_b64 vcc, exec, s[2:3]
	s_mov_b64 s[2:3], 0
	s_cbranch_vccnz .LBB20_1906
; %bb.1900:
	s_cmp_gt_i32 s15, 14
	s_mov_b64 s[10:11], -1
	s_cbranch_scc0 .LBB20_1904
; %bb.1901:
	s_cmp_eq_u32 s15, 15
	s_mov_b64 s[0:1], -1
	s_cbranch_scc0 .LBB20_1903
; %bb.1902:
	v_bfe_u32 v3, v2, 16, 1
	s_movk_i32 s0, 0x7fff
	v_add3_u32 v3, v2, v3, s0
	v_cmp_o_f32_e32 vcc, v2, v2
	v_mov_b32_e32 v7, 0x7fc0
	v_cndmask_b32_sdwa v3, v7, v3, vcc dst_sel:DWORD dst_unused:UNUSED_PAD src0_sel:DWORD src1_sel:WORD_1
	global_store_short v[0:1], v3, off
	s_mov_b64 s[0:1], 0
	s_mov_b64 s[4:5], -1
.LBB20_1903:
	s_mov_b64 s[10:11], 0
.LBB20_1904:
	s_and_b64 vcc, exec, s[10:11]
	s_cbranch_vccz .LBB20_1906
; %bb.1905:
	s_cmp_lg_u32 s15, 11
	s_mov_b64 s[2:3], -1
	s_cselect_b64 s[0:1], -1, 0
.LBB20_1906:
	s_and_b64 vcc, exec, s[0:1]
	s_cbranch_vccnz .LBB20_2156
; %bb.1907:
	s_andn2_b64 vcc, exec, s[2:3]
	s_cbranch_vccnz .LBB20_1909
.LBB20_1908:
	v_cmp_neq_f32_e32 vcc, 0, v2
	v_cndmask_b32_e64 v3, 0, 1, vcc
	s_mov_b64 s[4:5], -1
	global_store_byte v[0:1], v3, off
.LBB20_1909:
	s_mov_b64 s[0:1], 0
	s_branch .LBB20_1911
.LBB20_1910:
	s_mov_b64 s[0:1], -1
	s_mov_b64 s[4:5], 0
.LBB20_1911:
	s_and_b64 vcc, exec, s[0:1]
	s_cbranch_vccz .LBB20_1950
; %bb.1912:
	s_and_b32 s2, 0xffff, s20
	s_cmp_lt_i32 s2, 5
	s_mov_b64 s[0:1], -1
	s_cbranch_scc1 .LBB20_1933
; %bb.1913:
	s_cmp_lt_i32 s2, 8
	s_cbranch_scc1 .LBB20_1923
; %bb.1914:
	s_cmp_lt_i32 s2, 9
	s_cbranch_scc1 .LBB20_1920
; %bb.1915:
	s_cmp_gt_i32 s2, 9
	s_cbranch_scc0 .LBB20_1917
; %bb.1916:
	v_cvt_f64_f32_e32 v[7:8], v2
	v_mov_b32_e32 v9, 0
	v_mov_b32_e32 v10, v9
	s_mov_b64 s[0:1], 0
	global_store_dwordx4 v[0:1], v[7:10], off
.LBB20_1917:
	s_andn2_b64 vcc, exec, s[0:1]
	s_cbranch_vccnz .LBB20_1919
; %bb.1918:
	v_mov_b32_e32 v3, 0
	global_store_dwordx2 v[0:1], v[2:3], off
.LBB20_1919:
	s_mov_b64 s[0:1], 0
.LBB20_1920:
	s_andn2_b64 vcc, exec, s[0:1]
	s_cbranch_vccnz .LBB20_1922
; %bb.1921:
	v_cvt_f16_f32_e32 v3, v2
	global_store_dword v[0:1], v3, off
.LBB20_1922:
	s_mov_b64 s[0:1], 0
.LBB20_1923:
	s_andn2_b64 vcc, exec, s[0:1]
	s_cbranch_vccnz .LBB20_1932
; %bb.1924:
	s_cmp_lt_i32 s2, 6
	s_mov_b64 s[0:1], -1
	s_cbranch_scc1 .LBB20_1930
; %bb.1925:
	s_cmp_gt_i32 s2, 6
	s_cbranch_scc0 .LBB20_1927
; %bb.1926:
	v_cvt_f64_f32_e32 v[7:8], v2
	s_mov_b64 s[0:1], 0
	global_store_dwordx2 v[0:1], v[7:8], off
.LBB20_1927:
	s_andn2_b64 vcc, exec, s[0:1]
	s_cbranch_vccnz .LBB20_1929
; %bb.1928:
	global_store_dword v[0:1], v2, off
.LBB20_1929:
	s_mov_b64 s[0:1], 0
.LBB20_1930:
	s_andn2_b64 vcc, exec, s[0:1]
	s_cbranch_vccnz .LBB20_1932
; %bb.1931:
	v_cvt_f16_f32_e32 v3, v2
	global_store_short v[0:1], v3, off
.LBB20_1932:
	s_mov_b64 s[0:1], 0
.LBB20_1933:
	s_andn2_b64 vcc, exec, s[0:1]
	s_cbranch_vccnz .LBB20_1949
; %bb.1934:
	s_cmp_lt_i32 s2, 2
	s_mov_b64 s[0:1], -1
	s_cbranch_scc1 .LBB20_1944
; %bb.1935:
	s_cmp_lt_i32 s2, 3
	s_cbranch_scc1 .LBB20_1941
; %bb.1936:
	s_cmp_gt_i32 s2, 3
	s_cbranch_scc0 .LBB20_1938
; %bb.1937:
	v_trunc_f32_e32 v3, v2
	s_mov_b32 s0, 0x2f800000
	v_mul_f32_e64 v7, |v3|, s0
	v_floor_f32_e32 v7, v7
	s_mov_b32 s0, 0xcf800000
	v_cvt_u32_f32_e32 v8, v7
	v_fma_f32 v7, v7, s0, |v3|
	v_cvt_u32_f32_e32 v7, v7
	v_ashrrev_i32_e32 v3, 31, v3
	v_xor_b32_e32 v8, v8, v3
	s_mov_b64 s[0:1], 0
	v_xor_b32_e32 v7, v7, v3
	v_sub_co_u32_e32 v7, vcc, v7, v3
	v_subb_co_u32_e32 v8, vcc, v8, v3, vcc
	global_store_dwordx2 v[0:1], v[7:8], off
.LBB20_1938:
	s_andn2_b64 vcc, exec, s[0:1]
	s_cbranch_vccnz .LBB20_1940
; %bb.1939:
	v_cvt_i32_f32_e32 v3, v2
	global_store_dword v[0:1], v3, off
.LBB20_1940:
	s_mov_b64 s[0:1], 0
.LBB20_1941:
	s_andn2_b64 vcc, exec, s[0:1]
	s_cbranch_vccnz .LBB20_1943
; %bb.1942:
	v_cvt_i32_f32_e32 v3, v2
	global_store_short v[0:1], v3, off
.LBB20_1943:
	s_mov_b64 s[0:1], 0
.LBB20_1944:
	s_andn2_b64 vcc, exec, s[0:1]
	s_cbranch_vccnz .LBB20_1949
; %bb.1945:
	s_cmp_gt_i32 s2, 0
	s_mov_b64 s[0:1], -1
	s_cbranch_scc0 .LBB20_1947
; %bb.1946:
	v_cvt_i32_f32_e32 v3, v2
	s_mov_b64 s[0:1], 0
	global_store_byte v[0:1], v3, off
.LBB20_1947:
	s_andn2_b64 vcc, exec, s[0:1]
	s_cbranch_vccnz .LBB20_1949
; %bb.1948:
	v_trunc_f32_e32 v2, v2
	s_mov_b32 s0, 0x2f800000
	v_mul_f32_e64 v3, |v2|, s0
	v_floor_f32_e32 v3, v3
	s_mov_b32 s0, 0xcf800000
	v_fma_f32 v3, v3, s0, |v2|
	v_cvt_u32_f32_e32 v3, v3
	v_ashrrev_i32_e32 v2, 31, v2
	v_xor_b32_e32 v3, v3, v2
	v_sub_u32_e32 v2, v3, v2
	global_store_byte v[0:1], v2, off
.LBB20_1949:
	s_mov_b64 s[4:5], -1
.LBB20_1950:
	s_andn2_b64 vcc, exec, s[4:5]
	s_cbranch_vccnz .LBB20_2146
; %bb.1951:
	v_add_u32_e32 v2, s14, v5
	v_ashrrev_i32_e32 v1, 31, v2
	v_mov_b32_e32 v3, s9
	v_add_co_u32_e32 v0, vcc, s8, v2
	s_cmp_lt_i32 s20, 11
	v_addc_co_u32_e32 v1, vcc, v3, v1, vcc
	s_cbranch_scc1 .LBB20_2029
; %bb.1952:
	s_and_b32 s15, 0xffff, s20
	s_mov_b64 s[10:11], -1
	s_mov_b64 s[2:3], 0
	s_cmp_gt_i32 s15, 25
	s_mov_b64 s[4:5], 0
	s_mov_b64 s[0:1], 0
	s_cbranch_scc0 .LBB20_1985
; %bb.1953:
	s_cmp_gt_i32 s15, 28
	s_cbranch_scc0 .LBB20_1968
; %bb.1954:
	s_cmp_gt_i32 s15, 43
	;; [unrolled: 3-line block ×3, first 2 shown]
	s_cbranch_scc0 .LBB20_1958
; %bb.1956:
	s_mov_b64 s[0:1], -1
	s_mov_b64 s[10:11], 0
	s_cmp_eq_u32 s15, 46
	s_cbranch_scc0 .LBB20_1958
; %bb.1957:
	v_bfe_u32 v3, v4, 16, 1
	s_movk_i32 s0, 0x7fff
	v_add3_u32 v3, v4, v3, s0
	v_cmp_o_f32_e32 vcc, v4, v4
	v_mov_b32_e32 v5, 0x7fc0
	v_cndmask_b32_sdwa v3, v5, v3, vcc dst_sel:DWORD dst_unused:UNUSED_PAD src0_sel:DWORD src1_sel:WORD_1
	global_store_dword v[0:1], v3, off
	s_mov_b64 s[0:1], 0
	s_mov_b64 s[4:5], -1
.LBB20_1958:
	s_and_b64 vcc, exec, s[10:11]
	s_cbranch_vccz .LBB20_1963
; %bb.1959:
	s_cmp_eq_u32 s15, 44
	s_mov_b64 s[0:1], -1
	s_cbranch_scc0 .LBB20_1963
; %bb.1960:
	v_bfe_u32 v3, v4, 23, 8
	s_movk_i32 s0, 0xff
	v_cmp_ne_u32_e32 vcc, s0, v3
	v_mov_b32_e32 v5, 0xff
	s_and_saveexec_b64 s[4:5], vcc
; %bb.1961:
	s_mov_b32 s0, 0x3fffff
	v_and_b32_e32 v7, 0x400000, v4
	v_and_or_b32 v3, v4, s0, v3
	v_cmp_ne_u32_e32 vcc, 0, v7
	v_cmp_ne_u32_e64 s[0:1], 0, v3
	s_and_b64 s[0:1], vcc, s[0:1]
	v_lshrrev_b32_e32 v5, 23, v4
	v_cndmask_b32_e64 v3, 0, 1, s[0:1]
	v_add_u32_e32 v5, v5, v3
; %bb.1962:
	s_or_b64 exec, exec, s[4:5]
	s_mov_b64 s[0:1], 0
	s_mov_b64 s[4:5], -1
	global_store_byte v[0:1], v5, off
.LBB20_1963:
	s_mov_b64 s[10:11], 0
.LBB20_1964:
	s_and_b64 vcc, exec, s[10:11]
	s_cbranch_vccz .LBB20_1967
; %bb.1965:
	s_cmp_eq_u32 s15, 29
	s_mov_b64 s[0:1], -1
	s_cbranch_scc0 .LBB20_1967
; %bb.1966:
	v_trunc_f32_e32 v3, v4
	v_mul_f32_e32 v5, 0x2f800000, v3
	v_floor_f32_e32 v5, v5
	v_fmac_f32_e32 v3, 0xcf800000, v5
	v_cvt_u32_f32_e32 v8, v5
	v_cvt_u32_f32_e32 v7, v3
	s_mov_b64 s[0:1], 0
	s_mov_b64 s[4:5], -1
	global_store_dwordx2 v[0:1], v[7:8], off
.LBB20_1967:
	s_mov_b64 s[10:11], 0
.LBB20_1968:
	s_and_b64 vcc, exec, s[10:11]
	s_cbranch_vccz .LBB20_1984
; %bb.1969:
	s_cmp_lt_i32 s15, 27
	s_mov_b64 s[4:5], -1
	s_cbranch_scc1 .LBB20_1975
; %bb.1970:
	v_cvt_u32_f32_e32 v3, v4
	s_cmp_gt_i32 s15, 27
	s_cbranch_scc0 .LBB20_1972
; %bb.1971:
	s_mov_b64 s[4:5], 0
	global_store_dword v[0:1], v3, off
.LBB20_1972:
	s_andn2_b64 vcc, exec, s[4:5]
	s_cbranch_vccnz .LBB20_1974
; %bb.1973:
	global_store_short v[0:1], v3, off
.LBB20_1974:
	s_mov_b64 s[4:5], 0
.LBB20_1975:
	s_andn2_b64 vcc, exec, s[4:5]
	s_cbranch_vccnz .LBB20_1983
; %bb.1976:
	v_and_b32_e32 v3, 0x7fffffff, v4
	s_mov_b32 s4, 0x43800000
	v_cmp_gt_u32_e32 vcc, s4, v3
	v_mov_b32_e32 v5, 0x80
	s_and_saveexec_b64 s[4:5], vcc
	s_cbranch_execz .LBB20_1982
; %bb.1977:
	s_mov_b32 s10, 0x3bffffff
	v_cmp_lt_u32_e32 vcc, s10, v3
	s_mov_b64 s[10:11], 0
                                        ; implicit-def: $vgpr3
	s_and_saveexec_b64 s[12:13], vcc
	s_xor_b64 s[12:13], exec, s[12:13]
	s_cbranch_execz .LBB20_2159
; %bb.1978:
	v_bfe_u32 v3, v4, 20, 1
	s_mov_b32 s21, 0x487ffff
	v_add3_u32 v3, v4, v3, s21
	s_mov_b64 s[10:11], exec
	v_lshrrev_b32_e32 v3, 20, v3
	s_andn2_saveexec_b64 s[12:13], s[12:13]
	s_cbranch_execnz .LBB20_2160
.LBB20_1979:
	s_or_b64 exec, exec, s[12:13]
	v_mov_b32_e32 v5, 0
	s_and_saveexec_b64 s[12:13], s[10:11]
.LBB20_1980:
	v_lshrrev_b32_e32 v5, 24, v4
	s_movk_i32 s10, 0x80
	v_and_or_b32 v5, v5, s10, v3
.LBB20_1981:
	s_or_b64 exec, exec, s[12:13]
.LBB20_1982:
	s_or_b64 exec, exec, s[4:5]
	global_store_byte v[0:1], v5, off
.LBB20_1983:
	s_mov_b64 s[4:5], -1
.LBB20_1984:
	s_mov_b64 s[10:11], 0
.LBB20_1985:
	s_and_b64 vcc, exec, s[10:11]
	s_cbranch_vccz .LBB20_2025
; %bb.1986:
	s_cmp_gt_i32 s15, 22
	s_mov_b64 s[2:3], -1
	s_cbranch_scc0 .LBB20_2018
; %bb.1987:
	s_cmp_lt_i32 s15, 24
	s_cbranch_scc1 .LBB20_2007
; %bb.1988:
	s_cmp_gt_i32 s15, 24
	s_cbranch_scc0 .LBB20_1996
; %bb.1989:
	v_and_b32_e32 v3, 0x7fffffff, v4
	s_mov_b32 s2, 0x47800000
	v_cmp_gt_u32_e32 vcc, s2, v3
	v_mov_b32_e32 v5, 0x80
	s_and_saveexec_b64 s[2:3], vcc
	s_cbranch_execz .LBB20_1995
; %bb.1990:
	s_mov_b32 s4, 0x37ffffff
	v_cmp_lt_u32_e32 vcc, s4, v3
	s_mov_b64 s[4:5], 0
                                        ; implicit-def: $vgpr3
	s_and_saveexec_b64 s[10:11], vcc
	s_xor_b64 s[10:11], exec, s[10:11]
	s_cbranch_execz .LBB20_2162
; %bb.1991:
	v_bfe_u32 v3, v4, 21, 1
	s_mov_b32 s12, 0x88fffff
	v_add3_u32 v3, v4, v3, s12
	s_mov_b64 s[4:5], exec
	v_lshrrev_b32_e32 v3, 21, v3
	s_andn2_saveexec_b64 s[10:11], s[10:11]
	s_cbranch_execnz .LBB20_2163
.LBB20_1992:
	s_or_b64 exec, exec, s[10:11]
	v_mov_b32_e32 v5, 0
	s_and_saveexec_b64 s[10:11], s[4:5]
.LBB20_1993:
	v_lshrrev_b32_e32 v5, 24, v4
	s_movk_i32 s4, 0x80
	v_and_or_b32 v5, v5, s4, v3
.LBB20_1994:
	s_or_b64 exec, exec, s[10:11]
.LBB20_1995:
	s_or_b64 exec, exec, s[2:3]
	s_mov_b64 s[2:3], 0
	global_store_byte v[0:1], v5, off
.LBB20_1996:
	s_and_b64 vcc, exec, s[2:3]
	s_cbranch_vccz .LBB20_2006
; %bb.1997:
	v_and_b32_e32 v5, 0x7fffffff, v4
	s_mov_b32 s2, 0x43f00000
	v_cmp_gt_u32_e32 vcc, s2, v5
                                        ; implicit-def: $vgpr3
	s_and_saveexec_b64 s[2:3], vcc
	s_xor_b64 s[2:3], exec, s[2:3]
	s_cbranch_execz .LBB20_2003
; %bb.1998:
	s_mov_b32 s4, 0x3c7fffff
	v_cmp_lt_u32_e32 vcc, s4, v5
                                        ; implicit-def: $vgpr3
	s_and_saveexec_b64 s[4:5], vcc
	s_xor_b64 s[4:5], exec, s[4:5]
; %bb.1999:
	v_bfe_u32 v3, v4, 20, 1
	s_mov_b32 s10, 0x407ffff
	v_add3_u32 v3, v4, v3, s10
	v_lshrrev_b32_e32 v5, 20, v3
	v_and_b32_e32 v3, 0xff00000, v3
	s_mov_b32 s10, 0x7f00000
	v_mov_b32_e32 v7, 0x7e
	v_cmp_ne_u32_e32 vcc, s10, v3
	v_cndmask_b32_e32 v3, v7, v5, vcc
; %bb.2000:
	s_andn2_saveexec_b64 s[4:5], s[4:5]
; %bb.2001:
	s_mov_b32 s10, 0x46800000
	v_add_f32_e64 v3, |v4|, s10
; %bb.2002:
	s_or_b64 exec, exec, s[4:5]
                                        ; implicit-def: $vgpr5
.LBB20_2003:
	s_andn2_saveexec_b64 s[2:3], s[2:3]
; %bb.2004:
	s_mov_b32 s4, 0x7f800000
	v_mov_b32_e32 v3, 0x7e
	v_mov_b32_e32 v7, 0x7f
	v_cmp_lt_u32_e32 vcc, s4, v5
	v_cndmask_b32_e32 v3, v3, v7, vcc
; %bb.2005:
	s_or_b64 exec, exec, s[2:3]
	v_lshrrev_b32_e32 v5, 24, v4
	s_movk_i32 s2, 0x80
	v_and_or_b32 v3, v5, s2, v3
	global_store_byte v[0:1], v3, off
.LBB20_2006:
	s_mov_b64 s[2:3], 0
.LBB20_2007:
	s_andn2_b64 vcc, exec, s[2:3]
	s_cbranch_vccnz .LBB20_2017
; %bb.2008:
	v_and_b32_e32 v5, 0x7fffffff, v4
	s_mov_b32 s2, 0x47800000
	v_cmp_gt_u32_e32 vcc, s2, v5
                                        ; implicit-def: $vgpr3
	s_and_saveexec_b64 s[2:3], vcc
	s_xor_b64 s[2:3], exec, s[2:3]
	s_cbranch_execz .LBB20_2014
; %bb.2009:
	s_mov_b32 s4, 0x387fffff
	v_cmp_lt_u32_e32 vcc, s4, v5
                                        ; implicit-def: $vgpr3
	s_and_saveexec_b64 s[4:5], vcc
	s_xor_b64 s[4:5], exec, s[4:5]
; %bb.2010:
	v_bfe_u32 v3, v4, 21, 1
	s_mov_b32 s10, 0x80fffff
	v_add3_u32 v3, v4, v3, s10
	v_lshrrev_b32_e32 v3, 21, v3
; %bb.2011:
	s_andn2_saveexec_b64 s[4:5], s[4:5]
; %bb.2012:
	s_mov_b32 s10, 0x43000000
	v_add_f32_e64 v3, |v4|, s10
; %bb.2013:
	s_or_b64 exec, exec, s[4:5]
                                        ; implicit-def: $vgpr5
.LBB20_2014:
	s_andn2_saveexec_b64 s[2:3], s[2:3]
; %bb.2015:
	s_mov_b32 s4, 0x7f800000
	v_mov_b32_e32 v3, 0x7c
	v_mov_b32_e32 v7, 0x7f
	v_cmp_lt_u32_e32 vcc, s4, v5
	v_cndmask_b32_e32 v3, v3, v7, vcc
; %bb.2016:
	s_or_b64 exec, exec, s[2:3]
	v_lshrrev_b32_e32 v5, 24, v4
	s_movk_i32 s2, 0x80
	v_and_or_b32 v3, v5, s2, v3
	global_store_byte v[0:1], v3, off
.LBB20_2017:
	s_mov_b64 s[2:3], 0
	s_mov_b64 s[4:5], -1
.LBB20_2018:
	s_andn2_b64 vcc, exec, s[2:3]
	s_mov_b64 s[2:3], 0
	s_cbranch_vccnz .LBB20_2025
; %bb.2019:
	s_cmp_gt_i32 s15, 14
	s_mov_b64 s[10:11], -1
	s_cbranch_scc0 .LBB20_2023
; %bb.2020:
	s_cmp_eq_u32 s15, 15
	s_mov_b64 s[0:1], -1
	s_cbranch_scc0 .LBB20_2022
; %bb.2021:
	v_bfe_u32 v3, v4, 16, 1
	s_movk_i32 s0, 0x7fff
	v_add3_u32 v3, v4, v3, s0
	v_cmp_o_f32_e32 vcc, v4, v4
	v_mov_b32_e32 v5, 0x7fc0
	v_cndmask_b32_sdwa v3, v5, v3, vcc dst_sel:DWORD dst_unused:UNUSED_PAD src0_sel:DWORD src1_sel:WORD_1
	global_store_short v[0:1], v3, off
	s_mov_b64 s[0:1], 0
	s_mov_b64 s[4:5], -1
.LBB20_2022:
	s_mov_b64 s[10:11], 0
.LBB20_2023:
	s_and_b64 vcc, exec, s[10:11]
	s_cbranch_vccz .LBB20_2025
; %bb.2024:
	s_cmp_lg_u32 s15, 11
	s_mov_b64 s[2:3], -1
	s_cselect_b64 s[0:1], -1, 0
.LBB20_2025:
	s_and_b64 vcc, exec, s[0:1]
	s_cbranch_vccnz .LBB20_2161
; %bb.2026:
	s_andn2_b64 vcc, exec, s[2:3]
	s_cbranch_vccnz .LBB20_2028
.LBB20_2027:
	v_cmp_neq_f32_e32 vcc, 0, v4
	v_cndmask_b32_e64 v3, 0, 1, vcc
	s_mov_b64 s[4:5], -1
	global_store_byte v[0:1], v3, off
.LBB20_2028:
	s_mov_b64 s[0:1], 0
	s_branch .LBB20_2030
.LBB20_2029:
	s_mov_b64 s[0:1], -1
	s_mov_b64 s[4:5], 0
.LBB20_2030:
	s_and_b64 vcc, exec, s[0:1]
	s_cbranch_vccz .LBB20_2069
; %bb.2031:
	s_and_b32 s2, 0xffff, s20
	s_cmp_lt_i32 s2, 5
	s_mov_b64 s[0:1], -1
	s_cbranch_scc1 .LBB20_2052
; %bb.2032:
	s_cmp_lt_i32 s2, 8
	s_cbranch_scc1 .LBB20_2042
; %bb.2033:
	s_cmp_lt_i32 s2, 9
	s_cbranch_scc1 .LBB20_2039
; %bb.2034:
	s_cmp_gt_i32 s2, 9
	s_cbranch_scc0 .LBB20_2036
; %bb.2035:
	v_cvt_f64_f32_e32 v[7:8], v4
	v_mov_b32_e32 v9, 0
	v_mov_b32_e32 v10, v9
	s_mov_b64 s[0:1], 0
	global_store_dwordx4 v[0:1], v[7:10], off
.LBB20_2036:
	s_andn2_b64 vcc, exec, s[0:1]
	s_cbranch_vccnz .LBB20_2038
; %bb.2037:
	v_mov_b32_e32 v5, 0
	global_store_dwordx2 v[0:1], v[4:5], off
.LBB20_2038:
	s_mov_b64 s[0:1], 0
.LBB20_2039:
	s_andn2_b64 vcc, exec, s[0:1]
	s_cbranch_vccnz .LBB20_2041
; %bb.2040:
	v_cvt_f16_f32_e32 v3, v4
	global_store_dword v[0:1], v3, off
.LBB20_2041:
	s_mov_b64 s[0:1], 0
.LBB20_2042:
	s_andn2_b64 vcc, exec, s[0:1]
	s_cbranch_vccnz .LBB20_2051
; %bb.2043:
	s_cmp_lt_i32 s2, 6
	s_mov_b64 s[0:1], -1
	s_cbranch_scc1 .LBB20_2049
; %bb.2044:
	s_cmp_gt_i32 s2, 6
	s_cbranch_scc0 .LBB20_2046
; %bb.2045:
	v_cvt_f64_f32_e32 v[7:8], v4
	s_mov_b64 s[0:1], 0
	global_store_dwordx2 v[0:1], v[7:8], off
.LBB20_2046:
	s_andn2_b64 vcc, exec, s[0:1]
	s_cbranch_vccnz .LBB20_2048
; %bb.2047:
	global_store_dword v[0:1], v4, off
.LBB20_2048:
	s_mov_b64 s[0:1], 0
.LBB20_2049:
	s_andn2_b64 vcc, exec, s[0:1]
	s_cbranch_vccnz .LBB20_2051
; %bb.2050:
	v_cvt_f16_f32_e32 v3, v4
	global_store_short v[0:1], v3, off
.LBB20_2051:
	s_mov_b64 s[0:1], 0
.LBB20_2052:
	s_andn2_b64 vcc, exec, s[0:1]
	s_cbranch_vccnz .LBB20_2068
; %bb.2053:
	s_cmp_lt_i32 s2, 2
	s_mov_b64 s[0:1], -1
	s_cbranch_scc1 .LBB20_2063
; %bb.2054:
	s_cmp_lt_i32 s2, 3
	s_cbranch_scc1 .LBB20_2060
; %bb.2055:
	s_cmp_gt_i32 s2, 3
	s_cbranch_scc0 .LBB20_2057
; %bb.2056:
	v_trunc_f32_e32 v3, v4
	s_mov_b32 s0, 0x2f800000
	v_mul_f32_e64 v5, |v3|, s0
	v_floor_f32_e32 v5, v5
	s_mov_b32 s0, 0xcf800000
	v_cvt_u32_f32_e32 v7, v5
	v_fma_f32 v5, v5, s0, |v3|
	v_cvt_u32_f32_e32 v5, v5
	v_ashrrev_i32_e32 v3, 31, v3
	v_xor_b32_e32 v8, v7, v3
	s_mov_b64 s[0:1], 0
	v_xor_b32_e32 v5, v5, v3
	v_sub_co_u32_e32 v7, vcc, v5, v3
	v_subb_co_u32_e32 v8, vcc, v8, v3, vcc
	global_store_dwordx2 v[0:1], v[7:8], off
.LBB20_2057:
	s_andn2_b64 vcc, exec, s[0:1]
	s_cbranch_vccnz .LBB20_2059
; %bb.2058:
	v_cvt_i32_f32_e32 v3, v4
	global_store_dword v[0:1], v3, off
.LBB20_2059:
	s_mov_b64 s[0:1], 0
.LBB20_2060:
	s_andn2_b64 vcc, exec, s[0:1]
	s_cbranch_vccnz .LBB20_2062
; %bb.2061:
	v_cvt_i32_f32_e32 v3, v4
	global_store_short v[0:1], v3, off
.LBB20_2062:
	s_mov_b64 s[0:1], 0
.LBB20_2063:
	s_andn2_b64 vcc, exec, s[0:1]
	s_cbranch_vccnz .LBB20_2068
; %bb.2064:
	s_cmp_gt_i32 s2, 0
	s_mov_b64 s[0:1], -1
	s_cbranch_scc0 .LBB20_2066
; %bb.2065:
	v_cvt_i32_f32_e32 v3, v4
	s_mov_b64 s[0:1], 0
	global_store_byte v[0:1], v3, off
.LBB20_2066:
	s_andn2_b64 vcc, exec, s[0:1]
	s_cbranch_vccnz .LBB20_2068
; %bb.2067:
	v_trunc_f32_e32 v3, v4
	s_mov_b32 s0, 0x2f800000
	v_mul_f32_e64 v4, |v3|, s0
	v_floor_f32_e32 v4, v4
	s_mov_b32 s0, 0xcf800000
	v_fma_f32 v4, v4, s0, |v3|
	v_cvt_u32_f32_e32 v4, v4
	v_ashrrev_i32_e32 v3, 31, v3
	v_xor_b32_e32 v4, v4, v3
	v_sub_u32_e32 v3, v4, v3
	global_store_byte v[0:1], v3, off
.LBB20_2068:
	s_mov_b64 s[4:5], -1
.LBB20_2069:
	s_andn2_b64 vcc, exec, s[4:5]
	s_cbranch_vccnz .LBB20_2146
; %bb.2070:
	v_add_u32_e32 v0, s14, v2
	v_ashrrev_i32_e32 v1, 31, v0
	v_mov_b32_e32 v2, s9
	v_add_co_u32_e32 v0, vcc, s8, v0
	s_cmp_lt_i32 s20, 11
	v_addc_co_u32_e32 v1, vcc, v2, v1, vcc
	s_cbranch_scc1 .LBB20_2147
; %bb.2071:
	s_and_b32 s12, 0xffff, s20
	s_mov_b64 s[4:5], -1
	s_mov_b64 s[2:3], 0
	s_cmp_gt_i32 s12, 25
	s_mov_b64 s[0:1], 0
	s_cbranch_scc0 .LBB20_2104
; %bb.2072:
	s_cmp_gt_i32 s12, 28
	s_cbranch_scc0 .LBB20_2088
; %bb.2073:
	s_cmp_gt_i32 s12, 43
	;; [unrolled: 3-line block ×3, first 2 shown]
	s_cbranch_scc0 .LBB20_2078
; %bb.2075:
	s_cmp_eq_u32 s12, 46
	s_mov_b64 s[0:1], -1
	s_cbranch_scc0 .LBB20_2077
; %bb.2076:
	v_bfe_u32 v2, v6, 16, 1
	s_movk_i32 s0, 0x7fff
	v_add3_u32 v2, v6, v2, s0
	v_cmp_o_f32_e32 vcc, v6, v6
	v_mov_b32_e32 v3, 0x7fc0
	v_cndmask_b32_sdwa v2, v3, v2, vcc dst_sel:DWORD dst_unused:UNUSED_PAD src0_sel:DWORD src1_sel:WORD_1
	global_store_dword v[0:1], v2, off
	s_mov_b64 s[0:1], 0
.LBB20_2077:
	s_mov_b64 s[4:5], 0
.LBB20_2078:
	s_and_b64 vcc, exec, s[4:5]
	s_cbranch_vccz .LBB20_2083
; %bb.2079:
	s_cmp_eq_u32 s12, 44
	s_mov_b64 s[0:1], -1
	s_cbranch_scc0 .LBB20_2083
; %bb.2080:
	v_bfe_u32 v2, v6, 23, 8
	s_movk_i32 s0, 0xff
	v_cmp_ne_u32_e32 vcc, s0, v2
	v_mov_b32_e32 v3, 0xff
	s_and_saveexec_b64 s[4:5], vcc
; %bb.2081:
	s_mov_b32 s0, 0x3fffff
	v_and_b32_e32 v4, 0x400000, v6
	v_and_or_b32 v2, v6, s0, v2
	v_cmp_ne_u32_e32 vcc, 0, v4
	v_cmp_ne_u32_e64 s[0:1], 0, v2
	s_and_b64 s[0:1], vcc, s[0:1]
	v_lshrrev_b32_e32 v3, 23, v6
	v_cndmask_b32_e64 v2, 0, 1, s[0:1]
	v_add_u32_e32 v3, v3, v2
; %bb.2082:
	s_or_b64 exec, exec, s[4:5]
	s_mov_b64 s[0:1], 0
	global_store_byte v[0:1], v3, off
.LBB20_2083:
	s_mov_b64 s[4:5], 0
.LBB20_2084:
	s_and_b64 vcc, exec, s[4:5]
	s_cbranch_vccz .LBB20_2087
; %bb.2085:
	s_cmp_eq_u32 s12, 29
	s_mov_b64 s[0:1], -1
	s_cbranch_scc0 .LBB20_2087
; %bb.2086:
	v_trunc_f32_e32 v2, v6
	v_mul_f32_e32 v3, 0x2f800000, v2
	v_floor_f32_e32 v4, v3
	v_fmac_f32_e32 v2, 0xcf800000, v4
	v_cvt_u32_f32_e32 v3, v4
	v_cvt_u32_f32_e32 v2, v2
	s_mov_b64 s[0:1], 0
	global_store_dwordx2 v[0:1], v[2:3], off
.LBB20_2087:
	s_mov_b64 s[4:5], 0
.LBB20_2088:
	s_and_b64 vcc, exec, s[4:5]
	s_cbranch_vccz .LBB20_2103
; %bb.2089:
	s_cmp_lt_i32 s12, 27
	s_mov_b64 s[4:5], -1
	s_cbranch_scc1 .LBB20_2095
; %bb.2090:
	v_cvt_u32_f32_e32 v2, v6
	s_cmp_gt_i32 s12, 27
	s_cbranch_scc0 .LBB20_2092
; %bb.2091:
	global_store_dword v[0:1], v2, off
	s_mov_b64 s[4:5], 0
.LBB20_2092:
	s_andn2_b64 vcc, exec, s[4:5]
	s_cbranch_vccnz .LBB20_2094
; %bb.2093:
	global_store_short v[0:1], v2, off
.LBB20_2094:
	s_mov_b64 s[4:5], 0
.LBB20_2095:
	s_andn2_b64 vcc, exec, s[4:5]
	s_cbranch_vccnz .LBB20_2103
; %bb.2096:
	v_and_b32_e32 v2, 0x7fffffff, v6
	s_mov_b32 s4, 0x43800000
	v_cmp_gt_u32_e32 vcc, s4, v2
	v_mov_b32_e32 v3, 0x80
	s_and_saveexec_b64 s[4:5], vcc
	s_cbranch_execz .LBB20_2102
; %bb.2097:
	s_mov_b32 s8, 0x3bffffff
	v_cmp_lt_u32_e32 vcc, s8, v2
	s_mov_b64 s[8:9], 0
                                        ; implicit-def: $vgpr2
	s_and_saveexec_b64 s[10:11], vcc
	s_xor_b64 s[10:11], exec, s[10:11]
	s_cbranch_execz .LBB20_2164
; %bb.2098:
	v_bfe_u32 v2, v6, 20, 1
	s_mov_b32 s13, 0x487ffff
	v_add3_u32 v2, v6, v2, s13
	s_mov_b64 s[8:9], exec
	v_lshrrev_b32_e32 v2, 20, v2
	s_andn2_saveexec_b64 s[10:11], s[10:11]
	s_cbranch_execnz .LBB20_2165
.LBB20_2099:
	s_or_b64 exec, exec, s[10:11]
	v_mov_b32_e32 v3, 0
	s_and_saveexec_b64 s[10:11], s[8:9]
.LBB20_2100:
	v_lshrrev_b32_e32 v3, 24, v6
	s_movk_i32 s8, 0x80
	v_and_or_b32 v3, v3, s8, v2
.LBB20_2101:
	s_or_b64 exec, exec, s[10:11]
.LBB20_2102:
	s_or_b64 exec, exec, s[4:5]
	global_store_byte v[0:1], v3, off
.LBB20_2103:
	s_mov_b64 s[4:5], 0
.LBB20_2104:
	s_and_b64 vcc, exec, s[4:5]
	s_cbranch_vccz .LBB20_2144
; %bb.2105:
	s_cmp_gt_i32 s12, 22
	s_mov_b64 s[2:3], -1
	s_cbranch_scc0 .LBB20_2137
; %bb.2106:
	s_cmp_lt_i32 s12, 24
	s_cbranch_scc1 .LBB20_2126
; %bb.2107:
	s_cmp_gt_i32 s12, 24
	s_cbranch_scc0 .LBB20_2115
; %bb.2108:
	v_and_b32_e32 v2, 0x7fffffff, v6
	s_mov_b32 s2, 0x47800000
	v_cmp_gt_u32_e32 vcc, s2, v2
	v_mov_b32_e32 v3, 0x80
	s_and_saveexec_b64 s[2:3], vcc
	s_cbranch_execz .LBB20_2114
; %bb.2109:
	s_mov_b32 s4, 0x37ffffff
	v_cmp_lt_u32_e32 vcc, s4, v2
	s_mov_b64 s[4:5], 0
                                        ; implicit-def: $vgpr2
	s_and_saveexec_b64 s[8:9], vcc
	s_xor_b64 s[8:9], exec, s[8:9]
	s_cbranch_execz .LBB20_2167
; %bb.2110:
	v_bfe_u32 v2, v6, 21, 1
	s_mov_b32 s10, 0x88fffff
	v_add3_u32 v2, v6, v2, s10
	s_mov_b64 s[4:5], exec
	v_lshrrev_b32_e32 v2, 21, v2
	s_andn2_saveexec_b64 s[8:9], s[8:9]
	s_cbranch_execnz .LBB20_2168
.LBB20_2111:
	s_or_b64 exec, exec, s[8:9]
	v_mov_b32_e32 v3, 0
	s_and_saveexec_b64 s[8:9], s[4:5]
.LBB20_2112:
	v_lshrrev_b32_e32 v3, 24, v6
	s_movk_i32 s4, 0x80
	v_and_or_b32 v3, v3, s4, v2
.LBB20_2113:
	s_or_b64 exec, exec, s[8:9]
.LBB20_2114:
	s_or_b64 exec, exec, s[2:3]
	s_mov_b64 s[2:3], 0
	global_store_byte v[0:1], v3, off
.LBB20_2115:
	s_and_b64 vcc, exec, s[2:3]
	s_cbranch_vccz .LBB20_2125
; %bb.2116:
	v_and_b32_e32 v3, 0x7fffffff, v6
	s_mov_b32 s2, 0x43f00000
	v_cmp_gt_u32_e32 vcc, s2, v3
                                        ; implicit-def: $vgpr2
	s_and_saveexec_b64 s[2:3], vcc
	s_xor_b64 s[2:3], exec, s[2:3]
	s_cbranch_execz .LBB20_2122
; %bb.2117:
	s_mov_b32 s4, 0x3c7fffff
	v_cmp_lt_u32_e32 vcc, s4, v3
                                        ; implicit-def: $vgpr2
	s_and_saveexec_b64 s[4:5], vcc
	s_xor_b64 s[4:5], exec, s[4:5]
; %bb.2118:
	v_bfe_u32 v2, v6, 20, 1
	s_mov_b32 s8, 0x407ffff
	v_add3_u32 v2, v6, v2, s8
	v_lshrrev_b32_e32 v3, 20, v2
	v_and_b32_e32 v2, 0xff00000, v2
	s_mov_b32 s8, 0x7f00000
	v_mov_b32_e32 v4, 0x7e
	v_cmp_ne_u32_e32 vcc, s8, v2
	v_cndmask_b32_e32 v2, v4, v3, vcc
; %bb.2119:
	s_andn2_saveexec_b64 s[4:5], s[4:5]
; %bb.2120:
	s_mov_b32 s8, 0x46800000
	v_add_f32_e64 v2, |v6|, s8
; %bb.2121:
	s_or_b64 exec, exec, s[4:5]
                                        ; implicit-def: $vgpr3
.LBB20_2122:
	s_andn2_saveexec_b64 s[2:3], s[2:3]
; %bb.2123:
	s_mov_b32 s4, 0x7f800000
	v_mov_b32_e32 v2, 0x7e
	v_mov_b32_e32 v4, 0x7f
	v_cmp_lt_u32_e32 vcc, s4, v3
	v_cndmask_b32_e32 v2, v2, v4, vcc
; %bb.2124:
	s_or_b64 exec, exec, s[2:3]
	v_lshrrev_b32_e32 v3, 24, v6
	s_movk_i32 s2, 0x80
	v_and_or_b32 v2, v3, s2, v2
	global_store_byte v[0:1], v2, off
.LBB20_2125:
	s_mov_b64 s[2:3], 0
.LBB20_2126:
	s_andn2_b64 vcc, exec, s[2:3]
	s_cbranch_vccnz .LBB20_2136
; %bb.2127:
	v_and_b32_e32 v3, 0x7fffffff, v6
	s_mov_b32 s2, 0x47800000
	v_cmp_gt_u32_e32 vcc, s2, v3
                                        ; implicit-def: $vgpr2
	s_and_saveexec_b64 s[2:3], vcc
	s_xor_b64 s[2:3], exec, s[2:3]
	s_cbranch_execz .LBB20_2133
; %bb.2128:
	s_mov_b32 s4, 0x387fffff
	v_cmp_lt_u32_e32 vcc, s4, v3
                                        ; implicit-def: $vgpr2
	s_and_saveexec_b64 s[4:5], vcc
	s_xor_b64 s[4:5], exec, s[4:5]
; %bb.2129:
	v_bfe_u32 v2, v6, 21, 1
	s_mov_b32 s8, 0x80fffff
	v_add3_u32 v2, v6, v2, s8
	v_lshrrev_b32_e32 v2, 21, v2
; %bb.2130:
	s_andn2_saveexec_b64 s[4:5], s[4:5]
; %bb.2131:
	s_mov_b32 s8, 0x43000000
	v_add_f32_e64 v2, |v6|, s8
; %bb.2132:
	s_or_b64 exec, exec, s[4:5]
                                        ; implicit-def: $vgpr3
.LBB20_2133:
	s_andn2_saveexec_b64 s[2:3], s[2:3]
; %bb.2134:
	s_mov_b32 s4, 0x7f800000
	v_mov_b32_e32 v2, 0x7c
	v_mov_b32_e32 v4, 0x7f
	v_cmp_lt_u32_e32 vcc, s4, v3
	v_cndmask_b32_e32 v2, v2, v4, vcc
; %bb.2135:
	s_or_b64 exec, exec, s[2:3]
	v_lshrrev_b32_e32 v3, 24, v6
	s_movk_i32 s2, 0x80
	v_and_or_b32 v2, v3, s2, v2
	global_store_byte v[0:1], v2, off
.LBB20_2136:
	s_mov_b64 s[2:3], 0
.LBB20_2137:
	s_andn2_b64 vcc, exec, s[2:3]
	s_mov_b64 s[2:3], 0
	s_cbranch_vccnz .LBB20_2144
; %bb.2138:
	s_cmp_gt_i32 s12, 14
	s_mov_b64 s[4:5], -1
	s_cbranch_scc0 .LBB20_2142
; %bb.2139:
	s_cmp_eq_u32 s12, 15
	s_mov_b64 s[0:1], -1
	s_cbranch_scc0 .LBB20_2141
; %bb.2140:
	v_bfe_u32 v2, v6, 16, 1
	s_movk_i32 s0, 0x7fff
	v_add3_u32 v2, v6, v2, s0
	v_cmp_o_f32_e32 vcc, v6, v6
	v_mov_b32_e32 v3, 0x7fc0
	v_cndmask_b32_sdwa v2, v3, v2, vcc dst_sel:DWORD dst_unused:UNUSED_PAD src0_sel:DWORD src1_sel:WORD_1
	global_store_short v[0:1], v2, off
	s_mov_b64 s[0:1], 0
.LBB20_2141:
	s_mov_b64 s[4:5], 0
.LBB20_2142:
	s_and_b64 vcc, exec, s[4:5]
	s_cbranch_vccz .LBB20_2144
; %bb.2143:
	s_cmp_lg_u32 s12, 11
	s_mov_b64 s[2:3], -1
	s_cselect_b64 s[0:1], -1, 0
.LBB20_2144:
	s_and_b64 vcc, exec, s[0:1]
	s_cbranch_vccnz .LBB20_2166
.LBB20_2145:
	s_mov_b64 s[0:1], 0
	s_branch .LBB20_1662
.LBB20_2146:
	s_mov_b64 s[0:1], 0
                                        ; implicit-def: $sgpr20
                                        ; implicit-def: $vgpr0_vgpr1
	s_branch .LBB20_1661
.LBB20_2147:
	s_mov_b64 s[2:3], 0
	s_mov_b64 s[0:1], -1
	s_branch .LBB20_1662
.LBB20_2148:
	s_trap 2
	s_or_b64 s[18:19], s[18:19], exec
	s_cbranch_execz .LBB20_1599
	s_branch .LBB20_1600
.LBB20_2149:
	s_andn2_saveexec_b64 s[14:15], s[14:15]
	s_cbranch_execz .LBB20_1741
.LBB20_2150:
	s_mov_b32 s21, 0x46000000
	v_add_f32_e64 v1, |v0|, s21
	v_and_b32_e32 v1, 0xff, v1
	v_cmp_ne_u32_e32 vcc, 0, v1
	s_andn2_b64 s[10:11], s[10:11], exec
	s_and_b64 s[22:23], vcc, exec
	s_or_b64 s[10:11], s[10:11], s[22:23]
	s_or_b64 exec, exec, s[14:15]
	v_mov_b32_e32 v5, 0
	s_and_saveexec_b64 s[14:15], s[10:11]
	s_cbranch_execnz .LBB20_1742
	s_branch .LBB20_1743
.LBB20_2151:
	s_trap 2
	s_or_b64 s[18:19], s[18:19], exec
	s_cbranch_execz .LBB20_1789
	s_branch .LBB20_1790
.LBB20_2152:
	s_andn2_saveexec_b64 s[10:11], s[10:11]
	s_cbranch_execz .LBB20_1754
.LBB20_2153:
	s_mov_b32 s14, 0x42800000
	v_add_f32_e64 v1, |v0|, s14
	v_and_b32_e32 v1, 0xff, v1
	v_cmp_ne_u32_e32 vcc, 0, v1
	s_andn2_b64 s[4:5], s[4:5], exec
	s_and_b64 s[14:15], vcc, exec
	s_or_b64 s[4:5], s[4:5], s[14:15]
	s_or_b64 exec, exec, s[10:11]
	v_mov_b32_e32 v5, 0
	s_and_saveexec_b64 s[10:11], s[4:5]
	s_cbranch_execnz .LBB20_1755
	s_branch .LBB20_1756
.LBB20_2154:
	s_andn2_saveexec_b64 s[12:13], s[12:13]
	s_cbranch_execz .LBB20_1860
.LBB20_2155:
	s_mov_b32 s21, 0x46000000
	v_add_f32_e64 v3, |v2|, s21
	v_and_b32_e32 v3, 0xff, v3
	v_cmp_ne_u32_e32 vcc, 0, v3
	s_andn2_b64 s[10:11], s[10:11], exec
	s_and_b64 s[22:23], vcc, exec
	s_or_b64 s[10:11], s[10:11], s[22:23]
	s_or_b64 exec, exec, s[12:13]
	v_mov_b32_e32 v7, 0
	s_and_saveexec_b64 s[12:13], s[10:11]
	s_cbranch_execnz .LBB20_1861
	s_branch .LBB20_1862
.LBB20_2156:
	s_trap 2
	s_or_b64 s[18:19], s[18:19], exec
	s_cbranch_execz .LBB20_1908
	s_branch .LBB20_1909
.LBB20_2157:
	s_andn2_saveexec_b64 s[10:11], s[10:11]
	s_cbranch_execz .LBB20_1873
.LBB20_2158:
	s_mov_b32 s12, 0x42800000
	v_add_f32_e64 v3, |v2|, s12
	v_and_b32_e32 v3, 0xff, v3
	v_cmp_ne_u32_e32 vcc, 0, v3
	s_andn2_b64 s[4:5], s[4:5], exec
	s_and_b64 s[12:13], vcc, exec
	s_or_b64 s[4:5], s[4:5], s[12:13]
	s_or_b64 exec, exec, s[10:11]
	v_mov_b32_e32 v7, 0
	s_and_saveexec_b64 s[10:11], s[4:5]
	s_cbranch_execnz .LBB20_1874
	s_branch .LBB20_1875
.LBB20_2159:
	s_andn2_saveexec_b64 s[12:13], s[12:13]
	s_cbranch_execz .LBB20_1979
.LBB20_2160:
	s_mov_b32 s21, 0x46000000
	v_add_f32_e64 v3, |v4|, s21
	v_and_b32_e32 v3, 0xff, v3
	v_cmp_ne_u32_e32 vcc, 0, v3
	s_andn2_b64 s[10:11], s[10:11], exec
	s_and_b64 s[22:23], vcc, exec
	s_or_b64 s[10:11], s[10:11], s[22:23]
	s_or_b64 exec, exec, s[12:13]
	v_mov_b32_e32 v5, 0
	s_and_saveexec_b64 s[12:13], s[10:11]
	s_cbranch_execnz .LBB20_1980
	s_branch .LBB20_1981
.LBB20_2161:
	s_trap 2
	s_or_b64 s[18:19], s[18:19], exec
	s_cbranch_execz .LBB20_2027
	s_branch .LBB20_2028
.LBB20_2162:
	s_andn2_saveexec_b64 s[10:11], s[10:11]
	s_cbranch_execz .LBB20_1992
.LBB20_2163:
	s_mov_b32 s12, 0x42800000
	v_add_f32_e64 v3, |v4|, s12
	v_and_b32_e32 v3, 0xff, v3
	v_cmp_ne_u32_e32 vcc, 0, v3
	s_andn2_b64 s[4:5], s[4:5], exec
	s_and_b64 s[12:13], vcc, exec
	s_or_b64 s[4:5], s[4:5], s[12:13]
	s_or_b64 exec, exec, s[10:11]
	v_mov_b32_e32 v5, 0
	s_and_saveexec_b64 s[10:11], s[4:5]
	s_cbranch_execnz .LBB20_1993
	s_branch .LBB20_1994
.LBB20_2164:
	s_andn2_saveexec_b64 s[10:11], s[10:11]
	s_cbranch_execz .LBB20_2099
.LBB20_2165:
	s_mov_b32 s13, 0x46000000
	v_add_f32_e64 v2, |v6|, s13
	v_and_b32_e32 v2, 0xff, v2
	v_cmp_ne_u32_e32 vcc, 0, v2
	s_andn2_b64 s[8:9], s[8:9], exec
	s_and_b64 s[14:15], vcc, exec
	s_or_b64 s[8:9], s[8:9], s[14:15]
	s_or_b64 exec, exec, s[10:11]
	v_mov_b32_e32 v3, 0
	s_and_saveexec_b64 s[10:11], s[8:9]
	s_cbranch_execnz .LBB20_2100
	s_branch .LBB20_2101
.LBB20_2166:
	s_mov_b64 s[2:3], 0
	s_or_b64 s[18:19], s[18:19], exec
	s_trap 2
	s_branch .LBB20_2145
.LBB20_2167:
	s_andn2_saveexec_b64 s[8:9], s[8:9]
	s_cbranch_execz .LBB20_2111
.LBB20_2168:
	s_mov_b32 s10, 0x42800000
	v_add_f32_e64 v2, |v6|, s10
	v_and_b32_e32 v2, 0xff, v2
	v_cmp_ne_u32_e32 vcc, 0, v2
	s_andn2_b64 s[4:5], s[4:5], exec
	s_and_b64 s[10:11], vcc, exec
	s_or_b64 s[4:5], s[4:5], s[10:11]
	s_or_b64 exec, exec, s[8:9]
	v_mov_b32_e32 v3, 0
	s_and_saveexec_b64 s[8:9], s[4:5]
	s_cbranch_execnz .LBB20_2112
	s_branch .LBB20_2113
	.section	.rodata,"a",@progbits
	.p2align	6, 0x0
	.amdhsa_kernel _ZN2at6native32elementwise_kernel_manual_unrollILi128ELi4EZNS0_15gpu_kernel_implIZZZNS0_12_GLOBAL__N_121bessel_j0_kernel_cudaERNS_18TensorIteratorBaseEENKUlvE_clEvENKUlvE0_clEvEUlfE_EEvS5_RKT_EUlibE_EEviT1_
		.amdhsa_group_segment_fixed_size 0
		.amdhsa_private_segment_fixed_size 0
		.amdhsa_kernarg_size 40
		.amdhsa_user_sgpr_count 6
		.amdhsa_user_sgpr_private_segment_buffer 1
		.amdhsa_user_sgpr_dispatch_ptr 0
		.amdhsa_user_sgpr_queue_ptr 0
		.amdhsa_user_sgpr_kernarg_segment_ptr 1
		.amdhsa_user_sgpr_dispatch_id 0
		.amdhsa_user_sgpr_flat_scratch_init 0
		.amdhsa_user_sgpr_private_segment_size 0
		.amdhsa_uses_dynamic_stack 0
		.amdhsa_system_sgpr_private_segment_wavefront_offset 0
		.amdhsa_system_sgpr_workgroup_id_x 1
		.amdhsa_system_sgpr_workgroup_id_y 0
		.amdhsa_system_sgpr_workgroup_id_z 0
		.amdhsa_system_sgpr_workgroup_info 0
		.amdhsa_system_vgpr_workitem_id 0
		.amdhsa_next_free_vgpr 33
		.amdhsa_next_free_sgpr 44
		.amdhsa_reserve_vcc 1
		.amdhsa_reserve_flat_scratch 0
		.amdhsa_float_round_mode_32 0
		.amdhsa_float_round_mode_16_64 0
		.amdhsa_float_denorm_mode_32 3
		.amdhsa_float_denorm_mode_16_64 3
		.amdhsa_dx10_clamp 1
		.amdhsa_ieee_mode 1
		.amdhsa_fp16_overflow 0
		.amdhsa_exception_fp_ieee_invalid_op 0
		.amdhsa_exception_fp_denorm_src 0
		.amdhsa_exception_fp_ieee_div_zero 0
		.amdhsa_exception_fp_ieee_overflow 0
		.amdhsa_exception_fp_ieee_underflow 0
		.amdhsa_exception_fp_ieee_inexact 0
		.amdhsa_exception_int_div_zero 0
	.end_amdhsa_kernel
	.section	.text._ZN2at6native32elementwise_kernel_manual_unrollILi128ELi4EZNS0_15gpu_kernel_implIZZZNS0_12_GLOBAL__N_121bessel_j0_kernel_cudaERNS_18TensorIteratorBaseEENKUlvE_clEvENKUlvE0_clEvEUlfE_EEvS5_RKT_EUlibE_EEviT1_,"axG",@progbits,_ZN2at6native32elementwise_kernel_manual_unrollILi128ELi4EZNS0_15gpu_kernel_implIZZZNS0_12_GLOBAL__N_121bessel_j0_kernel_cudaERNS_18TensorIteratorBaseEENKUlvE_clEvENKUlvE0_clEvEUlfE_EEvS5_RKT_EUlibE_EEviT1_,comdat
.Lfunc_end20:
	.size	_ZN2at6native32elementwise_kernel_manual_unrollILi128ELi4EZNS0_15gpu_kernel_implIZZZNS0_12_GLOBAL__N_121bessel_j0_kernel_cudaERNS_18TensorIteratorBaseEENKUlvE_clEvENKUlvE0_clEvEUlfE_EEvS5_RKT_EUlibE_EEviT1_, .Lfunc_end20-_ZN2at6native32elementwise_kernel_manual_unrollILi128ELi4EZNS0_15gpu_kernel_implIZZZNS0_12_GLOBAL__N_121bessel_j0_kernel_cudaERNS_18TensorIteratorBaseEENKUlvE_clEvENKUlvE0_clEvEUlfE_EEvS5_RKT_EUlibE_EEviT1_
                                        ; -- End function
	.set _ZN2at6native32elementwise_kernel_manual_unrollILi128ELi4EZNS0_15gpu_kernel_implIZZZNS0_12_GLOBAL__N_121bessel_j0_kernel_cudaERNS_18TensorIteratorBaseEENKUlvE_clEvENKUlvE0_clEvEUlfE_EEvS5_RKT_EUlibE_EEviT1_.num_vgpr, 33
	.set _ZN2at6native32elementwise_kernel_manual_unrollILi128ELi4EZNS0_15gpu_kernel_implIZZZNS0_12_GLOBAL__N_121bessel_j0_kernel_cudaERNS_18TensorIteratorBaseEENKUlvE_clEvENKUlvE0_clEvEUlfE_EEvS5_RKT_EUlibE_EEviT1_.num_agpr, 0
	.set _ZN2at6native32elementwise_kernel_manual_unrollILi128ELi4EZNS0_15gpu_kernel_implIZZZNS0_12_GLOBAL__N_121bessel_j0_kernel_cudaERNS_18TensorIteratorBaseEENKUlvE_clEvENKUlvE0_clEvEUlfE_EEvS5_RKT_EUlibE_EEviT1_.numbered_sgpr, 44
	.set _ZN2at6native32elementwise_kernel_manual_unrollILi128ELi4EZNS0_15gpu_kernel_implIZZZNS0_12_GLOBAL__N_121bessel_j0_kernel_cudaERNS_18TensorIteratorBaseEENKUlvE_clEvENKUlvE0_clEvEUlfE_EEvS5_RKT_EUlibE_EEviT1_.num_named_barrier, 0
	.set _ZN2at6native32elementwise_kernel_manual_unrollILi128ELi4EZNS0_15gpu_kernel_implIZZZNS0_12_GLOBAL__N_121bessel_j0_kernel_cudaERNS_18TensorIteratorBaseEENKUlvE_clEvENKUlvE0_clEvEUlfE_EEvS5_RKT_EUlibE_EEviT1_.private_seg_size, 0
	.set _ZN2at6native32elementwise_kernel_manual_unrollILi128ELi4EZNS0_15gpu_kernel_implIZZZNS0_12_GLOBAL__N_121bessel_j0_kernel_cudaERNS_18TensorIteratorBaseEENKUlvE_clEvENKUlvE0_clEvEUlfE_EEvS5_RKT_EUlibE_EEviT1_.uses_vcc, 1
	.set _ZN2at6native32elementwise_kernel_manual_unrollILi128ELi4EZNS0_15gpu_kernel_implIZZZNS0_12_GLOBAL__N_121bessel_j0_kernel_cudaERNS_18TensorIteratorBaseEENKUlvE_clEvENKUlvE0_clEvEUlfE_EEvS5_RKT_EUlibE_EEviT1_.uses_flat_scratch, 0
	.set _ZN2at6native32elementwise_kernel_manual_unrollILi128ELi4EZNS0_15gpu_kernel_implIZZZNS0_12_GLOBAL__N_121bessel_j0_kernel_cudaERNS_18TensorIteratorBaseEENKUlvE_clEvENKUlvE0_clEvEUlfE_EEvS5_RKT_EUlibE_EEviT1_.has_dyn_sized_stack, 0
	.set _ZN2at6native32elementwise_kernel_manual_unrollILi128ELi4EZNS0_15gpu_kernel_implIZZZNS0_12_GLOBAL__N_121bessel_j0_kernel_cudaERNS_18TensorIteratorBaseEENKUlvE_clEvENKUlvE0_clEvEUlfE_EEvS5_RKT_EUlibE_EEviT1_.has_recursion, 0
	.set _ZN2at6native32elementwise_kernel_manual_unrollILi128ELi4EZNS0_15gpu_kernel_implIZZZNS0_12_GLOBAL__N_121bessel_j0_kernel_cudaERNS_18TensorIteratorBaseEENKUlvE_clEvENKUlvE0_clEvEUlfE_EEvS5_RKT_EUlibE_EEviT1_.has_indirect_call, 0
	.section	.AMDGPU.csdata,"",@progbits
; Kernel info:
; codeLenInByte = 55076
; TotalNumSgprs: 48
; NumVgprs: 33
; ScratchSize: 0
; MemoryBound: 1
; FloatMode: 240
; IeeeMode: 1
; LDSByteSize: 0 bytes/workgroup (compile time only)
; SGPRBlocks: 5
; VGPRBlocks: 8
; NumSGPRsForWavesPerEU: 48
; NumVGPRsForWavesPerEU: 33
; Occupancy: 7
; WaveLimiterHint : 0
; COMPUTE_PGM_RSRC2:SCRATCH_EN: 0
; COMPUTE_PGM_RSRC2:USER_SGPR: 6
; COMPUTE_PGM_RSRC2:TRAP_HANDLER: 0
; COMPUTE_PGM_RSRC2:TGID_X_EN: 1
; COMPUTE_PGM_RSRC2:TGID_Y_EN: 0
; COMPUTE_PGM_RSRC2:TGID_Z_EN: 0
; COMPUTE_PGM_RSRC2:TIDIG_COMP_CNT: 0
	.section	.text._ZN2at6native32elementwise_kernel_manual_unrollILi128ELi4EZNS0_15gpu_kernel_implIZZZNS0_12_GLOBAL__N_121bessel_j0_kernel_cudaERNS_18TensorIteratorBaseEENKUlvE_clEvENKUlvE0_clEvEUlfE_EEvS5_RKT_EUlibE0_EEviT1_,"axG",@progbits,_ZN2at6native32elementwise_kernel_manual_unrollILi128ELi4EZNS0_15gpu_kernel_implIZZZNS0_12_GLOBAL__N_121bessel_j0_kernel_cudaERNS_18TensorIteratorBaseEENKUlvE_clEvENKUlvE0_clEvEUlfE_EEvS5_RKT_EUlibE0_EEviT1_,comdat
	.globl	_ZN2at6native32elementwise_kernel_manual_unrollILi128ELi4EZNS0_15gpu_kernel_implIZZZNS0_12_GLOBAL__N_121bessel_j0_kernel_cudaERNS_18TensorIteratorBaseEENKUlvE_clEvENKUlvE0_clEvEUlfE_EEvS5_RKT_EUlibE0_EEviT1_ ; -- Begin function _ZN2at6native32elementwise_kernel_manual_unrollILi128ELi4EZNS0_15gpu_kernel_implIZZZNS0_12_GLOBAL__N_121bessel_j0_kernel_cudaERNS_18TensorIteratorBaseEENKUlvE_clEvENKUlvE0_clEvEUlfE_EEvS5_RKT_EUlibE0_EEviT1_
	.p2align	8
	.type	_ZN2at6native32elementwise_kernel_manual_unrollILi128ELi4EZNS0_15gpu_kernel_implIZZZNS0_12_GLOBAL__N_121bessel_j0_kernel_cudaERNS_18TensorIteratorBaseEENKUlvE_clEvENKUlvE0_clEvEUlfE_EEvS5_RKT_EUlibE0_EEviT1_,@function
_ZN2at6native32elementwise_kernel_manual_unrollILi128ELi4EZNS0_15gpu_kernel_implIZZZNS0_12_GLOBAL__N_121bessel_j0_kernel_cudaERNS_18TensorIteratorBaseEENKUlvE_clEvENKUlvE0_clEvEUlfE_EEvS5_RKT_EUlibE0_EEviT1_: ; @_ZN2at6native32elementwise_kernel_manual_unrollILi128ELi4EZNS0_15gpu_kernel_implIZZZNS0_12_GLOBAL__N_121bessel_j0_kernel_cudaERNS_18TensorIteratorBaseEENKUlvE_clEvENKUlvE0_clEvEUlfE_EEvS5_RKT_EUlibE0_EEviT1_
; %bb.0:
	s_load_dword s70, s[4:5], 0x0
	s_load_dword s33, s[4:5], 0x8
	s_add_u32 s34, s4, 8
	s_addc_u32 s35, s5, 0
	v_lshl_or_b32 v8, s6, 9, v0
	v_or_b32_e32 v15, 0x180, v8
	s_waitcnt lgkmcnt(0)
	s_add_i32 s72, s33, -1
	s_cmp_gt_u32 s72, 1
	v_cmp_le_i32_e32 vcc, s70, v15
	s_cselect_b64 s[42:43], -1, 0
	s_mov_b64 s[40:41], 0
	s_mov_b64 s[6:7], 0
	s_and_saveexec_b64 s[0:1], vcc
	s_xor_b64 s[44:45], exec, s[0:1]
	s_cbranch_execz .LBB21_1150
; %bb.1:
	v_mov_b32_e32 v0, 0
	global_load_ushort v0, v0, s[34:35] offset:345
	s_load_dwordx4 s[36:39], s[34:35], 0x4
	s_load_dwordx2 s[46:47], s[34:35], 0x14
	s_load_dwordx4 s[28:31], s[34:35], 0xc4
	s_load_dwordx4 s[24:27], s[34:35], 0x148
	s_cmp_lg_u32 s33, 0
	s_cselect_b64 s[52:53], -1, 0
	s_add_u32 s50, s34, 0xc4
	s_addc_u32 s51, s35, 0
	s_min_u32 s75, s72, 15
	s_cmp_gt_u32 s33, 1
	s_cselect_b64 s[48:49], -1, 0
	v_cmp_gt_i32_e32 vcc, s70, v8
	s_mov_b64 s[2:3], -1
	s_mov_b64 s[62:63], 0
	s_mov_b64 s[56:57], 0
	;; [unrolled: 1-line block ×3, first 2 shown]
	s_waitcnt vmcnt(0)
	v_readfirstlane_b32 s73, v0
	s_and_b32 s0, 0xffff, s73
	s_lshr_b32 s74, s0, 8
	s_and_saveexec_b64 s[58:59], vcc
	s_cbranch_execz .LBB21_282
; %bb.2:
	s_andn2_b64 vcc, exec, s[42:43]
	s_cbranch_vccnz .LBB21_7
; %bb.3:
	s_andn2_b64 vcc, exec, s[52:53]
	s_cbranch_vccnz .LBB21_8
; %bb.4:
	s_add_i32 s57, s75, 1
	s_cmp_eq_u32 s72, 2
	s_cbranch_scc1 .LBB21_9
; %bb.5:
	s_and_b32 s56, s57, 28
	v_mov_b32_e32 v2, 0
	s_mov_b32 s60, 0
	s_mov_b64 s[6:7], s[34:35]
	s_mov_b64 s[54:55], s[50:51]
	v_mov_b32_e32 v0, 0
	v_mov_b32_e32 v1, v8
.LBB21_6:                               ; =>This Inner Loop Header: Depth=1
	s_load_dwordx8 s[16:23], s[6:7], 0x4
	s_load_dwordx4 s[0:3], s[6:7], 0x24
	s_load_dwordx8 s[8:15], s[54:55], 0x0
	s_add_u32 s6, s6, 48
	s_addc_u32 s7, s7, 0
	s_waitcnt lgkmcnt(0)
	v_mul_hi_u32 v3, s17, v1
	s_add_i32 s60, s60, 4
	s_add_u32 s54, s54, 32
	s_addc_u32 s55, s55, 0
	v_add_u32_e32 v3, v1, v3
	v_lshrrev_b32_e32 v3, s18, v3
	v_mul_lo_u32 v4, v3, s16
	v_mul_hi_u32 v5, s20, v3
	s_cmp_lg_u32 s56, s60
	v_sub_u32_e32 v1, v1, v4
	v_add_u32_e32 v4, v3, v5
	v_mul_lo_u32 v5, v1, s8
	v_mul_lo_u32 v6, v1, s9
	v_lshrrev_b32_e32 v1, s21, v4
	v_mul_lo_u32 v4, v1, s19
	v_mul_hi_u32 v7, s23, v1
	v_sub_u32_e32 v3, v3, v4
	v_add_u32_e32 v4, v1, v7
	v_lshrrev_b32_e32 v4, s0, v4
	v_mul_hi_u32 v9, s2, v4
	v_mul_lo_u32 v10, v4, s22
	v_mul_lo_u32 v7, v3, s10
	;; [unrolled: 1-line block ×3, first 2 shown]
	v_sub_u32_e32 v10, v1, v10
	v_add_u32_e32 v1, v4, v9
	v_lshrrev_b32_e32 v1, s3, v1
	v_mul_lo_u32 v9, v1, s1
	v_mul_lo_u32 v11, v10, s12
	;; [unrolled: 1-line block ×3, first 2 shown]
	v_add3_u32 v0, v5, v0, v7
	v_sub_u32_e32 v4, v4, v9
	v_mul_lo_u32 v9, v4, s14
	v_mul_lo_u32 v4, v4, s15
	v_add3_u32 v2, v6, v2, v3
	v_add3_u32 v0, v11, v0, v9
	;; [unrolled: 1-line block ×3, first 2 shown]
	s_cbranch_scc1 .LBB21_6
	s_branch .LBB21_10
.LBB21_7:
                                        ; implicit-def: $vgpr0
                                        ; implicit-def: $vgpr2
	s_branch .LBB21_14
.LBB21_8:
	v_mov_b32_e32 v0, 0
	v_mov_b32_e32 v2, 0
	s_branch .LBB21_13
.LBB21_9:
	s_mov_b32 s56, 0
	v_mov_b32_e32 v0, 0
	v_mov_b32_e32 v2, 0
	;; [unrolled: 1-line block ×3, first 2 shown]
.LBB21_10:
	s_and_b32 s6, s57, 3
	s_cmp_eq_u32 s6, 0
	s_cbranch_scc1 .LBB21_13
; %bb.11:
	s_lshl_b32 s0, s56, 3
	s_add_u32 s0, s34, s0
	s_addc_u32 s1, s35, 0
	s_add_u32 s0, s0, 0xc4
	s_addc_u32 s1, s1, 0
	s_mul_i32 s2, s56, 12
	s_add_u32 s2, s34, s2
	s_addc_u32 s3, s35, 0
.LBB21_12:                              ; =>This Inner Loop Header: Depth=1
	s_load_dwordx2 s[8:9], s[2:3], 0x4
	s_load_dword s7, s[2:3], 0xc
	s_load_dwordx2 s[10:11], s[0:1], 0x0
	s_add_u32 s2, s2, 12
	s_addc_u32 s3, s3, 0
	s_waitcnt lgkmcnt(0)
	v_mul_hi_u32 v3, s9, v1
	s_add_u32 s0, s0, 8
	s_addc_u32 s1, s1, 0
	s_add_i32 s6, s6, -1
	v_add_u32_e32 v3, v1, v3
	v_lshrrev_b32_e32 v4, s7, v3
	v_mul_lo_u32 v3, v4, s8
	s_cmp_lg_u32 s6, 0
	v_sub_u32_e32 v3, v1, v3
	v_mad_u64_u32 v[0:1], s[8:9], v3, s10, v[0:1]
	v_mad_u64_u32 v[2:3], s[8:9], v3, s11, v[2:3]
	v_mov_b32_e32 v1, v4
	s_cbranch_scc1 .LBB21_12
.LBB21_13:
	s_cbranch_execnz .LBB21_16
.LBB21_14:
	s_waitcnt lgkmcnt(0)
	v_mul_hi_u32 v0, s37, v8
	s_andn2_b64 vcc, exec, s[48:49]
	v_add_u32_e32 v0, v8, v0
	v_lshrrev_b32_e32 v1, s38, v0
	v_mul_lo_u32 v0, v1, s36
	v_sub_u32_e32 v2, v8, v0
	v_mul_lo_u32 v0, v2, s28
	v_mul_lo_u32 v2, v2, s29
	s_cbranch_vccnz .LBB21_16
; %bb.15:
	v_mul_hi_u32 v3, s46, v1
	v_add_u32_e32 v3, v1, v3
	v_lshrrev_b32_e32 v3, s47, v3
	v_mul_lo_u32 v3, v3, s39
	v_sub_u32_e32 v3, v1, v3
	v_mad_u64_u32 v[0:1], s[0:1], v3, s30, v[0:1]
	v_mad_u64_u32 v[2:3], s[0:1], v3, s31, v[2:3]
.LBB21_16:
	s_waitcnt lgkmcnt(0)
	v_mov_b32_e32 v3, s27
	s_and_b32 s10, 0xffff, s74
	v_add_co_u32_e32 v1, vcc, s26, v2
	s_cmp_lt_i32 s10, 11
	v_addc_co_u32_e32 v2, vcc, 0, v3, vcc
	s_cbranch_scc1 .LBB21_23
; %bb.17:
	s_cmp_gt_i32 s10, 25
	s_cbranch_scc0 .LBB21_34
; %bb.18:
	s_cmp_gt_i32 s10, 28
	s_cbranch_scc0 .LBB21_51
	;; [unrolled: 3-line block ×4, first 2 shown]
; %bb.21:
	s_cmp_eq_u32 s10, 46
	s_mov_b64 s[2:3], 0
	s_cbranch_scc0 .LBB21_57
; %bb.22:
	global_load_dword v3, v[1:2], off
	s_mov_b64 s[0:1], -1
	s_mov_b64 s[8:9], 0
	s_waitcnt vmcnt(0)
	v_lshlrev_b32_e32 v3, 16, v3
	s_branch .LBB21_59
.LBB21_23:
	s_mov_b64 s[8:9], 0
                                        ; implicit-def: $vgpr3
	s_mov_b64 s[0:1], 0
	s_cbranch_execnz .LBB21_232
.LBB21_24:
	s_andn2_b64 vcc, exec, s[0:1]
	s_cbranch_vccnz .LBB21_279
.LBB21_25:
	s_waitcnt vmcnt(0)
	v_cmp_gt_f32_e32 vcc, 0, v3
	v_cndmask_b32_e64 v2, v3, -v3, vcc
	s_mov_b32 s0, 0x40a00000
	v_cmp_ge_f32_e32 vcc, s0, v2
                                        ; implicit-def: $vgpr1
	s_and_saveexec_b64 s[0:1], vcc
	s_xor_b64 s[0:1], exec, s[0:1]
	s_cbranch_execz .LBB21_31
; %bb.26:
	s_mov_b32 s2, 0x3727c5ac
	v_cmp_ngt_f32_e32 vcc, s2, v2
	v_mul_f32_e32 v2, v2, v2
                                        ; implicit-def: $vgpr1
	s_and_saveexec_b64 s[2:3], vcc
	s_xor_b64 s[2:3], exec, s[2:3]
	s_cbranch_execz .LBB21_28
; %bb.27:
	v_mov_b32_e32 v1, 0xcf8ee29d
	v_fmac_f32_e32 v1, 0, v2
	v_mov_b32_e32 v3, 0x53e3ba8e
	v_fmac_f32_e32 v3, v2, v1
	;; [unrolled: 2-line block ×12, first 2 shown]
	v_add_f32_e32 v1, 0xc0b90fdc, v2
	v_add_f32_e32 v2, 0xc1f3c525, v2
	v_mul_f32_e32 v1, v1, v2
	v_mul_f32_e32 v1, v1, v3
	v_div_scale_f32 v2, s[6:7], v4, v4, v1
	v_div_scale_f32 v3, vcc, v1, v4, v1
	v_rcp_f32_e32 v5, v2
	v_fma_f32 v6, -v2, v5, 1.0
	v_fmac_f32_e32 v5, v6, v5
	v_mul_f32_e32 v6, v3, v5
	v_fma_f32 v7, -v2, v6, v3
	v_fmac_f32_e32 v6, v7, v5
	v_fma_f32 v2, -v2, v6, v3
	v_div_fmas_f32 v2, v2, v5, v6
	v_div_fixup_f32 v1, v2, v4, v1
                                        ; implicit-def: $vgpr2
.LBB21_28:
	s_andn2_saveexec_b64 s[2:3], s[2:3]
; %bb.29:
	s_mov_b32 s6, 0xbe800000
	v_fma_f32 v1, v2, s6, 1.0
; %bb.30:
	s_or_b64 exec, exec, s[2:3]
                                        ; implicit-def: $vgpr2
.LBB21_31:
	s_andn2_saveexec_b64 s[10:11], s[0:1]
	s_cbranch_execz .LBB21_42
; %bb.32:
	v_add_f32_e32 v1, 0xbf490fdb, v2
	s_brev_b32 s0, 18
	v_and_b32_e32 v3, 0x7fffffff, v1
	v_cmp_nlt_f32_e64 s[12:13], |v1|, s0
                                        ; implicit-def: $vgpr4
                                        ; implicit-def: $vgpr5
	s_and_saveexec_b64 s[0:1], s[12:13]
	s_xor_b64 s[14:15], exec, s[0:1]
	s_cbranch_execz .LBB21_35
; %bb.33:
	v_and_b32_e32 v4, 0x7fffff, v3
	v_or_b32_e32 v7, 0x800000, v4
	s_mov_b32 s0, 0xfe5163ab
	v_mad_u64_u32 v[4:5], s[0:1], v7, s0, 0
	v_mov_b32_e32 v6, 0
	s_mov_b32 s0, 0x3c439041
	v_mad_u64_u32 v[9:10], s[0:1], v7, s0, v[5:6]
	s_mov_b32 s0, 0xdb629599
	v_not_b32_e32 v14, 63
	v_mov_b32_e32 v5, v10
	v_mad_u64_u32 v[10:11], s[0:1], v7, s0, v[5:6]
	s_mov_b32 s0, 0xf534ddc0
	v_not_b32_e32 v16, 31
	v_mov_b32_e32 v5, v11
	v_mad_u64_u32 v[11:12], s[0:1], v7, s0, v[5:6]
	v_lshrrev_b32_e32 v5, 23, v3
	v_add_u32_e32 v15, 0xffffff88, v5
	v_mov_b32_e32 v5, v12
	s_mov_b32 s0, 0xfc2757d1
	v_mad_u64_u32 v[12:13], s[0:1], v7, s0, v[5:6]
	v_cmp_lt_u32_e32 vcc, 63, v15
	v_cndmask_b32_e32 v5, 0, v14, vcc
	v_add_u32_e32 v15, v5, v15
	v_mov_b32_e32 v5, v13
	s_mov_b32 s0, 0x4e441529
	v_mad_u64_u32 v[13:14], s[0:1], v7, s0, v[5:6]
	v_cmp_lt_u32_e64 s[0:1], 31, v15
	v_cndmask_b32_e64 v5, 0, v16, s[0:1]
	v_add_u32_e32 v15, v5, v15
	v_mov_b32_e32 v5, v14
	s_mov_b32 s2, 0xa2f9836e
	v_mad_u64_u32 v[5:6], s[2:3], v7, s2, v[5:6]
	v_cmp_lt_u32_e64 s[2:3], 31, v15
	v_cndmask_b32_e64 v7, 0, v16, s[2:3]
	v_cndmask_b32_e32 v14, v13, v11, vcc
	v_cndmask_b32_e32 v5, v5, v12, vcc
	v_cndmask_b32_e32 v6, v6, v13, vcc
	v_add_u32_e32 v7, v7, v15
	v_cndmask_b32_e64 v15, v5, v14, s[0:1]
	v_cndmask_b32_e64 v5, v6, v5, s[0:1]
	v_cndmask_b32_e32 v6, v12, v10, vcc
	v_cndmask_b32_e64 v12, v14, v6, s[0:1]
	v_cndmask_b32_e64 v5, v5, v15, s[2:3]
	;; [unrolled: 1-line block ×3, first 2 shown]
	v_sub_u32_e32 v14, 32, v7
	v_alignbit_b32 v15, v5, v13, v14
	v_cmp_eq_u32_e64 s[6:7], 0, v7
	v_cndmask_b32_e64 v7, v15, v5, s[6:7]
	v_cndmask_b32_e32 v5, v11, v9, vcc
	v_cndmask_b32_e64 v6, v6, v5, s[0:1]
	v_cndmask_b32_e64 v9, v12, v6, s[2:3]
	v_alignbit_b32 v11, v13, v9, v14
	v_cndmask_b32_e32 v4, v10, v4, vcc
	v_cndmask_b32_e64 v11, v11, v13, s[6:7]
	v_bfe_u32 v15, v7, 29, 1
	v_cndmask_b32_e64 v4, v5, v4, s[0:1]
	v_alignbit_b32 v12, v7, v11, 30
	v_sub_u32_e32 v16, 0, v15
	v_cndmask_b32_e64 v4, v6, v4, s[2:3]
	v_xor_b32_e32 v12, v12, v16
	v_alignbit_b32 v5, v9, v4, v14
	v_cndmask_b32_e64 v5, v5, v9, s[6:7]
	v_ffbh_u32_e32 v9, v12
	v_alignbit_b32 v6, v11, v5, 30
	v_min_u32_e32 v9, 32, v9
	v_alignbit_b32 v4, v5, v4, 30
	v_xor_b32_e32 v6, v6, v16
	v_sub_u32_e32 v10, 31, v9
	v_xor_b32_e32 v4, v4, v16
	v_alignbit_b32 v11, v12, v6, v10
	v_alignbit_b32 v4, v6, v4, v10
	;; [unrolled: 1-line block ×3, first 2 shown]
	v_ffbh_u32_e32 v6, v5
	v_min_u32_e32 v6, 32, v6
	v_lshrrev_b32_e32 v13, 29, v7
	v_not_b32_e32 v10, v6
	v_alignbit_b32 v4, v5, v4, v10
	v_lshlrev_b32_e32 v5, 31, v13
	v_or_b32_e32 v10, 0x33000000, v5
	v_add_lshl_u32 v6, v6, v9, 23
	v_lshrrev_b32_e32 v4, 9, v4
	v_sub_u32_e32 v6, v10, v6
	v_or_b32_e32 v5, 0.5, v5
	v_lshlrev_b32_e32 v9, 23, v9
	v_or_b32_e32 v4, v6, v4
	v_lshrrev_b32_e32 v6, 9, v11
	v_sub_u32_e32 v5, v5, v9
	v_or_b32_e32 v5, v6, v5
	s_mov_b32 s0, 0x3fc90fda
	v_mul_f32_e32 v6, 0x3fc90fda, v5
	v_fma_f32 v9, v5, s0, -v6
	v_fmac_f32_e32 v9, 0x33a22168, v5
	v_fmac_f32_e32 v9, 0x3fc90fda, v4
	v_lshrrev_b32_e32 v4, 30, v7
	v_add_f32_e32 v5, v6, v9
	v_add_u32_e32 v4, v15, v4
	s_andn2_saveexec_b64 s[0:1], s[14:15]
	s_cbranch_execz .LBB21_37
	s_branch .LBB21_36
.LBB21_34:
	s_mov_b64 s[8:9], 0
	s_mov_b64 s[0:1], 0
                                        ; implicit-def: $vgpr3
	s_cbranch_execnz .LBB21_197
	s_branch .LBB21_231
.LBB21_35:
	s_andn2_saveexec_b64 s[0:1], s[14:15]
	s_cbranch_execz .LBB21_37
.LBB21_36:
	s_mov_b32 s2, 0x3f22f983
	v_mul_f32_e64 v4, |v1|, s2
	v_rndne_f32_e32 v6, v4
	s_mov_b32 s2, 0xbfc90fda
	v_cvt_i32_f32_e32 v4, v6
	v_fma_f32 v5, v6, s2, |v1|
	v_fmac_f32_e32 v5, 0xb3a22168, v6
	v_fmac_f32_e32 v5, 0xa7c234c4, v6
.LBB21_37:
	s_or_b64 exec, exec, s[0:1]
                                        ; implicit-def: $vgpr6
                                        ; implicit-def: $vgpr7
	s_and_saveexec_b64 s[0:1], s[12:13]
	s_xor_b64 s[12:13], exec, s[0:1]
	s_cbranch_execz .LBB21_39
; %bb.38:
	v_and_b32_e32 v6, 0x7fffff, v3
	v_or_b32_e32 v17, 0x800000, v6
	s_mov_b32 s0, 0xfe5163ab
	v_mad_u64_u32 v[6:7], s[0:1], v17, s0, 0
	v_mov_b32_e32 v10, 0
	s_mov_b32 s0, 0x3c439041
	v_mov_b32_e32 v9, v7
	v_mad_u64_u32 v[11:12], s[0:1], v17, s0, v[9:10]
	s_mov_b32 s0, 0xdb629599
	v_lshrrev_b32_e32 v7, 23, v3
	v_mov_b32_e32 v9, v12
	v_mad_u64_u32 v[12:13], s[0:1], v17, s0, v[9:10]
	s_mov_b32 s0, 0xf534ddc0
	v_add_u32_e32 v7, 0xffffff88, v7
	v_mov_b32_e32 v9, v13
	v_mad_u64_u32 v[13:14], s[0:1], v17, s0, v[9:10]
	s_mov_b32 s0, 0xfc2757d1
	v_not_b32_e32 v16, 63
	v_mov_b32_e32 v9, v14
	v_mad_u64_u32 v[14:15], s[0:1], v17, s0, v[9:10]
	v_cmp_lt_u32_e32 vcc, 63, v7
	v_cndmask_b32_e32 v9, 0, v16, vcc
	v_add_u32_e32 v7, v9, v7
	v_mov_b32_e32 v9, v15
	s_mov_b32 s0, 0x4e441529
	v_mad_u64_u32 v[15:16], s[0:1], v17, s0, v[9:10]
	v_not_b32_e32 v18, 31
	v_cmp_lt_u32_e64 s[0:1], 31, v7
	v_cndmask_b32_e64 v9, 0, v18, s[0:1]
	v_add_u32_e32 v7, v9, v7
	v_mov_b32_e32 v9, v16
	s_mov_b32 s2, 0xa2f9836e
	v_mad_u64_u32 v[9:10], s[2:3], v17, s2, v[9:10]
	v_cmp_lt_u32_e64 s[2:3], 31, v7
	v_cndmask_b32_e64 v16, 0, v18, s[2:3]
	v_add_u32_e32 v7, v16, v7
	v_cndmask_b32_e32 v16, v15, v13, vcc
	v_cndmask_b32_e32 v9, v9, v14, vcc
	v_cndmask_b32_e32 v10, v10, v15, vcc
	v_cndmask_b32_e64 v17, v9, v16, s[0:1]
	v_cndmask_b32_e64 v9, v10, v9, s[0:1]
	v_cndmask_b32_e32 v10, v14, v12, vcc
	v_cndmask_b32_e64 v14, v16, v10, s[0:1]
	v_sub_u32_e32 v16, 32, v7
	v_cmp_eq_u32_e64 s[6:7], 0, v7
	v_cndmask_b32_e32 v7, v13, v11, vcc
	v_cndmask_b32_e64 v9, v9, v17, s[2:3]
	v_cndmask_b32_e64 v15, v17, v14, s[2:3]
	v_cndmask_b32_e64 v10, v10, v7, s[0:1]
	v_alignbit_b32 v17, v9, v15, v16
	v_cndmask_b32_e64 v11, v14, v10, s[2:3]
	v_cndmask_b32_e64 v9, v17, v9, s[6:7]
	v_alignbit_b32 v13, v15, v11, v16
	v_cndmask_b32_e32 v6, v12, v6, vcc
	v_cndmask_b32_e64 v13, v13, v15, s[6:7]
	v_bfe_u32 v17, v9, 29, 1
	v_cndmask_b32_e64 v6, v7, v6, s[0:1]
	v_alignbit_b32 v14, v9, v13, 30
	v_sub_u32_e32 v18, 0, v17
	v_cndmask_b32_e64 v6, v10, v6, s[2:3]
	v_xor_b32_e32 v14, v14, v18
	v_alignbit_b32 v7, v11, v6, v16
	v_cndmask_b32_e64 v7, v7, v11, s[6:7]
	v_ffbh_u32_e32 v11, v14
	v_alignbit_b32 v10, v13, v7, 30
	v_min_u32_e32 v11, 32, v11
	v_alignbit_b32 v6, v7, v6, 30
	v_xor_b32_e32 v10, v10, v18
	v_sub_u32_e32 v12, 31, v11
	v_xor_b32_e32 v6, v6, v18
	v_alignbit_b32 v13, v14, v10, v12
	v_alignbit_b32 v6, v10, v6, v12
	;; [unrolled: 1-line block ×3, first 2 shown]
	v_ffbh_u32_e32 v10, v7
	v_min_u32_e32 v10, 32, v10
	v_lshrrev_b32_e32 v15, 29, v9
	v_not_b32_e32 v12, v10
	v_alignbit_b32 v6, v7, v6, v12
	v_lshlrev_b32_e32 v7, 31, v15
	v_or_b32_e32 v12, 0x33000000, v7
	v_add_lshl_u32 v10, v10, v11, 23
	v_lshrrev_b32_e32 v6, 9, v6
	v_sub_u32_e32 v10, v12, v10
	v_or_b32_e32 v7, 0.5, v7
	v_lshlrev_b32_e32 v11, 23, v11
	v_or_b32_e32 v6, v10, v6
	v_lshrrev_b32_e32 v10, 9, v13
	v_sub_u32_e32 v7, v7, v11
	v_or_b32_e32 v7, v10, v7
	s_mov_b32 s0, 0x3fc90fda
	v_mul_f32_e32 v10, 0x3fc90fda, v7
	v_fma_f32 v11, v7, s0, -v10
	v_fmac_f32_e32 v11, 0x33a22168, v7
	v_fmac_f32_e32 v11, 0x3fc90fda, v6
	v_lshrrev_b32_e32 v6, 30, v9
	v_add_f32_e32 v7, v10, v11
	v_add_u32_e32 v6, v17, v6
	s_andn2_saveexec_b64 s[0:1], s[12:13]
	s_cbranch_execnz .LBB21_40
	s_branch .LBB21_41
.LBB21_39:
	s_andn2_saveexec_b64 s[0:1], s[12:13]
	s_cbranch_execz .LBB21_41
.LBB21_40:
	s_mov_b32 s2, 0x3f22f983
	v_mul_f32_e64 v6, |v1|, s2
	v_rndne_f32_e32 v9, v6
	s_mov_b32 s2, 0xbfc90fda
	v_cvt_i32_f32_e32 v6, v9
	v_fma_f32 v7, v9, s2, |v1|
	v_fmac_f32_e32 v7, 0xb3a22168, v9
	v_fmac_f32_e32 v7, 0xa7c234c4, v9
.LBB21_41:
	s_or_b64 exec, exec, s[0:1]
	v_mul_f32_e32 v9, v2, v2
	s_mov_b32 s2, 0x41c80000
	v_div_scale_f32 v10, s[0:1], v9, v9, s2
	v_div_scale_f32 v11, vcc, s2, v9, s2
	v_mov_b32_e32 v13, 0x3a50e985
	v_mov_b32_e32 v14, 0x3da9a586
	;; [unrolled: 1-line block ×12, first 2 shown]
	v_rcp_f32_e32 v12, v10
	v_mov_b32_e32 v27, 0xc331ae61
	v_mov_b32_e32 v28, 0xc31313d7
	v_mul_f32_e32 v29, v5, v5
	v_fma_f32 v16, -v10, v12, 1.0
	v_fmac_f32_e32 v12, v16, v12
	v_mul_f32_e32 v16, v11, v12
	v_fma_f32 v17, -v10, v16, v11
	v_fmac_f32_e32 v16, v17, v12
	v_fma_f32 v10, -v10, v16, v11
	v_div_fmas_f32 v10, v10, v12, v16
	v_mov_b32_e32 v17, 0x3a725406
	v_mov_b32_e32 v11, 0x40ae4fdf
	;; [unrolled: 1-line block ×5, first 2 shown]
	v_fmac_f32_e32 v31, 0xb94c1982, v29
	v_mov_b32_e32 v30, 0x3c0881c4
	v_div_fixup_f32 v10, v10, v9, s2
	v_fmac_f32_e32 v13, 0, v10
	v_fmac_f32_e32 v17, 0, v10
	;; [unrolled: 1-line block ×12, first 2 shown]
	v_fma_f32 v11, v10, v22, 1.0
	v_fma_f32 v12, v10, v16, 1.0
	v_div_scale_f32 v13, s[0:1], v11, v11, v12
	v_div_scale_f32 v17, vcc, v12, v11, v12
	v_mov_b32_e32 v15, 0x4280a2ba
	s_mov_b32 s2, 0xc0a00000
	v_fmac_f32_e32 v23, 0, v10
	v_mov_b32_e32 v16, 0x44561b86
	v_div_scale_f32 v33, s[0:1], v2, v2, s2
	v_fmac_f32_e32 v15, 0, v10
	v_fmac_f32_e32 v24, v10, v23
	v_mov_b32_e32 v18, 0x4572a66e
	v_fmac_f32_e32 v16, v10, v15
	v_fmac_f32_e32 v25, v10, v24
	v_mov_b32_e32 v19, 0x45e243be
	v_rcp_f32_e32 v32, v13
	v_fmac_f32_e32 v18, v10, v16
	v_fmac_f32_e32 v26, v10, v25
	v_mov_b32_e32 v20, 0x45b955d1
	v_fma_f32 v34, -v13, v32, 1.0
	v_fmac_f32_e32 v32, v34, v32
	v_mul_f32_e32 v34, v17, v32
	v_fma_f32 v35, -v13, v34, v17
	v_fmac_f32_e32 v34, v35, v32
	v_fma_f32 v13, -v13, v34, v17
	v_div_fmas_f32 v13, v13, v32, v34
	v_fmac_f32_e32 v19, v10, v18
	v_fmac_f32_e32 v27, v10, v26
	v_mov_b32_e32 v14, 0xc24da463
	v_mov_b32_e32 v21, 0x4500e17e
	v_fmac_f32_e32 v20, v10, v19
	v_fmac_f32_e32 v28, v10, v27
	v_mov_b32_e32 v9, 0xc0c19ac7
	v_mov_b32_e32 v22, 0x43720178
	v_fmac_f32_e32 v21, v10, v20
	v_fmac_f32_e32 v14, v10, v28
	;; [unrolled: 1-line block ×4, first 2 shown]
	v_rcp_f32_e32 v16, v33
	v_mov_b32_e32 v17, 0xbab64f3b
	v_fmac_f32_e32 v17, 0x37d75334, v29
	v_div_fixup_f32 v10, v13, v11, v12
	v_div_scale_f32 v11, vcc, s2, v2, s2
	v_div_scale_f32 v13, s[0:1], v22, v22, v9
	v_div_scale_f32 v15, s[0:1], v9, v22, v9
	v_fma_f32 v19, -v33, v16, 1.0
	v_fmac_f32_e32 v16, v19, v16
	v_mov_b32_e32 v12, 0xbe2aaa9d
	v_fma_f32 v14, v29, v31, v12
	v_mul_f32_e32 v14, v29, v14
	v_fmac_f32_e32 v5, v5, v14
	v_mov_b32_e32 v14, 0xbab64f3b
	v_mov_b32_e32 v18, 0x3d2aabf7
	v_mul_f32_e32 v19, v11, v16
	v_fma_f32 v20, -v33, v19, v11
	v_fmac_f32_e32 v19, v20, v16
	v_rcp_f32_e32 v20, v13
	v_fma_f32 v11, -v33, v19, v11
	v_div_fmas_f32 v11, v11, v16, v19
	s_mov_b64 vcc, s[0:1]
	v_fma_f32 v16, -v13, v20, 1.0
	v_fmac_f32_e32 v20, v16, v20
	v_mul_f32_e32 v16, v15, v20
	v_fma_f32 v19, -v13, v16, v15
	v_fmac_f32_e32 v16, v19, v20
	v_fma_f32 v13, -v13, v16, v15
	v_div_fmas_f32 v13, v13, v20, v16
	v_fma_f32 v15, v29, v17, v18
	v_mov_b32_e32 v16, 0xbf000004
	v_fma_f32 v15, v29, v15, v16
	v_and_b32_e32 v17, 1, v4
	v_fma_f32 v15, v29, v15, 1.0
	v_cmp_eq_u32_e32 vcc, 0, v17
	s_movk_i32 s0, 0x1f8
	v_div_fixup_f32 v11, v11, v2, s2
	v_cndmask_b32_e64 v5, -v5, v15, vcc
	v_lshlrev_b32_e32 v4, 30, v4
	v_cmp_class_f32_e64 vcc, v1, s0
	v_xor_b32_e32 v1, v3, v1
	v_and_b32_e32 v4, 0x80000000, v4
	v_xor_b32_e32 v4, v4, v5
	v_mov_b32_e32 v5, 0x7fc00000
	v_div_fixup_f32 v9, v13, v22, v9
	v_mul_f32_e32 v9, v11, v9
	v_mul_f32_e32 v11, v7, v7
	v_fmac_f32_e32 v30, 0xb94c1982, v11
	v_fmac_f32_e32 v12, v11, v30
	;; [unrolled: 1-line block ×3, first 2 shown]
	v_mul_f32_e32 v12, v11, v12
	v_fmac_f32_e32 v18, v11, v14
	v_fmac_f32_e32 v7, v7, v12
	;; [unrolled: 1-line block ×3, first 2 shown]
	v_and_b32_e32 v12, 1, v6
	v_lshlrev_b32_e32 v6, 30, v6
	v_fma_f32 v11, v11, v16, 1.0
	v_cmp_eq_u32_e64 s[0:1], 0, v12
	v_and_b32_e32 v6, 0x80000000, v6
	v_cndmask_b32_e64 v7, v11, v7, s[0:1]
	v_xor_b32_e32 v1, v1, v6
	v_xor_b32_e32 v1, v1, v7
	s_mov_b32 s0, 0xf800000
	v_cndmask_b32_e32 v4, v5, v4, vcc
	v_cndmask_b32_e32 v1, v5, v1, vcc
	v_mul_f32_e32 v3, 0x4f800000, v2
	v_cmp_gt_f32_e32 vcc, s0, v2
	v_cndmask_b32_e32 v2, v2, v3, vcc
	v_sqrt_f32_e32 v3, v2
	v_mul_f32_e32 v1, v9, v1
	v_fmac_f32_e32 v1, v10, v4
	v_mul_f32_e32 v1, 0x3f4c422a, v1
	v_add_u32_e32 v4, -1, v3
	v_fma_f32 v5, -v4, v3, v2
	v_cmp_ge_f32_e64 s[0:1], 0, v5
	v_add_u32_e32 v5, 1, v3
	v_cndmask_b32_e64 v4, v3, v4, s[0:1]
	v_fma_f32 v3, -v5, v3, v2
	v_cmp_lt_f32_e64 s[0:1], 0, v3
	v_cndmask_b32_e64 v3, v4, v5, s[0:1]
	v_mul_f32_e32 v4, 0x37800000, v3
	v_cndmask_b32_e32 v3, v3, v4, vcc
	v_mov_b32_e32 v4, 0x260
	v_cmp_class_f32_e32 vcc, v2, v4
	v_cndmask_b32_e32 v2, v3, v2, vcc
	v_div_scale_f32 v3, s[0:1], v2, v2, v1
	v_div_scale_f32 v4, vcc, v1, v2, v1
	v_rcp_f32_e32 v5, v3
	v_fma_f32 v6, -v3, v5, 1.0
	v_fmac_f32_e32 v5, v6, v5
	v_mul_f32_e32 v6, v4, v5
	v_fma_f32 v7, -v3, v6, v4
	v_fmac_f32_e32 v6, v7, v5
	v_fma_f32 v3, -v3, v6, v4
	v_div_fmas_f32 v3, v3, v5, v6
	v_div_fixup_f32 v1, v3, v2, v1
.LBB21_42:
	s_or_b64 exec, exec, s[10:11]
	v_mov_b32_e32 v2, s25
	s_and_b32 s12, s73, 0xff
	v_add_co_u32_e32 v3, vcc, s24, v0
	s_cmp_lt_i32 s12, 11
	v_addc_co_u32_e32 v4, vcc, 0, v2, vcc
	s_cbranch_scc1 .LBB21_49
; %bb.43:
	s_and_b32 s13, 0xffff, s12
	s_cmp_gt_i32 s13, 25
	s_cbranch_scc0 .LBB21_52
; %bb.44:
	s_cmp_gt_i32 s13, 28
	s_cbranch_scc0 .LBB21_54
; %bb.45:
	;; [unrolled: 3-line block ×4, first 2 shown]
	s_mov_b64 s[6:7], 0
	s_mov_b64 s[0:1], -1
	s_cmp_eq_u32 s13, 46
	s_mov_b64 s[2:3], 0
	s_cbranch_scc0 .LBB21_63
; %bb.48:
	v_bfe_u32 v0, v1, 16, 1
	s_movk_i32 s0, 0x7fff
	v_add3_u32 v0, v1, v0, s0
	v_cmp_o_f32_e32 vcc, v1, v1
	v_mov_b32_e32 v2, 0x7fc0
	v_cndmask_b32_sdwa v0, v2, v0, vcc dst_sel:DWORD dst_unused:UNUSED_PAD src0_sel:DWORD src1_sel:WORD_1
	global_store_dword v[3:4], v0, off
	s_mov_b64 s[2:3], -1
	s_mov_b64 s[0:1], 0
	s_branch .LBB21_63
.LBB21_49:
	s_mov_b64 s[0:1], 0
	s_mov_b64 s[2:3], 0
	s_cbranch_execnz .LBB21_132
.LBB21_50:
	s_andn2_b64 vcc, exec, s[2:3]
	s_cbranch_vccnz .LBB21_280
	s_branch .LBB21_170
.LBB21_51:
	s_mov_b64 s[2:3], -1
	s_mov_b64 s[8:9], 0
	s_mov_b64 s[0:1], 0
                                        ; implicit-def: $vgpr3
	s_branch .LBB21_178
.LBB21_52:
	s_mov_b64 s[6:7], -1
	s_mov_b64 s[0:1], 0
	s_mov_b64 s[2:3], 0
	s_branch .LBB21_90
.LBB21_53:
	s_mov_b64 s[2:3], -1
	s_mov_b64 s[8:9], 0
	s_mov_b64 s[0:1], 0
                                        ; implicit-def: $vgpr3
	s_branch .LBB21_173
.LBB21_54:
	s_mov_b64 s[6:7], -1
	s_mov_b64 s[0:1], 0
	s_mov_b64 s[2:3], 0
	s_branch .LBB21_73
.LBB21_55:
	s_mov_b64 s[2:3], -1
	s_mov_b64 s[8:9], 0
	s_branch .LBB21_58
.LBB21_56:
	s_mov_b64 s[6:7], -1
	s_mov_b64 s[0:1], 0
	s_mov_b64 s[2:3], 0
	s_branch .LBB21_69
.LBB21_57:
	s_mov_b64 s[8:9], -1
.LBB21_58:
	s_mov_b64 s[0:1], 0
                                        ; implicit-def: $vgpr3
.LBB21_59:
	s_and_b64 vcc, exec, s[2:3]
	s_cbranch_vccz .LBB21_172
; %bb.60:
	s_cmp_eq_u32 s10, 44
	s_cbranch_scc0 .LBB21_171
; %bb.61:
	global_load_ubyte v3, v[1:2], off
	s_movk_i32 s2, 0xff
	v_mov_b32_e32 v4, 0x7f800001
	v_mov_b32_e32 v5, 0x400000
	s_mov_b64 s[0:1], -1
	s_mov_b64 s[8:9], 0
	s_waitcnt vmcnt(0)
	v_lshlrev_b32_e32 v6, 23, v3
	v_cmp_ne_u32_e32 vcc, s2, v3
	v_cndmask_b32_e32 v4, v4, v6, vcc
	v_cmp_ne_u32_e32 vcc, 0, v3
	v_cndmask_b32_e32 v3, v5, v4, vcc
	s_branch .LBB21_172
.LBB21_62:
	s_mov_b64 s[6:7], -1
	s_mov_b64 s[0:1], 0
	s_mov_b64 s[2:3], 0
.LBB21_63:
	s_and_b64 vcc, exec, s[6:7]
	s_cbranch_vccz .LBB21_68
; %bb.64:
	s_cmp_eq_u32 s13, 44
	s_mov_b64 s[0:1], -1
	s_cbranch_scc0 .LBB21_68
; %bb.65:
	v_bfe_u32 v0, v1, 23, 8
	s_movk_i32 s0, 0xff
	v_cmp_ne_u32_e32 vcc, s0, v0
	v_mov_b32_e32 v2, 0xff
	s_and_saveexec_b64 s[2:3], vcc
; %bb.66:
	s_mov_b32 s0, 0x3fffff
	v_and_b32_e32 v5, 0x400000, v1
	v_and_or_b32 v0, v1, s0, v0
	v_cmp_ne_u32_e32 vcc, 0, v5
	v_cmp_ne_u32_e64 s[0:1], 0, v0
	s_and_b64 s[0:1], vcc, s[0:1]
	v_lshrrev_b32_e32 v2, 23, v1
	v_cndmask_b32_e64 v0, 0, 1, s[0:1]
	v_add_u32_e32 v2, v2, v0
; %bb.67:
	s_or_b64 exec, exec, s[2:3]
	s_mov_b64 s[2:3], -1
	s_mov_b64 s[0:1], 0
	global_store_byte v[3:4], v2, off
.LBB21_68:
	s_mov_b64 s[6:7], 0
.LBB21_69:
	s_and_b64 vcc, exec, s[6:7]
	s_cbranch_vccz .LBB21_72
; %bb.70:
	s_cmp_eq_u32 s13, 29
	s_mov_b64 s[0:1], -1
	s_cbranch_scc0 .LBB21_72
; %bb.71:
	v_trunc_f32_e32 v0, v1
	v_mul_f32_e32 v2, 0x2f800000, v0
	v_floor_f32_e32 v2, v2
	v_fmac_f32_e32 v0, 0xcf800000, v2
	v_cvt_u32_f32_e32 v6, v2
	v_cvt_u32_f32_e32 v5, v0
	s_mov_b64 s[2:3], -1
	s_mov_b64 s[0:1], 0
	s_mov_b64 s[6:7], 0
	global_store_dwordx2 v[3:4], v[5:6], off
	s_branch .LBB21_73
.LBB21_72:
	s_mov_b64 s[6:7], 0
.LBB21_73:
	s_and_b64 vcc, exec, s[6:7]
	s_cbranch_vccz .LBB21_89
; %bb.74:
	s_cmp_lt_i32 s13, 27
	s_mov_b64 s[2:3], -1
	s_cbranch_scc1 .LBB21_80
; %bb.75:
	v_cvt_u32_f32_e32 v0, v1
	s_cmp_gt_i32 s13, 27
	s_cbranch_scc0 .LBB21_77
; %bb.76:
	s_mov_b64 s[2:3], 0
	global_store_dword v[3:4], v0, off
.LBB21_77:
	s_andn2_b64 vcc, exec, s[2:3]
	s_cbranch_vccnz .LBB21_79
; %bb.78:
	global_store_short v[3:4], v0, off
.LBB21_79:
	s_mov_b64 s[2:3], 0
.LBB21_80:
	s_andn2_b64 vcc, exec, s[2:3]
	s_cbranch_vccnz .LBB21_88
; %bb.81:
	v_and_b32_e32 v0, 0x7fffffff, v1
	s_mov_b32 s2, 0x43800000
	v_cmp_gt_u32_e32 vcc, s2, v0
	v_mov_b32_e32 v2, 0x80
	s_and_saveexec_b64 s[2:3], vcc
	s_cbranch_execz .LBB21_87
; %bb.82:
	s_mov_b32 s6, 0x3bffffff
	v_cmp_lt_u32_e32 vcc, s6, v0
	s_mov_b64 s[6:7], 0
                                        ; implicit-def: $vgpr0
	s_and_saveexec_b64 s[10:11], vcc
	s_xor_b64 s[10:11], exec, s[10:11]
	s_cbranch_execz .LBB21_339
; %bb.83:
	v_bfe_u32 v0, v1, 20, 1
	s_mov_b32 s14, 0x487ffff
	v_add3_u32 v0, v1, v0, s14
	s_mov_b64 s[6:7], exec
	v_lshrrev_b32_e32 v0, 20, v0
	s_andn2_saveexec_b64 s[10:11], s[10:11]
	s_cbranch_execnz .LBB21_340
.LBB21_84:
	s_or_b64 exec, exec, s[10:11]
	v_mov_b32_e32 v2, 0
	s_and_saveexec_b64 s[10:11], s[6:7]
.LBB21_85:
	v_lshrrev_b32_e32 v2, 24, v1
	s_movk_i32 s6, 0x80
	v_and_or_b32 v2, v2, s6, v0
.LBB21_86:
	s_or_b64 exec, exec, s[10:11]
.LBB21_87:
	s_or_b64 exec, exec, s[2:3]
	global_store_byte v[3:4], v2, off
.LBB21_88:
	s_mov_b64 s[2:3], -1
.LBB21_89:
	s_mov_b64 s[6:7], 0
.LBB21_90:
	s_and_b64 vcc, exec, s[6:7]
	s_cbranch_vccz .LBB21_131
; %bb.91:
	s_cmp_gt_i32 s13, 22
	s_mov_b64 s[6:7], -1
	s_cbranch_scc0 .LBB21_123
; %bb.92:
	s_cmp_lt_i32 s13, 24
	s_mov_b64 s[2:3], -1
	s_cbranch_scc1 .LBB21_112
; %bb.93:
	s_cmp_gt_i32 s13, 24
	s_cbranch_scc0 .LBB21_101
; %bb.94:
	v_and_b32_e32 v0, 0x7fffffff, v1
	s_mov_b32 s2, 0x47800000
	v_cmp_gt_u32_e32 vcc, s2, v0
	v_mov_b32_e32 v2, 0x80
	s_and_saveexec_b64 s[2:3], vcc
	s_cbranch_execz .LBB21_100
; %bb.95:
	s_mov_b32 s6, 0x37ffffff
	v_cmp_lt_u32_e32 vcc, s6, v0
	s_mov_b64 s[6:7], 0
                                        ; implicit-def: $vgpr0
	s_and_saveexec_b64 s[10:11], vcc
	s_xor_b64 s[10:11], exec, s[10:11]
	s_cbranch_execz .LBB21_343
; %bb.96:
	v_bfe_u32 v0, v1, 21, 1
	s_mov_b32 s14, 0x88fffff
	v_add3_u32 v0, v1, v0, s14
	s_mov_b64 s[6:7], exec
	v_lshrrev_b32_e32 v0, 21, v0
	s_andn2_saveexec_b64 s[10:11], s[10:11]
	s_cbranch_execnz .LBB21_344
.LBB21_97:
	s_or_b64 exec, exec, s[10:11]
	v_mov_b32_e32 v2, 0
	s_and_saveexec_b64 s[10:11], s[6:7]
.LBB21_98:
	v_lshrrev_b32_e32 v2, 24, v1
	s_movk_i32 s6, 0x80
	v_and_or_b32 v2, v2, s6, v0
.LBB21_99:
	s_or_b64 exec, exec, s[10:11]
.LBB21_100:
	s_or_b64 exec, exec, s[2:3]
	s_mov_b64 s[2:3], 0
	global_store_byte v[3:4], v2, off
.LBB21_101:
	s_and_b64 vcc, exec, s[2:3]
	s_cbranch_vccz .LBB21_111
; %bb.102:
	v_and_b32_e32 v2, 0x7fffffff, v1
	s_mov_b32 s2, 0x43f00000
	v_cmp_gt_u32_e32 vcc, s2, v2
                                        ; implicit-def: $vgpr0
	s_and_saveexec_b64 s[2:3], vcc
	s_xor_b64 s[2:3], exec, s[2:3]
	s_cbranch_execz .LBB21_108
; %bb.103:
	s_mov_b32 s6, 0x3c7fffff
	v_cmp_lt_u32_e32 vcc, s6, v2
                                        ; implicit-def: $vgpr0
	s_and_saveexec_b64 s[6:7], vcc
	s_xor_b64 s[6:7], exec, s[6:7]
; %bb.104:
	v_bfe_u32 v0, v1, 20, 1
	s_mov_b32 s10, 0x407ffff
	v_add3_u32 v0, v1, v0, s10
	v_lshrrev_b32_e32 v2, 20, v0
	v_and_b32_e32 v0, 0xff00000, v0
	s_mov_b32 s10, 0x7f00000
	v_mov_b32_e32 v5, 0x7e
	v_cmp_ne_u32_e32 vcc, s10, v0
	v_cndmask_b32_e32 v0, v5, v2, vcc
; %bb.105:
	s_andn2_saveexec_b64 s[6:7], s[6:7]
; %bb.106:
	s_mov_b32 s10, 0x46800000
	v_add_f32_e64 v0, |v1|, s10
; %bb.107:
	s_or_b64 exec, exec, s[6:7]
                                        ; implicit-def: $vgpr2
.LBB21_108:
	s_andn2_saveexec_b64 s[2:3], s[2:3]
; %bb.109:
	s_mov_b32 s6, 0x7f800000
	v_mov_b32_e32 v0, 0x7e
	v_mov_b32_e32 v5, 0x7f
	v_cmp_lt_u32_e32 vcc, s6, v2
	v_cndmask_b32_e32 v0, v0, v5, vcc
; %bb.110:
	s_or_b64 exec, exec, s[2:3]
	v_lshrrev_b32_e32 v2, 24, v1
	s_movk_i32 s2, 0x80
	v_and_or_b32 v0, v2, s2, v0
	global_store_byte v[3:4], v0, off
.LBB21_111:
	s_mov_b64 s[2:3], 0
.LBB21_112:
	s_andn2_b64 vcc, exec, s[2:3]
	s_cbranch_vccnz .LBB21_122
; %bb.113:
	v_and_b32_e32 v2, 0x7fffffff, v1
	s_mov_b32 s2, 0x47800000
	v_cmp_gt_u32_e32 vcc, s2, v2
                                        ; implicit-def: $vgpr0
	s_and_saveexec_b64 s[2:3], vcc
	s_xor_b64 s[2:3], exec, s[2:3]
	s_cbranch_execz .LBB21_119
; %bb.114:
	s_mov_b32 s6, 0x387fffff
	v_cmp_lt_u32_e32 vcc, s6, v2
                                        ; implicit-def: $vgpr0
	s_and_saveexec_b64 s[6:7], vcc
	s_xor_b64 s[6:7], exec, s[6:7]
; %bb.115:
	v_bfe_u32 v0, v1, 21, 1
	s_mov_b32 s10, 0x80fffff
	v_add3_u32 v0, v1, v0, s10
	v_lshrrev_b32_e32 v0, 21, v0
; %bb.116:
	s_andn2_saveexec_b64 s[6:7], s[6:7]
; %bb.117:
	s_mov_b32 s10, 0x43000000
	v_add_f32_e64 v0, |v1|, s10
; %bb.118:
	s_or_b64 exec, exec, s[6:7]
                                        ; implicit-def: $vgpr2
.LBB21_119:
	s_andn2_saveexec_b64 s[2:3], s[2:3]
; %bb.120:
	s_mov_b32 s6, 0x7f800000
	v_mov_b32_e32 v0, 0x7c
	v_mov_b32_e32 v5, 0x7f
	v_cmp_lt_u32_e32 vcc, s6, v2
	v_cndmask_b32_e32 v0, v0, v5, vcc
; %bb.121:
	s_or_b64 exec, exec, s[2:3]
	v_lshrrev_b32_e32 v2, 24, v1
	s_movk_i32 s2, 0x80
	v_and_or_b32 v0, v2, s2, v0
	global_store_byte v[3:4], v0, off
.LBB21_122:
	s_mov_b64 s[6:7], 0
	s_mov_b64 s[2:3], -1
.LBB21_123:
	s_andn2_b64 vcc, exec, s[6:7]
	s_cbranch_vccnz .LBB21_131
; %bb.124:
	s_cmp_gt_i32 s13, 14
	s_mov_b64 s[6:7], -1
	s_cbranch_scc0 .LBB21_128
; %bb.125:
	s_cmp_eq_u32 s13, 15
	s_mov_b64 s[0:1], -1
	s_cbranch_scc0 .LBB21_127
; %bb.126:
	v_bfe_u32 v0, v1, 16, 1
	s_movk_i32 s0, 0x7fff
	v_add3_u32 v0, v1, v0, s0
	v_cmp_o_f32_e32 vcc, v1, v1
	v_mov_b32_e32 v2, 0x7fc0
	v_cndmask_b32_sdwa v0, v2, v0, vcc dst_sel:DWORD dst_unused:UNUSED_PAD src0_sel:DWORD src1_sel:WORD_1
	global_store_short v[3:4], v0, off
	s_mov_b64 s[2:3], -1
	s_mov_b64 s[0:1], 0
.LBB21_127:
	s_mov_b64 s[6:7], 0
.LBB21_128:
	s_and_b64 vcc, exec, s[6:7]
	s_cbranch_vccz .LBB21_131
; %bb.129:
	s_cmp_eq_u32 s13, 11
	s_mov_b64 s[0:1], -1
	s_cbranch_scc0 .LBB21_131
; %bb.130:
	v_cmp_neq_f32_e32 vcc, 0, v1
	v_cndmask_b32_e64 v0, 0, 1, vcc
	s_mov_b64 s[2:3], -1
	s_mov_b64 s[0:1], 0
	global_store_byte v[3:4], v0, off
.LBB21_131:
	s_branch .LBB21_50
.LBB21_132:
	s_and_b32 s6, 0xffff, s12
	s_cmp_lt_i32 s6, 5
	s_mov_b64 s[2:3], -1
	s_cbranch_scc1 .LBB21_153
; %bb.133:
	s_cmp_lt_i32 s6, 8
	s_cbranch_scc1 .LBB21_143
; %bb.134:
	s_cmp_lt_i32 s6, 9
	s_cbranch_scc1 .LBB21_140
; %bb.135:
	s_cmp_gt_i32 s6, 9
	s_cbranch_scc0 .LBB21_137
; %bb.136:
	v_cvt_f64_f32_e32 v[9:10], v1
	v_mov_b32_e32 v11, 0
	v_mov_b32_e32 v12, v11
	s_mov_b64 s[2:3], 0
	global_store_dwordx4 v[3:4], v[9:12], off
.LBB21_137:
	s_andn2_b64 vcc, exec, s[2:3]
	s_cbranch_vccnz .LBB21_139
; %bb.138:
	v_mov_b32_e32 v2, 0
	global_store_dwordx2 v[3:4], v[1:2], off
.LBB21_139:
	s_mov_b64 s[2:3], 0
.LBB21_140:
	s_andn2_b64 vcc, exec, s[2:3]
	s_cbranch_vccnz .LBB21_142
; %bb.141:
	v_cvt_f16_f32_e32 v0, v1
	global_store_dword v[3:4], v0, off
.LBB21_142:
	s_mov_b64 s[2:3], 0
.LBB21_143:
	s_andn2_b64 vcc, exec, s[2:3]
	s_cbranch_vccnz .LBB21_152
; %bb.144:
	s_cmp_lt_i32 s6, 6
	s_mov_b64 s[2:3], -1
	s_cbranch_scc1 .LBB21_150
; %bb.145:
	s_cmp_gt_i32 s6, 6
	s_cbranch_scc0 .LBB21_147
; %bb.146:
	v_cvt_f64_f32_e32 v[5:6], v1
	s_mov_b64 s[2:3], 0
	global_store_dwordx2 v[3:4], v[5:6], off
.LBB21_147:
	s_andn2_b64 vcc, exec, s[2:3]
	s_cbranch_vccnz .LBB21_149
; %bb.148:
	global_store_dword v[3:4], v1, off
.LBB21_149:
	s_mov_b64 s[2:3], 0
.LBB21_150:
	s_andn2_b64 vcc, exec, s[2:3]
	s_cbranch_vccnz .LBB21_152
; %bb.151:
	v_cvt_f16_f32_e32 v0, v1
	global_store_short v[3:4], v0, off
.LBB21_152:
	s_mov_b64 s[2:3], 0
.LBB21_153:
	s_andn2_b64 vcc, exec, s[2:3]
	s_cbranch_vccnz .LBB21_169
; %bb.154:
	s_cmp_lt_i32 s6, 2
	s_mov_b64 s[2:3], -1
	s_cbranch_scc1 .LBB21_164
; %bb.155:
	s_cmp_lt_i32 s6, 3
	s_cbranch_scc1 .LBB21_161
; %bb.156:
	s_cmp_gt_i32 s6, 3
	s_cbranch_scc0 .LBB21_158
; %bb.157:
	v_trunc_f32_e32 v0, v1
	s_mov_b32 s2, 0x2f800000
	v_mul_f32_e64 v2, |v0|, s2
	v_floor_f32_e32 v2, v2
	s_mov_b32 s2, 0xcf800000
	v_cvt_u32_f32_e32 v5, v2
	v_fma_f32 v2, v2, s2, |v0|
	v_cvt_u32_f32_e32 v2, v2
	v_ashrrev_i32_e32 v0, 31, v0
	v_xor_b32_e32 v6, v5, v0
	s_mov_b64 s[2:3], 0
	v_xor_b32_e32 v2, v2, v0
	v_sub_co_u32_e32 v5, vcc, v2, v0
	v_subb_co_u32_e32 v6, vcc, v6, v0, vcc
	global_store_dwordx2 v[3:4], v[5:6], off
.LBB21_158:
	s_andn2_b64 vcc, exec, s[2:3]
	s_cbranch_vccnz .LBB21_160
; %bb.159:
	v_cvt_i32_f32_e32 v0, v1
	global_store_dword v[3:4], v0, off
.LBB21_160:
	s_mov_b64 s[2:3], 0
.LBB21_161:
	s_andn2_b64 vcc, exec, s[2:3]
	s_cbranch_vccnz .LBB21_163
; %bb.162:
	v_cvt_i32_f32_e32 v0, v1
	global_store_short v[3:4], v0, off
.LBB21_163:
	s_mov_b64 s[2:3], 0
.LBB21_164:
	s_andn2_b64 vcc, exec, s[2:3]
	s_cbranch_vccnz .LBB21_169
; %bb.165:
	s_cmp_gt_i32 s6, 0
	s_mov_b64 s[2:3], -1
	s_cbranch_scc0 .LBB21_167
; %bb.166:
	v_cvt_i32_f32_e32 v0, v1
	s_mov_b64 s[2:3], 0
	global_store_byte v[3:4], v0, off
.LBB21_167:
	s_andn2_b64 vcc, exec, s[2:3]
	s_cbranch_vccnz .LBB21_169
; %bb.168:
	v_trunc_f32_e32 v0, v1
	s_mov_b32 s2, 0x2f800000
	v_mul_f32_e64 v1, |v0|, s2
	v_floor_f32_e32 v1, v1
	s_mov_b32 s2, 0xcf800000
	v_fma_f32 v1, v1, s2, |v0|
	v_cvt_u32_f32_e32 v1, v1
	v_ashrrev_i32_e32 v0, 31, v0
	v_xor_b32_e32 v1, v1, v0
	v_sub_u32_e32 v0, v1, v0
	global_store_byte v[3:4], v0, off
.LBB21_169:
.LBB21_170:
	v_add_u32_e32 v8, 0x80, v8
	s_mov_b64 s[2:3], -1
	s_branch .LBB21_281
.LBB21_171:
	s_mov_b64 s[8:9], -1
                                        ; implicit-def: $vgpr3
.LBB21_172:
	s_mov_b64 s[2:3], 0
.LBB21_173:
	s_and_b64 vcc, exec, s[2:3]
	s_cbranch_vccz .LBB21_177
; %bb.174:
	s_cmp_eq_u32 s10, 29
	s_cbranch_scc0 .LBB21_176
; %bb.175:
	global_load_dwordx2 v[3:4], v[1:2], off
	s_mov_b64 s[0:1], -1
	s_mov_b64 s[8:9], 0
	s_mov_b64 s[2:3], 0
	s_waitcnt vmcnt(0)
	v_ffbh_u32_e32 v5, v4
	v_min_u32_e32 v5, 32, v5
	v_lshlrev_b64 v[3:4], v5, v[3:4]
	v_min_u32_e32 v3, 1, v3
	v_or_b32_e32 v3, v4, v3
	v_cvt_f32_u32_e32 v3, v3
	v_sub_u32_e32 v4, 32, v5
	v_ldexp_f32 v3, v3, v4
	s_branch .LBB21_178
.LBB21_176:
	s_mov_b64 s[8:9], -1
                                        ; implicit-def: $vgpr3
.LBB21_177:
	s_mov_b64 s[2:3], 0
.LBB21_178:
	s_and_b64 vcc, exec, s[2:3]
	s_cbranch_vccz .LBB21_196
; %bb.179:
	s_cmp_lt_i32 s10, 27
	s_cbranch_scc1 .LBB21_182
; %bb.180:
	s_cmp_gt_i32 s10, 27
	s_cbranch_scc0 .LBB21_183
; %bb.181:
	global_load_dword v3, v[1:2], off
	s_mov_b64 s[0:1], 0
	s_waitcnt vmcnt(0)
	v_cvt_f32_u32_e32 v3, v3
	s_branch .LBB21_184
.LBB21_182:
	s_mov_b64 s[0:1], -1
                                        ; implicit-def: $vgpr3
	s_branch .LBB21_187
.LBB21_183:
	s_mov_b64 s[0:1], -1
                                        ; implicit-def: $vgpr3
.LBB21_184:
	s_andn2_b64 vcc, exec, s[0:1]
	s_cbranch_vccnz .LBB21_186
; %bb.185:
	global_load_ushort v3, v[1:2], off
	s_waitcnt vmcnt(0)
	v_cvt_f32_u32_e32 v3, v3
.LBB21_186:
	s_mov_b64 s[0:1], 0
.LBB21_187:
	s_andn2_b64 vcc, exec, s[0:1]
	s_cbranch_vccnz .LBB21_195
; %bb.188:
	global_load_ubyte v4, v[1:2], off
	s_movk_i32 s0, 0x7f
	s_waitcnt vmcnt(0)
	v_cmp_lt_i16_e32 vcc, s0, v4
	s_mov_b64 s[0:1], 0
	s_and_saveexec_b64 s[2:3], vcc
	s_xor_b64 s[2:3], exec, s[2:3]
	s_cbranch_execz .LBB21_208
; %bb.189:
	s_movk_i32 s0, 0x80
	v_cmp_eq_u16_e32 vcc, s0, v4
	s_mov_b64 s[0:1], -1
	s_and_saveexec_b64 s[6:7], vcc
; %bb.190:
	s_xor_b64 s[0:1], exec, -1
; %bb.191:
	s_or_b64 exec, exec, s[6:7]
	s_and_b64 s[0:1], s[0:1], exec
	s_or_saveexec_b64 s[2:3], s[2:3]
	v_mov_b32_e32 v3, 0x7f800001
	s_xor_b64 exec, exec, s[2:3]
	s_cbranch_execnz .LBB21_209
.LBB21_192:
	s_or_b64 exec, exec, s[2:3]
	s_and_saveexec_b64 s[2:3], s[0:1]
	s_cbranch_execz .LBB21_194
.LBB21_193:
	v_lshlrev_b32_e32 v3, 24, v4
	v_and_b32_e32 v4, 0xffff, v4
	v_and_b32_e32 v5, 7, v4
	v_ffbh_u32_e32 v7, v5
	v_min_u32_e32 v7, 32, v7
	v_subrev_u32_e32 v9, 28, v7
	v_bfe_u32 v6, v4, 3, 4
	v_lshlrev_b32_e32 v4, v9, v4
	v_sub_u32_e32 v7, 29, v7
	v_and_b32_e32 v4, 7, v4
	v_cmp_eq_u32_e32 vcc, 0, v6
	v_cndmask_b32_e32 v6, v6, v7, vcc
	v_cndmask_b32_e32 v4, v5, v4, vcc
	v_mov_b32_e32 v5, 0x3b800000
	v_lshlrev_b32_e32 v4, 20, v4
	v_and_b32_e32 v3, 0x80000000, v3
	v_lshl_add_u32 v5, v6, 23, v5
	v_or3_b32 v3, v3, v5, v4
.LBB21_194:
	s_or_b64 exec, exec, s[2:3]
.LBB21_195:
	s_mov_b64 s[0:1], -1
.LBB21_196:
	s_branch .LBB21_231
.LBB21_197:
	s_cmp_gt_i32 s10, 22
	s_cbranch_scc0 .LBB21_207
; %bb.198:
	s_cmp_lt_i32 s10, 24
	s_cbranch_scc1 .LBB21_210
; %bb.199:
	s_cmp_gt_i32 s10, 24
	s_cbranch_scc0 .LBB21_211
; %bb.200:
	global_load_ubyte v4, v[1:2], off
	s_movk_i32 s0, 0x7f
	s_waitcnt vmcnt(0)
	v_cmp_lt_i16_e32 vcc, s0, v4
	s_mov_b64 s[0:1], 0
	s_and_saveexec_b64 s[2:3], vcc
	s_xor_b64 s[2:3], exec, s[2:3]
	s_cbranch_execz .LBB21_223
; %bb.201:
	s_movk_i32 s0, 0x80
	v_cmp_eq_u16_e32 vcc, s0, v4
	s_mov_b64 s[0:1], -1
	s_and_saveexec_b64 s[6:7], vcc
; %bb.202:
	s_xor_b64 s[0:1], exec, -1
; %bb.203:
	s_or_b64 exec, exec, s[6:7]
	s_and_b64 s[0:1], s[0:1], exec
	s_or_saveexec_b64 s[2:3], s[2:3]
	v_mov_b32_e32 v3, 0x7f800001
	s_xor_b64 exec, exec, s[2:3]
	s_cbranch_execnz .LBB21_224
.LBB21_204:
	s_or_b64 exec, exec, s[2:3]
	s_and_saveexec_b64 s[2:3], s[0:1]
	s_cbranch_execz .LBB21_206
.LBB21_205:
	v_lshlrev_b32_e32 v3, 24, v4
	v_and_b32_e32 v4, 0xffff, v4
	v_and_b32_e32 v5, 3, v4
	v_ffbh_u32_e32 v7, v5
	v_min_u32_e32 v7, 32, v7
	v_subrev_u32_e32 v9, 29, v7
	v_bfe_u32 v6, v4, 2, 5
	v_lshlrev_b32_e32 v4, v9, v4
	v_sub_u32_e32 v7, 30, v7
	v_and_b32_e32 v4, 3, v4
	v_cmp_eq_u32_e32 vcc, 0, v6
	v_cndmask_b32_e32 v6, v6, v7, vcc
	v_cndmask_b32_e32 v4, v5, v4, vcc
	v_mov_b32_e32 v5, 0x37800000
	v_lshlrev_b32_e32 v4, 21, v4
	v_and_b32_e32 v3, 0x80000000, v3
	v_lshl_add_u32 v5, v6, 23, v5
	v_or3_b32 v3, v3, v5, v4
.LBB21_206:
	s_or_b64 exec, exec, s[2:3]
	s_mov_b64 s[0:1], 0
	s_branch .LBB21_212
.LBB21_207:
	s_mov_b64 s[2:3], -1
                                        ; implicit-def: $vgpr3
	s_branch .LBB21_218
.LBB21_208:
	s_or_saveexec_b64 s[2:3], s[2:3]
	v_mov_b32_e32 v3, 0x7f800001
	s_xor_b64 exec, exec, s[2:3]
	s_cbranch_execz .LBB21_192
.LBB21_209:
	v_cmp_ne_u16_e32 vcc, 0, v4
	s_andn2_b64 s[0:1], s[0:1], exec
	s_and_b64 s[6:7], vcc, exec
	v_mov_b32_e32 v3, 0
	s_or_b64 s[0:1], s[0:1], s[6:7]
	s_or_b64 exec, exec, s[2:3]
	s_and_saveexec_b64 s[2:3], s[0:1]
	s_cbranch_execnz .LBB21_193
	s_branch .LBB21_194
.LBB21_210:
	s_mov_b64 s[0:1], -1
                                        ; implicit-def: $vgpr3
	s_branch .LBB21_215
.LBB21_211:
	s_mov_b64 s[0:1], -1
                                        ; implicit-def: $vgpr3
.LBB21_212:
	s_and_b64 vcc, exec, s[0:1]
	s_cbranch_vccz .LBB21_214
; %bb.213:
	global_load_ubyte v3, v[1:2], off
	s_mov_b32 s0, 0x7f800000
	s_waitcnt vmcnt(0)
	v_lshlrev_b32_e32 v3, 24, v3
	v_and_b32_e32 v4, 0x7f000000, v3
	v_ffbh_u32_e32 v5, v4
	v_min_u32_e32 v5, 32, v5
	v_sub_u32_e64 v5, v5, 4 clamp
	v_lshlrev_b32_e32 v7, v5, v4
	v_lshlrev_b32_e32 v5, 23, v5
	v_lshrrev_b32_e32 v7, 4, v7
	v_add_u32_e32 v6, 0x1000000, v4
	v_sub_u32_e32 v5, v7, v5
	v_ashrrev_i32_e32 v6, 8, v6
	v_add_u32_e32 v5, 0x3c000000, v5
	v_and_or_b32 v5, v6, s0, v5
	v_cmp_ne_u32_e32 vcc, 0, v4
	v_cndmask_b32_e32 v4, 0, v5, vcc
	s_brev_b32 s0, 1
	v_and_or_b32 v3, v3, s0, v4
.LBB21_214:
	s_mov_b64 s[0:1], 0
.LBB21_215:
	s_andn2_b64 vcc, exec, s[0:1]
	s_cbranch_vccnz .LBB21_217
; %bb.216:
	global_load_ubyte v3, v[1:2], off
	s_movk_i32 s0, 0x7f00
	s_brev_b32 s1, 16
	s_waitcnt vmcnt(0)
	v_lshlrev_b16_e32 v4, 8, v3
	v_lshlrev_b32_e32 v3, 25, v3
	v_lshrrev_b32_e32 v5, 4, v3
	v_and_or_b32 v6, v4, s0, 0.5
	v_or_b32_e32 v5, 0x70000000, v5
	v_add_f32_e32 v6, -0.5, v6
	v_mul_f32_e32 v5, 0x7800000, v5
	v_cmp_gt_u32_e32 vcc, s1, v3
	v_bfe_i32 v4, v4, 0, 16
	v_cndmask_b32_e32 v3, v5, v6, vcc
	s_brev_b32 s0, 1
	v_and_or_b32 v3, v4, s0, v3
.LBB21_217:
	s_mov_b64 s[2:3], 0
	s_mov_b64 s[0:1], -1
.LBB21_218:
	s_andn2_b64 vcc, exec, s[2:3]
	s_cbranch_vccnz .LBB21_231
; %bb.219:
	s_cmp_gt_i32 s10, 14
	s_cbranch_scc0 .LBB21_222
; %bb.220:
	s_cmp_eq_u32 s10, 15
	s_cbranch_scc0 .LBB21_225
; %bb.221:
	global_load_ushort v3, v[1:2], off
	s_mov_b64 s[0:1], -1
	s_mov_b64 s[8:9], 0
	s_waitcnt vmcnt(0)
	v_lshlrev_b32_e32 v3, 16, v3
	s_branch .LBB21_226
.LBB21_222:
	s_mov_b64 s[2:3], -1
                                        ; implicit-def: $vgpr3
	s_branch .LBB21_227
.LBB21_223:
	s_or_saveexec_b64 s[2:3], s[2:3]
	v_mov_b32_e32 v3, 0x7f800001
	s_xor_b64 exec, exec, s[2:3]
	s_cbranch_execz .LBB21_204
.LBB21_224:
	v_cmp_ne_u16_e32 vcc, 0, v4
	s_andn2_b64 s[0:1], s[0:1], exec
	s_and_b64 s[6:7], vcc, exec
	v_mov_b32_e32 v3, 0
	s_or_b64 s[0:1], s[0:1], s[6:7]
	s_or_b64 exec, exec, s[2:3]
	s_and_saveexec_b64 s[2:3], s[0:1]
	s_cbranch_execnz .LBB21_205
	s_branch .LBB21_206
.LBB21_225:
	s_mov_b64 s[8:9], -1
                                        ; implicit-def: $vgpr3
.LBB21_226:
	s_mov_b64 s[2:3], 0
.LBB21_227:
	s_and_b64 vcc, exec, s[2:3]
	s_cbranch_vccz .LBB21_231
; %bb.228:
	s_cmp_eq_u32 s10, 11
	s_cbranch_scc0 .LBB21_230
; %bb.229:
	global_load_ubyte v3, v[1:2], off
	s_mov_b64 s[0:1], -1
	s_mov_b64 s[8:9], 0
	s_waitcnt vmcnt(0)
	v_cmp_ne_u16_e32 vcc, 0, v3
	v_cndmask_b32_e64 v3, 0, 1.0, vcc
	s_branch .LBB21_231
.LBB21_230:
	s_mov_b64 s[8:9], -1
                                        ; implicit-def: $vgpr3
.LBB21_231:
	s_branch .LBB21_24
.LBB21_232:
	s_cmp_lt_i32 s10, 5
	s_cbranch_scc1 .LBB21_237
; %bb.233:
	s_cmp_lt_i32 s10, 8
	s_cbranch_scc1 .LBB21_238
; %bb.234:
	;; [unrolled: 3-line block ×3, first 2 shown]
	s_cmp_gt_i32 s10, 9
	s_cbranch_scc0 .LBB21_240
; %bb.236:
	global_load_dwordx2 v[3:4], v[1:2], off
	s_mov_b64 s[0:1], 0
	s_waitcnt vmcnt(0)
	v_cvt_f32_f64_e32 v3, v[3:4]
	s_branch .LBB21_241
.LBB21_237:
                                        ; implicit-def: $vgpr3
	s_branch .LBB21_259
.LBB21_238:
	s_mov_b64 s[0:1], -1
                                        ; implicit-def: $vgpr3
	s_branch .LBB21_247
.LBB21_239:
	s_mov_b64 s[0:1], -1
                                        ; implicit-def: $vgpr3
	s_branch .LBB21_244
.LBB21_240:
	s_mov_b64 s[0:1], -1
                                        ; implicit-def: $vgpr3
.LBB21_241:
	s_andn2_b64 vcc, exec, s[0:1]
	s_cbranch_vccnz .LBB21_243
; %bb.242:
	global_load_dword v3, v[1:2], off
.LBB21_243:
	s_mov_b64 s[0:1], 0
.LBB21_244:
	s_andn2_b64 vcc, exec, s[0:1]
	s_cbranch_vccnz .LBB21_246
; %bb.245:
	global_load_dword v3, v[1:2], off
	s_waitcnt vmcnt(0)
	v_cvt_f32_f16_e32 v3, v3
.LBB21_246:
	s_mov_b64 s[0:1], 0
.LBB21_247:
	s_andn2_b64 vcc, exec, s[0:1]
	s_cbranch_vccnz .LBB21_258
; %bb.248:
	s_cmp_lt_i32 s10, 6
	s_cbranch_scc1 .LBB21_251
; %bb.249:
	s_cmp_gt_i32 s10, 6
	s_cbranch_scc0 .LBB21_252
; %bb.250:
	global_load_dwordx2 v[3:4], v[1:2], off
	s_mov_b64 s[0:1], 0
	s_waitcnt vmcnt(0)
	v_cvt_f32_f64_e32 v3, v[3:4]
	s_branch .LBB21_253
.LBB21_251:
	s_mov_b64 s[0:1], -1
                                        ; implicit-def: $vgpr3
	s_branch .LBB21_256
.LBB21_252:
	s_mov_b64 s[0:1], -1
                                        ; implicit-def: $vgpr3
.LBB21_253:
	s_andn2_b64 vcc, exec, s[0:1]
	s_cbranch_vccnz .LBB21_255
; %bb.254:
	global_load_dword v3, v[1:2], off
.LBB21_255:
	s_mov_b64 s[0:1], 0
.LBB21_256:
	s_andn2_b64 vcc, exec, s[0:1]
	s_cbranch_vccnz .LBB21_258
; %bb.257:
	global_load_ushort v3, v[1:2], off
	s_waitcnt vmcnt(0)
	v_cvt_f32_f16_e32 v3, v3
.LBB21_258:
	s_cbranch_execnz .LBB21_278
.LBB21_259:
	s_cmp_lt_i32 s10, 2
	s_cbranch_scc1 .LBB21_263
; %bb.260:
	s_cmp_lt_i32 s10, 3
	s_cbranch_scc1 .LBB21_264
; %bb.261:
	s_cmp_gt_i32 s10, 3
	s_cbranch_scc0 .LBB21_265
; %bb.262:
	global_load_dwordx2 v[3:4], v[1:2], off
	s_mov_b64 s[0:1], 0
	s_waitcnt vmcnt(0)
	v_xor_b32_e32 v6, v3, v4
	v_ffbh_i32_e32 v5, v4
	v_ashrrev_i32_e32 v6, 31, v6
	v_add_u32_e32 v5, -1, v5
	v_add_u32_e32 v6, 32, v6
	v_min_u32_e32 v5, v5, v6
	v_lshlrev_b64 v[3:4], v5, v[3:4]
	v_min_u32_e32 v3, 1, v3
	v_or_b32_e32 v3, v4, v3
	v_cvt_f32_i32_e32 v3, v3
	v_sub_u32_e32 v4, 32, v5
	v_ldexp_f32 v3, v3, v4
	s_branch .LBB21_266
.LBB21_263:
	s_mov_b64 s[0:1], -1
                                        ; implicit-def: $vgpr3
	s_branch .LBB21_272
.LBB21_264:
	s_mov_b64 s[0:1], -1
                                        ; implicit-def: $vgpr3
	s_branch .LBB21_269
.LBB21_265:
	s_mov_b64 s[0:1], -1
                                        ; implicit-def: $vgpr3
.LBB21_266:
	s_andn2_b64 vcc, exec, s[0:1]
	s_cbranch_vccnz .LBB21_268
; %bb.267:
	global_load_dword v3, v[1:2], off
	s_waitcnt vmcnt(0)
	v_cvt_f32_i32_e32 v3, v3
.LBB21_268:
	s_mov_b64 s[0:1], 0
.LBB21_269:
	s_andn2_b64 vcc, exec, s[0:1]
	s_cbranch_vccnz .LBB21_271
; %bb.270:
	global_load_sshort v3, v[1:2], off
	s_waitcnt vmcnt(0)
	v_cvt_f32_i32_e32 v3, v3
.LBB21_271:
	s_mov_b64 s[0:1], 0
.LBB21_272:
	s_andn2_b64 vcc, exec, s[0:1]
	s_cbranch_vccnz .LBB21_278
; %bb.273:
	s_cmp_gt_i32 s10, 0
	s_cbranch_scc0 .LBB21_275
; %bb.274:
	global_load_sbyte v3, v[1:2], off
	s_mov_b64 s[0:1], 0
	s_waitcnt vmcnt(0)
	v_cvt_f32_i32_e32 v3, v3
	s_branch .LBB21_276
.LBB21_275:
	s_mov_b64 s[0:1], -1
                                        ; implicit-def: $vgpr3
.LBB21_276:
	s_andn2_b64 vcc, exec, s[0:1]
	s_cbranch_vccnz .LBB21_278
; %bb.277:
	global_load_ubyte v1, v[1:2], off
	s_waitcnt vmcnt(0)
	v_cvt_f32_ubyte0_e32 v3, v1
.LBB21_278:
	s_branch .LBB21_25
.LBB21_279:
	s_mov_b64 s[0:1], 0
.LBB21_280:
	s_mov_b64 s[2:3], 0
                                        ; implicit-def: $vgpr8
.LBB21_281:
	s_and_b64 s[54:55], s[0:1], exec
	s_and_b64 s[56:57], s[8:9], exec
	s_orn2_b64 s[2:3], s[2:3], exec
.LBB21_282:
	s_or_b64 exec, exec, s[58:59]
	s_mov_b64 s[6:7], 0
	s_mov_b64 s[0:1], 0
                                        ; implicit-def: $vgpr1_vgpr2
                                        ; implicit-def: $vgpr0
                                        ; implicit-def: $vgpr5
	s_and_saveexec_b64 s[58:59], s[2:3]
	s_cbranch_execz .LBB21_289
; %bb.283:
	v_cmp_gt_i32_e32 vcc, s70, v8
	s_mov_b64 s[0:1], -1
	s_mov_b64 s[60:61], s[56:57]
	s_mov_b64 s[62:63], s[54:55]
	s_and_saveexec_b64 s[64:65], vcc
	s_cbranch_execz .LBB21_574
; %bb.284:
	s_andn2_b64 vcc, exec, s[42:43]
	s_cbranch_vccnz .LBB21_292
; %bb.285:
	s_andn2_b64 vcc, exec, s[52:53]
	s_cbranch_vccnz .LBB21_293
; %bb.286:
	s_add_i32 s63, s75, 1
	s_cmp_eq_u32 s72, 2
	s_cbranch_scc1 .LBB21_294
; %bb.287:
	s_and_b32 s62, s63, 28
	v_mov_b32_e32 v2, 0
	s_mov_b32 s66, 0
	s_mov_b64 s[6:7], s[34:35]
	s_mov_b64 s[60:61], s[50:51]
	v_mov_b32_e32 v0, 0
	v_mov_b32_e32 v1, v8
.LBB21_288:                             ; =>This Inner Loop Header: Depth=1
	s_load_dwordx8 s[16:23], s[6:7], 0x4
	s_load_dwordx4 s[0:3], s[6:7], 0x24
	s_load_dwordx8 s[8:15], s[60:61], 0x0
	s_add_u32 s6, s6, 48
	s_addc_u32 s7, s7, 0
	s_waitcnt vmcnt(0) lgkmcnt(0)
	v_mul_hi_u32 v3, s17, v1
	s_add_i32 s66, s66, 4
	s_add_u32 s60, s60, 32
	s_addc_u32 s61, s61, 0
	v_add_u32_e32 v3, v1, v3
	v_lshrrev_b32_e32 v3, s18, v3
	v_mul_lo_u32 v4, v3, s16
	v_mul_hi_u32 v5, s20, v3
	s_cmp_eq_u32 s62, s66
	v_sub_u32_e32 v1, v1, v4
	v_add_u32_e32 v4, v3, v5
	v_mul_lo_u32 v5, v1, s8
	v_mul_lo_u32 v6, v1, s9
	v_lshrrev_b32_e32 v1, s21, v4
	v_mul_lo_u32 v4, v1, s19
	v_mul_hi_u32 v7, s23, v1
	v_sub_u32_e32 v3, v3, v4
	v_add_u32_e32 v4, v1, v7
	v_lshrrev_b32_e32 v4, s0, v4
	v_mul_hi_u32 v9, s2, v4
	v_mul_lo_u32 v10, v4, s22
	v_mul_lo_u32 v7, v3, s10
	;; [unrolled: 1-line block ×3, first 2 shown]
	v_sub_u32_e32 v10, v1, v10
	v_add_u32_e32 v1, v4, v9
	v_lshrrev_b32_e32 v1, s3, v1
	v_mul_lo_u32 v9, v1, s1
	v_mul_lo_u32 v11, v10, s12
	;; [unrolled: 1-line block ×3, first 2 shown]
	v_add3_u32 v0, v5, v0, v7
	v_sub_u32_e32 v4, v4, v9
	v_mul_lo_u32 v9, v4, s14
	v_mul_lo_u32 v4, v4, s15
	v_add3_u32 v2, v6, v2, v3
	v_add3_u32 v0, v11, v0, v9
	;; [unrolled: 1-line block ×3, first 2 shown]
	s_cbranch_scc0 .LBB21_288
	s_branch .LBB21_295
.LBB21_289:
	s_or_b64 exec, exec, s[58:59]
	s_mov_b64 s[8:9], 0
	s_and_saveexec_b64 s[2:3], s[56:57]
	s_cbranch_execnz .LBB21_966
.LBB21_290:
	s_or_b64 exec, exec, s[2:3]
	s_and_saveexec_b64 s[2:3], s[62:63]
	s_xor_b64 s[2:3], exec, s[2:3]
	s_cbranch_execz .LBB21_967
.LBB21_291:
	global_load_ubyte v3, v[1:2], off
	s_or_b64 s[0:1], s[0:1], exec
	s_waitcnt vmcnt(0)
	v_cmp_ne_u16_e32 vcc, 0, v3
	v_cndmask_b32_e64 v5, 0, 1.0, vcc
	s_or_b64 exec, exec, s[2:3]
	s_and_saveexec_b64 s[2:3], s[6:7]
	s_cbranch_execz .LBB21_1013
	s_branch .LBB21_968
.LBB21_292:
                                        ; implicit-def: $vgpr0
                                        ; implicit-def: $vgpr2
	s_andn2_b64 vcc, exec, s[0:1]
	s_cbranch_vccz .LBB21_299
	s_branch .LBB21_301
.LBB21_293:
	v_mov_b32_e32 v0, 0
	v_mov_b32_e32 v2, 0
	s_branch .LBB21_298
.LBB21_294:
	s_mov_b32 s62, 0
	v_mov_b32_e32 v0, 0
	v_mov_b32_e32 v2, 0
	;; [unrolled: 1-line block ×3, first 2 shown]
.LBB21_295:
	s_and_b32 s6, s63, 3
	s_cmp_eq_u32 s6, 0
	s_cbranch_scc1 .LBB21_298
; %bb.296:
	s_lshl_b32 s0, s62, 3
	s_add_u32 s0, s34, s0
	s_addc_u32 s1, s35, 0
	s_add_u32 s0, s0, 0xc4
	s_addc_u32 s1, s1, 0
	s_mul_i32 s2, s62, 12
	s_add_u32 s2, s34, s2
	s_addc_u32 s3, s35, 0
.LBB21_297:                             ; =>This Inner Loop Header: Depth=1
	s_load_dwordx2 s[8:9], s[2:3], 0x4
	s_load_dword s7, s[2:3], 0xc
	s_load_dwordx2 s[10:11], s[0:1], 0x0
	s_add_u32 s2, s2, 12
	s_addc_u32 s3, s3, 0
	s_waitcnt vmcnt(0) lgkmcnt(0)
	v_mul_hi_u32 v3, s9, v1
	s_add_u32 s0, s0, 8
	s_addc_u32 s1, s1, 0
	s_add_i32 s6, s6, -1
	v_add_u32_e32 v3, v1, v3
	v_lshrrev_b32_e32 v4, s7, v3
	v_mul_lo_u32 v3, v4, s8
	s_cmp_lg_u32 s6, 0
	v_sub_u32_e32 v3, v1, v3
	v_mad_u64_u32 v[0:1], s[8:9], v3, s10, v[0:1]
	v_mad_u64_u32 v[2:3], s[8:9], v3, s11, v[2:3]
	v_mov_b32_e32 v1, v4
	s_cbranch_scc1 .LBB21_297
.LBB21_298:
	s_cbranch_execnz .LBB21_301
.LBB21_299:
	s_waitcnt lgkmcnt(0)
	v_mul_hi_u32 v0, s37, v8
	s_andn2_b64 vcc, exec, s[48:49]
	v_add_u32_e32 v0, v8, v0
	v_lshrrev_b32_e32 v1, s38, v0
	v_mul_lo_u32 v0, v1, s36
	v_sub_u32_e32 v2, v8, v0
	v_mul_lo_u32 v0, v2, s28
	v_mul_lo_u32 v2, v2, s29
	s_cbranch_vccnz .LBB21_301
; %bb.300:
	s_waitcnt vmcnt(0)
	v_mul_hi_u32 v3, s46, v1
	v_add_u32_e32 v3, v1, v3
	v_lshrrev_b32_e32 v3, s47, v3
	v_mul_lo_u32 v3, v3, s39
	v_sub_u32_e32 v3, v1, v3
	v_mad_u64_u32 v[0:1], s[0:1], v3, s30, v[0:1]
	v_mad_u64_u32 v[2:3], s[0:1], v3, s31, v[2:3]
.LBB21_301:
	s_waitcnt vmcnt(0) lgkmcnt(0)
	v_mov_b32_e32 v3, s27
	s_and_b32 s10, 0xffff, s74
	v_add_co_u32_e32 v1, vcc, s26, v2
	s_cmp_lt_i32 s10, 11
	v_addc_co_u32_e32 v2, vcc, 0, v3, vcc
	s_cbranch_scc1 .LBB21_308
; %bb.302:
	s_cmp_gt_i32 s10, 25
	s_cbranch_scc0 .LBB21_319
; %bb.303:
	s_cmp_gt_i32 s10, 28
	s_cbranch_scc0 .LBB21_335
	;; [unrolled: 3-line block ×4, first 2 shown]
; %bb.306:
	s_cmp_eq_u32 s10, 46
	s_mov_b64 s[2:3], 0
	s_cbranch_scc0 .LBB21_345
; %bb.307:
	global_load_dword v3, v[1:2], off
	s_mov_b64 s[0:1], -1
	s_mov_b64 s[8:9], 0
	s_waitcnt vmcnt(0)
	v_lshlrev_b32_e32 v3, 16, v3
	s_branch .LBB21_346
.LBB21_308:
	s_mov_b64 s[0:1], 0
                                        ; implicit-def: $vgpr3
	s_mov_b64 s[8:9], s[56:57]
	s_cbranch_execnz .LBB21_523
.LBB21_309:
	s_andn2_b64 vcc, exec, s[0:1]
	s_cbranch_vccnz .LBB21_571
.LBB21_310:
	s_waitcnt vmcnt(0)
	v_cmp_gt_f32_e32 vcc, 0, v3
	v_cndmask_b32_e64 v2, v3, -v3, vcc
	s_mov_b32 s0, 0x40a00000
	v_cmp_ge_f32_e32 vcc, s0, v2
                                        ; implicit-def: $vgpr1
	s_and_saveexec_b64 s[0:1], vcc
	s_xor_b64 s[0:1], exec, s[0:1]
	s_cbranch_execz .LBB21_316
; %bb.311:
	s_mov_b32 s2, 0x3727c5ac
	v_cmp_ngt_f32_e32 vcc, s2, v2
	v_mul_f32_e32 v2, v2, v2
                                        ; implicit-def: $vgpr1
	s_and_saveexec_b64 s[2:3], vcc
	s_xor_b64 s[2:3], exec, s[2:3]
	s_cbranch_execz .LBB21_313
; %bb.312:
	v_mov_b32_e32 v1, 0xcf8ee29d
	v_fmac_f32_e32 v1, 0, v2
	v_mov_b32_e32 v3, 0x53e3ba8e
	v_fmac_f32_e32 v3, v2, v1
	;; [unrolled: 2-line block ×12, first 2 shown]
	v_add_f32_e32 v1, 0xc0b90fdc, v2
	v_add_f32_e32 v2, 0xc1f3c525, v2
	v_mul_f32_e32 v1, v1, v2
	v_mul_f32_e32 v1, v1, v3
	v_div_scale_f32 v2, s[6:7], v4, v4, v1
	v_div_scale_f32 v3, vcc, v1, v4, v1
	v_rcp_f32_e32 v5, v2
	v_fma_f32 v6, -v2, v5, 1.0
	v_fmac_f32_e32 v5, v6, v5
	v_mul_f32_e32 v6, v3, v5
	v_fma_f32 v7, -v2, v6, v3
	v_fmac_f32_e32 v6, v7, v5
	v_fma_f32 v2, -v2, v6, v3
	v_div_fmas_f32 v2, v2, v5, v6
	v_div_fixup_f32 v1, v2, v4, v1
                                        ; implicit-def: $vgpr2
.LBB21_313:
	s_andn2_saveexec_b64 s[2:3], s[2:3]
; %bb.314:
	s_mov_b32 s6, 0xbe800000
	v_fma_f32 v1, v2, s6, 1.0
; %bb.315:
	s_or_b64 exec, exec, s[2:3]
                                        ; implicit-def: $vgpr2
.LBB21_316:
	s_andn2_saveexec_b64 s[10:11], s[0:1]
	s_cbranch_execz .LBB21_327
; %bb.317:
	v_add_f32_e32 v1, 0xbf490fdb, v2
	s_brev_b32 s0, 18
	v_and_b32_e32 v3, 0x7fffffff, v1
	v_cmp_nlt_f32_e64 s[12:13], |v1|, s0
                                        ; implicit-def: $vgpr4
                                        ; implicit-def: $vgpr5
	s_and_saveexec_b64 s[0:1], s[12:13]
	s_xor_b64 s[14:15], exec, s[0:1]
	s_cbranch_execz .LBB21_320
; %bb.318:
	v_and_b32_e32 v4, 0x7fffff, v3
	v_or_b32_e32 v7, 0x800000, v4
	s_mov_b32 s0, 0xfe5163ab
	v_mad_u64_u32 v[4:5], s[0:1], v7, s0, 0
	v_mov_b32_e32 v6, 0
	s_mov_b32 s0, 0x3c439041
	v_mad_u64_u32 v[9:10], s[0:1], v7, s0, v[5:6]
	s_mov_b32 s0, 0xdb629599
	v_not_b32_e32 v14, 63
	v_mov_b32_e32 v5, v10
	v_mad_u64_u32 v[10:11], s[0:1], v7, s0, v[5:6]
	s_mov_b32 s0, 0xf534ddc0
	v_not_b32_e32 v16, 31
	v_mov_b32_e32 v5, v11
	v_mad_u64_u32 v[11:12], s[0:1], v7, s0, v[5:6]
	v_lshrrev_b32_e32 v5, 23, v3
	v_add_u32_e32 v15, 0xffffff88, v5
	v_mov_b32_e32 v5, v12
	s_mov_b32 s0, 0xfc2757d1
	v_mad_u64_u32 v[12:13], s[0:1], v7, s0, v[5:6]
	v_cmp_lt_u32_e32 vcc, 63, v15
	v_cndmask_b32_e32 v5, 0, v14, vcc
	v_add_u32_e32 v15, v5, v15
	v_mov_b32_e32 v5, v13
	s_mov_b32 s0, 0x4e441529
	v_mad_u64_u32 v[13:14], s[0:1], v7, s0, v[5:6]
	v_cmp_lt_u32_e64 s[0:1], 31, v15
	v_cndmask_b32_e64 v5, 0, v16, s[0:1]
	v_add_u32_e32 v15, v5, v15
	v_mov_b32_e32 v5, v14
	s_mov_b32 s2, 0xa2f9836e
	v_mad_u64_u32 v[5:6], s[2:3], v7, s2, v[5:6]
	v_cmp_lt_u32_e64 s[2:3], 31, v15
	v_cndmask_b32_e64 v7, 0, v16, s[2:3]
	v_cndmask_b32_e32 v14, v13, v11, vcc
	v_cndmask_b32_e32 v5, v5, v12, vcc
	v_cndmask_b32_e32 v6, v6, v13, vcc
	v_add_u32_e32 v7, v7, v15
	v_cndmask_b32_e64 v15, v5, v14, s[0:1]
	v_cndmask_b32_e64 v5, v6, v5, s[0:1]
	v_cndmask_b32_e32 v6, v12, v10, vcc
	v_cndmask_b32_e64 v12, v14, v6, s[0:1]
	v_cndmask_b32_e64 v5, v5, v15, s[2:3]
	;; [unrolled: 1-line block ×3, first 2 shown]
	v_sub_u32_e32 v14, 32, v7
	v_alignbit_b32 v15, v5, v13, v14
	v_cmp_eq_u32_e64 s[6:7], 0, v7
	v_cndmask_b32_e64 v7, v15, v5, s[6:7]
	v_cndmask_b32_e32 v5, v11, v9, vcc
	v_cndmask_b32_e64 v6, v6, v5, s[0:1]
	v_cndmask_b32_e64 v9, v12, v6, s[2:3]
	v_alignbit_b32 v11, v13, v9, v14
	v_cndmask_b32_e32 v4, v10, v4, vcc
	v_cndmask_b32_e64 v11, v11, v13, s[6:7]
	v_bfe_u32 v15, v7, 29, 1
	v_cndmask_b32_e64 v4, v5, v4, s[0:1]
	v_alignbit_b32 v12, v7, v11, 30
	v_sub_u32_e32 v16, 0, v15
	v_cndmask_b32_e64 v4, v6, v4, s[2:3]
	v_xor_b32_e32 v12, v12, v16
	v_alignbit_b32 v5, v9, v4, v14
	v_cndmask_b32_e64 v5, v5, v9, s[6:7]
	v_ffbh_u32_e32 v9, v12
	v_alignbit_b32 v6, v11, v5, 30
	v_min_u32_e32 v9, 32, v9
	v_alignbit_b32 v4, v5, v4, 30
	v_xor_b32_e32 v6, v6, v16
	v_sub_u32_e32 v10, 31, v9
	v_xor_b32_e32 v4, v4, v16
	v_alignbit_b32 v11, v12, v6, v10
	v_alignbit_b32 v4, v6, v4, v10
	;; [unrolled: 1-line block ×3, first 2 shown]
	v_ffbh_u32_e32 v6, v5
	v_min_u32_e32 v6, 32, v6
	v_lshrrev_b32_e32 v13, 29, v7
	v_not_b32_e32 v10, v6
	v_alignbit_b32 v4, v5, v4, v10
	v_lshlrev_b32_e32 v5, 31, v13
	v_or_b32_e32 v10, 0x33000000, v5
	v_add_lshl_u32 v6, v6, v9, 23
	v_lshrrev_b32_e32 v4, 9, v4
	v_sub_u32_e32 v6, v10, v6
	v_or_b32_e32 v5, 0.5, v5
	v_lshlrev_b32_e32 v9, 23, v9
	v_or_b32_e32 v4, v6, v4
	v_lshrrev_b32_e32 v6, 9, v11
	v_sub_u32_e32 v5, v5, v9
	v_or_b32_e32 v5, v6, v5
	s_mov_b32 s0, 0x3fc90fda
	v_mul_f32_e32 v6, 0x3fc90fda, v5
	v_fma_f32 v9, v5, s0, -v6
	v_fmac_f32_e32 v9, 0x33a22168, v5
	v_fmac_f32_e32 v9, 0x3fc90fda, v4
	v_lshrrev_b32_e32 v4, 30, v7
	v_add_f32_e32 v5, v6, v9
	v_add_u32_e32 v4, v15, v4
	s_andn2_saveexec_b64 s[0:1], s[14:15]
	s_cbranch_execz .LBB21_322
	s_branch .LBB21_321
.LBB21_319:
	s_mov_b64 s[2:3], -1
	s_mov_b64 s[0:1], 0
	s_mov_b64 s[8:9], s[56:57]
                                        ; implicit-def: $vgpr3
	s_branch .LBB21_487
.LBB21_320:
	s_andn2_saveexec_b64 s[0:1], s[14:15]
	s_cbranch_execz .LBB21_322
.LBB21_321:
	s_mov_b32 s2, 0x3f22f983
	v_mul_f32_e64 v4, |v1|, s2
	v_rndne_f32_e32 v6, v4
	s_mov_b32 s2, 0xbfc90fda
	v_cvt_i32_f32_e32 v4, v6
	v_fma_f32 v5, v6, s2, |v1|
	v_fmac_f32_e32 v5, 0xb3a22168, v6
	v_fmac_f32_e32 v5, 0xa7c234c4, v6
.LBB21_322:
	s_or_b64 exec, exec, s[0:1]
                                        ; implicit-def: $vgpr6
                                        ; implicit-def: $vgpr7
	s_and_saveexec_b64 s[0:1], s[12:13]
	s_xor_b64 s[12:13], exec, s[0:1]
	s_cbranch_execz .LBB21_324
; %bb.323:
	v_and_b32_e32 v6, 0x7fffff, v3
	v_or_b32_e32 v17, 0x800000, v6
	s_mov_b32 s0, 0xfe5163ab
	v_mad_u64_u32 v[6:7], s[0:1], v17, s0, 0
	v_mov_b32_e32 v10, 0
	s_mov_b32 s0, 0x3c439041
	v_mov_b32_e32 v9, v7
	v_mad_u64_u32 v[11:12], s[0:1], v17, s0, v[9:10]
	s_mov_b32 s0, 0xdb629599
	v_lshrrev_b32_e32 v7, 23, v3
	v_mov_b32_e32 v9, v12
	v_mad_u64_u32 v[12:13], s[0:1], v17, s0, v[9:10]
	s_mov_b32 s0, 0xf534ddc0
	v_add_u32_e32 v7, 0xffffff88, v7
	v_mov_b32_e32 v9, v13
	v_mad_u64_u32 v[13:14], s[0:1], v17, s0, v[9:10]
	s_mov_b32 s0, 0xfc2757d1
	v_not_b32_e32 v16, 63
	v_mov_b32_e32 v9, v14
	v_mad_u64_u32 v[14:15], s[0:1], v17, s0, v[9:10]
	v_cmp_lt_u32_e32 vcc, 63, v7
	v_cndmask_b32_e32 v9, 0, v16, vcc
	v_add_u32_e32 v7, v9, v7
	v_mov_b32_e32 v9, v15
	s_mov_b32 s0, 0x4e441529
	v_mad_u64_u32 v[15:16], s[0:1], v17, s0, v[9:10]
	v_not_b32_e32 v18, 31
	v_cmp_lt_u32_e64 s[0:1], 31, v7
	v_cndmask_b32_e64 v9, 0, v18, s[0:1]
	v_add_u32_e32 v7, v9, v7
	v_mov_b32_e32 v9, v16
	s_mov_b32 s2, 0xa2f9836e
	v_mad_u64_u32 v[9:10], s[2:3], v17, s2, v[9:10]
	v_cmp_lt_u32_e64 s[2:3], 31, v7
	v_cndmask_b32_e64 v16, 0, v18, s[2:3]
	v_add_u32_e32 v7, v16, v7
	v_cndmask_b32_e32 v16, v15, v13, vcc
	v_cndmask_b32_e32 v9, v9, v14, vcc
	;; [unrolled: 1-line block ×3, first 2 shown]
	v_cndmask_b32_e64 v17, v9, v16, s[0:1]
	v_cndmask_b32_e64 v9, v10, v9, s[0:1]
	v_cndmask_b32_e32 v10, v14, v12, vcc
	v_cndmask_b32_e64 v14, v16, v10, s[0:1]
	v_sub_u32_e32 v16, 32, v7
	v_cmp_eq_u32_e64 s[6:7], 0, v7
	v_cndmask_b32_e32 v7, v13, v11, vcc
	v_cndmask_b32_e64 v9, v9, v17, s[2:3]
	v_cndmask_b32_e64 v15, v17, v14, s[2:3]
	;; [unrolled: 1-line block ×3, first 2 shown]
	v_alignbit_b32 v17, v9, v15, v16
	v_cndmask_b32_e64 v11, v14, v10, s[2:3]
	v_cndmask_b32_e64 v9, v17, v9, s[6:7]
	v_alignbit_b32 v13, v15, v11, v16
	v_cndmask_b32_e32 v6, v12, v6, vcc
	v_cndmask_b32_e64 v13, v13, v15, s[6:7]
	v_bfe_u32 v17, v9, 29, 1
	v_cndmask_b32_e64 v6, v7, v6, s[0:1]
	v_alignbit_b32 v14, v9, v13, 30
	v_sub_u32_e32 v18, 0, v17
	v_cndmask_b32_e64 v6, v10, v6, s[2:3]
	v_xor_b32_e32 v14, v14, v18
	v_alignbit_b32 v7, v11, v6, v16
	v_cndmask_b32_e64 v7, v7, v11, s[6:7]
	v_ffbh_u32_e32 v11, v14
	v_alignbit_b32 v10, v13, v7, 30
	v_min_u32_e32 v11, 32, v11
	v_alignbit_b32 v6, v7, v6, 30
	v_xor_b32_e32 v10, v10, v18
	v_sub_u32_e32 v12, 31, v11
	v_xor_b32_e32 v6, v6, v18
	v_alignbit_b32 v13, v14, v10, v12
	v_alignbit_b32 v6, v10, v6, v12
	;; [unrolled: 1-line block ×3, first 2 shown]
	v_ffbh_u32_e32 v10, v7
	v_min_u32_e32 v10, 32, v10
	v_lshrrev_b32_e32 v15, 29, v9
	v_not_b32_e32 v12, v10
	v_alignbit_b32 v6, v7, v6, v12
	v_lshlrev_b32_e32 v7, 31, v15
	v_or_b32_e32 v12, 0x33000000, v7
	v_add_lshl_u32 v10, v10, v11, 23
	v_lshrrev_b32_e32 v6, 9, v6
	v_sub_u32_e32 v10, v12, v10
	v_or_b32_e32 v7, 0.5, v7
	v_lshlrev_b32_e32 v11, 23, v11
	v_or_b32_e32 v6, v10, v6
	v_lshrrev_b32_e32 v10, 9, v13
	v_sub_u32_e32 v7, v7, v11
	v_or_b32_e32 v7, v10, v7
	s_mov_b32 s0, 0x3fc90fda
	v_mul_f32_e32 v10, 0x3fc90fda, v7
	v_fma_f32 v11, v7, s0, -v10
	v_fmac_f32_e32 v11, 0x33a22168, v7
	v_fmac_f32_e32 v11, 0x3fc90fda, v6
	v_lshrrev_b32_e32 v6, 30, v9
	v_add_f32_e32 v7, v10, v11
	v_add_u32_e32 v6, v17, v6
	s_andn2_saveexec_b64 s[0:1], s[12:13]
	s_cbranch_execnz .LBB21_325
	s_branch .LBB21_326
.LBB21_324:
	s_andn2_saveexec_b64 s[0:1], s[12:13]
	s_cbranch_execz .LBB21_326
.LBB21_325:
	s_mov_b32 s2, 0x3f22f983
	v_mul_f32_e64 v6, |v1|, s2
	v_rndne_f32_e32 v9, v6
	s_mov_b32 s2, 0xbfc90fda
	v_cvt_i32_f32_e32 v6, v9
	v_fma_f32 v7, v9, s2, |v1|
	v_fmac_f32_e32 v7, 0xb3a22168, v9
	v_fmac_f32_e32 v7, 0xa7c234c4, v9
.LBB21_326:
	s_or_b64 exec, exec, s[0:1]
	v_mul_f32_e32 v9, v2, v2
	s_mov_b32 s2, 0x41c80000
	v_div_scale_f32 v10, s[0:1], v9, v9, s2
	v_div_scale_f32 v11, vcc, s2, v9, s2
	v_mov_b32_e32 v13, 0x3a50e985
	v_mov_b32_e32 v14, 0x3da9a586
	v_mov_b32_e32 v18, 0x3daf5e2d
	v_mov_b32_e32 v15, 0x3f9ea90a
	v_mov_b32_e32 v19, 0x3fa07396
	v_mov_b32_e32 v20, 0x40af123f
	v_mov_b32_e32 v21, 0x410c30c7
	v_mov_b32_e32 v22, 0x40a9cb2f
	v_mov_b32_e32 v23, 0xbc3a3a12
	v_mov_b32_e32 v24, 0xbfa429da
	v_mov_b32_e32 v25, 0xc19c6e80
	v_mov_b32_e32 v26, 0xc2ba697b
	v_rcp_f32_e32 v12, v10
	v_mov_b32_e32 v27, 0xc331ae61
	v_mov_b32_e32 v28, 0xc31313d7
	v_mul_f32_e32 v29, v5, v5
	v_fma_f32 v16, -v10, v12, 1.0
	v_fmac_f32_e32 v12, v16, v12
	v_mul_f32_e32 v16, v11, v12
	v_fma_f32 v17, -v10, v16, v11
	v_fmac_f32_e32 v16, v17, v12
	v_fma_f32 v10, -v10, v16, v11
	v_div_fmas_f32 v10, v10, v12, v16
	v_mov_b32_e32 v17, 0x3a725406
	v_mov_b32_e32 v11, 0x40ae4fdf
	;; [unrolled: 1-line block ×5, first 2 shown]
	v_fmac_f32_e32 v31, 0xb94c1982, v29
	v_mov_b32_e32 v30, 0x3c0881c4
	v_div_fixup_f32 v10, v10, v9, s2
	v_fmac_f32_e32 v13, 0, v10
	v_fmac_f32_e32 v17, 0, v10
	;; [unrolled: 1-line block ×12, first 2 shown]
	v_fma_f32 v11, v10, v22, 1.0
	v_fma_f32 v12, v10, v16, 1.0
	v_div_scale_f32 v13, s[0:1], v11, v11, v12
	v_div_scale_f32 v17, vcc, v12, v11, v12
	v_mov_b32_e32 v15, 0x4280a2ba
	s_mov_b32 s2, 0xc0a00000
	v_fmac_f32_e32 v23, 0, v10
	v_mov_b32_e32 v16, 0x44561b86
	v_div_scale_f32 v33, s[0:1], v2, v2, s2
	v_fmac_f32_e32 v15, 0, v10
	v_fmac_f32_e32 v24, v10, v23
	v_mov_b32_e32 v18, 0x4572a66e
	v_fmac_f32_e32 v16, v10, v15
	v_fmac_f32_e32 v25, v10, v24
	v_mov_b32_e32 v19, 0x45e243be
	v_rcp_f32_e32 v32, v13
	v_fmac_f32_e32 v18, v10, v16
	v_fmac_f32_e32 v26, v10, v25
	v_mov_b32_e32 v20, 0x45b955d1
	v_fma_f32 v34, -v13, v32, 1.0
	v_fmac_f32_e32 v32, v34, v32
	v_mul_f32_e32 v34, v17, v32
	v_fma_f32 v35, -v13, v34, v17
	v_fmac_f32_e32 v34, v35, v32
	v_fma_f32 v13, -v13, v34, v17
	v_div_fmas_f32 v13, v13, v32, v34
	v_fmac_f32_e32 v19, v10, v18
	v_fmac_f32_e32 v27, v10, v26
	v_mov_b32_e32 v14, 0xc24da463
	v_mov_b32_e32 v21, 0x4500e17e
	v_fmac_f32_e32 v20, v10, v19
	v_fmac_f32_e32 v28, v10, v27
	v_mov_b32_e32 v9, 0xc0c19ac7
	v_mov_b32_e32 v22, 0x43720178
	v_fmac_f32_e32 v21, v10, v20
	v_fmac_f32_e32 v14, v10, v28
	;; [unrolled: 1-line block ×4, first 2 shown]
	v_rcp_f32_e32 v16, v33
	v_mov_b32_e32 v17, 0xbab64f3b
	v_fmac_f32_e32 v17, 0x37d75334, v29
	v_div_fixup_f32 v10, v13, v11, v12
	v_div_scale_f32 v11, vcc, s2, v2, s2
	v_div_scale_f32 v13, s[0:1], v22, v22, v9
	v_div_scale_f32 v15, s[0:1], v9, v22, v9
	v_fma_f32 v19, -v33, v16, 1.0
	v_fmac_f32_e32 v16, v19, v16
	v_mov_b32_e32 v12, 0xbe2aaa9d
	v_fma_f32 v14, v29, v31, v12
	v_mul_f32_e32 v14, v29, v14
	v_fmac_f32_e32 v5, v5, v14
	v_mov_b32_e32 v14, 0xbab64f3b
	v_mov_b32_e32 v18, 0x3d2aabf7
	v_mul_f32_e32 v19, v11, v16
	v_fma_f32 v20, -v33, v19, v11
	v_fmac_f32_e32 v19, v20, v16
	v_rcp_f32_e32 v20, v13
	v_fma_f32 v11, -v33, v19, v11
	v_div_fmas_f32 v11, v11, v16, v19
	s_mov_b64 vcc, s[0:1]
	v_fma_f32 v16, -v13, v20, 1.0
	v_fmac_f32_e32 v20, v16, v20
	v_mul_f32_e32 v16, v15, v20
	v_fma_f32 v19, -v13, v16, v15
	v_fmac_f32_e32 v16, v19, v20
	v_fma_f32 v13, -v13, v16, v15
	v_div_fmas_f32 v13, v13, v20, v16
	v_fma_f32 v15, v29, v17, v18
	v_mov_b32_e32 v16, 0xbf000004
	v_fma_f32 v15, v29, v15, v16
	v_and_b32_e32 v17, 1, v4
	v_fma_f32 v15, v29, v15, 1.0
	v_cmp_eq_u32_e32 vcc, 0, v17
	s_movk_i32 s0, 0x1f8
	v_div_fixup_f32 v11, v11, v2, s2
	v_cndmask_b32_e64 v5, -v5, v15, vcc
	v_lshlrev_b32_e32 v4, 30, v4
	v_cmp_class_f32_e64 vcc, v1, s0
	v_xor_b32_e32 v1, v3, v1
	v_and_b32_e32 v4, 0x80000000, v4
	v_xor_b32_e32 v4, v4, v5
	v_mov_b32_e32 v5, 0x7fc00000
	v_div_fixup_f32 v9, v13, v22, v9
	v_mul_f32_e32 v9, v11, v9
	v_mul_f32_e32 v11, v7, v7
	v_fmac_f32_e32 v30, 0xb94c1982, v11
	v_fmac_f32_e32 v12, v11, v30
	;; [unrolled: 1-line block ×3, first 2 shown]
	v_mul_f32_e32 v12, v11, v12
	v_fmac_f32_e32 v18, v11, v14
	v_fmac_f32_e32 v7, v7, v12
	;; [unrolled: 1-line block ×3, first 2 shown]
	v_and_b32_e32 v12, 1, v6
	v_lshlrev_b32_e32 v6, 30, v6
	v_fma_f32 v11, v11, v16, 1.0
	v_cmp_eq_u32_e64 s[0:1], 0, v12
	v_and_b32_e32 v6, 0x80000000, v6
	v_cndmask_b32_e64 v7, v11, v7, s[0:1]
	v_xor_b32_e32 v1, v1, v6
	v_xor_b32_e32 v1, v1, v7
	s_mov_b32 s0, 0xf800000
	v_cndmask_b32_e32 v4, v5, v4, vcc
	v_cndmask_b32_e32 v1, v5, v1, vcc
	v_mul_f32_e32 v3, 0x4f800000, v2
	v_cmp_gt_f32_e32 vcc, s0, v2
	v_cndmask_b32_e32 v2, v2, v3, vcc
	v_sqrt_f32_e32 v3, v2
	v_mul_f32_e32 v1, v9, v1
	v_fmac_f32_e32 v1, v10, v4
	v_mul_f32_e32 v1, 0x3f4c422a, v1
	v_add_u32_e32 v4, -1, v3
	v_fma_f32 v5, -v4, v3, v2
	v_cmp_ge_f32_e64 s[0:1], 0, v5
	v_add_u32_e32 v5, 1, v3
	v_cndmask_b32_e64 v4, v3, v4, s[0:1]
	v_fma_f32 v3, -v5, v3, v2
	v_cmp_lt_f32_e64 s[0:1], 0, v3
	v_cndmask_b32_e64 v3, v4, v5, s[0:1]
	v_mul_f32_e32 v4, 0x37800000, v3
	v_cndmask_b32_e32 v3, v3, v4, vcc
	v_mov_b32_e32 v4, 0x260
	v_cmp_class_f32_e32 vcc, v2, v4
	v_cndmask_b32_e32 v2, v3, v2, vcc
	v_div_scale_f32 v3, s[0:1], v2, v2, v1
	v_div_scale_f32 v4, vcc, v1, v2, v1
	v_rcp_f32_e32 v5, v3
	v_fma_f32 v6, -v3, v5, 1.0
	v_fmac_f32_e32 v5, v6, v5
	v_mul_f32_e32 v6, v4, v5
	v_fma_f32 v7, -v3, v6, v4
	v_fmac_f32_e32 v6, v7, v5
	v_fma_f32 v3, -v3, v6, v4
	v_div_fmas_f32 v3, v3, v5, v6
	v_div_fixup_f32 v1, v3, v2, v1
.LBB21_327:
	s_or_b64 exec, exec, s[10:11]
	v_mov_b32_e32 v2, s25
	s_and_b32 s12, s73, 0xff
	v_add_co_u32_e32 v3, vcc, s24, v0
	s_cmp_lt_i32 s12, 11
	v_addc_co_u32_e32 v4, vcc, 0, v2, vcc
	s_cbranch_scc1 .LBB21_334
; %bb.328:
	s_and_b32 s13, 0xffff, s12
	s_cmp_gt_i32 s13, 25
	s_cbranch_scc0 .LBB21_336
; %bb.329:
	s_cmp_gt_i32 s13, 28
	s_cbranch_scc0 .LBB21_338
; %bb.330:
	;; [unrolled: 3-line block ×4, first 2 shown]
	s_mov_b64 s[6:7], 0
	s_mov_b64 s[0:1], -1
	s_cmp_eq_u32 s13, 46
	s_mov_b64 s[2:3], 0
	s_cbranch_scc0 .LBB21_350
; %bb.333:
	v_bfe_u32 v0, v1, 16, 1
	s_movk_i32 s0, 0x7fff
	v_add3_u32 v0, v1, v0, s0
	v_cmp_o_f32_e32 vcc, v1, v1
	v_mov_b32_e32 v2, 0x7fc0
	v_cndmask_b32_sdwa v0, v2, v0, vcc dst_sel:DWORD dst_unused:UNUSED_PAD src0_sel:DWORD src1_sel:WORD_1
	global_store_dword v[3:4], v0, off
	s_mov_b64 s[2:3], -1
	s_mov_b64 s[0:1], 0
	s_branch .LBB21_350
.LBB21_334:
	s_mov_b64 s[6:7], -1
	s_mov_b64 s[2:3], 0
	s_mov_b64 s[0:1], s[54:55]
	s_branch .LBB21_419
.LBB21_335:
	s_mov_b64 s[2:3], -1
	s_mov_b64 s[0:1], 0
	s_mov_b64 s[8:9], s[56:57]
                                        ; implicit-def: $vgpr3
	s_branch .LBB21_468
.LBB21_336:
	s_mov_b64 s[6:7], -1
	s_mov_b64 s[2:3], 0
	s_mov_b64 s[0:1], s[54:55]
	s_branch .LBB21_377
.LBB21_337:
	s_mov_b64 s[2:3], -1
	s_mov_b64 s[0:1], 0
	s_mov_b64 s[8:9], s[56:57]
                                        ; implicit-def: $vgpr3
	s_branch .LBB21_463
.LBB21_338:
	s_mov_b64 s[6:7], -1
	s_mov_b64 s[2:3], 0
	s_mov_b64 s[0:1], s[54:55]
	s_branch .LBB21_360
.LBB21_339:
	s_andn2_saveexec_b64 s[10:11], s[10:11]
	s_cbranch_execz .LBB21_84
.LBB21_340:
	s_mov_b32 s14, 0x46000000
	v_add_f32_e64 v0, |v1|, s14
	v_and_b32_e32 v0, 0xff, v0
	v_cmp_ne_u32_e32 vcc, 0, v0
	s_andn2_b64 s[6:7], s[6:7], exec
	s_and_b64 s[14:15], vcc, exec
	s_or_b64 s[6:7], s[6:7], s[14:15]
	s_or_b64 exec, exec, s[10:11]
	v_mov_b32_e32 v2, 0
	s_and_saveexec_b64 s[10:11], s[6:7]
	s_cbranch_execnz .LBB21_85
	s_branch .LBB21_86
.LBB21_341:
	s_mov_b64 s[2:3], -1
	s_mov_b64 s[0:1], 0
	s_mov_b64 s[8:9], s[56:57]
                                        ; implicit-def: $vgpr3
	s_branch .LBB21_346
.LBB21_342:
	s_mov_b64 s[6:7], -1
	s_mov_b64 s[2:3], 0
	s_mov_b64 s[0:1], s[54:55]
	s_branch .LBB21_356
.LBB21_343:
	s_andn2_saveexec_b64 s[10:11], s[10:11]
	s_cbranch_execz .LBB21_97
.LBB21_344:
	s_mov_b32 s14, 0x42800000
	v_add_f32_e64 v0, |v1|, s14
	v_and_b32_e32 v0, 0xff, v0
	v_cmp_ne_u32_e32 vcc, 0, v0
	s_andn2_b64 s[6:7], s[6:7], exec
	s_and_b64 s[14:15], vcc, exec
	s_or_b64 s[6:7], s[6:7], s[14:15]
	s_or_b64 exec, exec, s[10:11]
	v_mov_b32_e32 v2, 0
	s_and_saveexec_b64 s[10:11], s[6:7]
	s_cbranch_execnz .LBB21_98
	s_branch .LBB21_99
.LBB21_345:
	s_mov_b64 s[8:9], -1
                                        ; implicit-def: $vgpr3
	s_mov_b64 s[0:1], 0
.LBB21_346:
	s_and_b64 vcc, exec, s[2:3]
	s_cbranch_vccz .LBB21_462
; %bb.347:
	s_cmp_eq_u32 s10, 44
	s_cbranch_scc0 .LBB21_461
; %bb.348:
	global_load_ubyte v3, v[1:2], off
	s_movk_i32 s2, 0xff
	v_mov_b32_e32 v4, 0x7f800001
	v_mov_b32_e32 v5, 0x400000
	s_mov_b64 s[0:1], -1
	s_mov_b64 s[8:9], 0
	s_waitcnt vmcnt(0)
	v_lshlrev_b32_e32 v6, 23, v3
	v_cmp_ne_u32_e32 vcc, s2, v3
	v_cndmask_b32_e32 v4, v4, v6, vcc
	v_cmp_ne_u32_e32 vcc, 0, v3
	v_cndmask_b32_e32 v3, v5, v4, vcc
	s_branch .LBB21_462
.LBB21_349:
	s_mov_b64 s[6:7], -1
	s_mov_b64 s[2:3], 0
	s_mov_b64 s[0:1], s[54:55]
.LBB21_350:
	s_and_b64 vcc, exec, s[6:7]
	s_cbranch_vccz .LBB21_355
; %bb.351:
	s_cmp_eq_u32 s13, 44
	s_mov_b64 s[0:1], -1
	s_cbranch_scc0 .LBB21_355
; %bb.352:
	v_bfe_u32 v0, v1, 23, 8
	s_movk_i32 s0, 0xff
	v_cmp_ne_u32_e32 vcc, s0, v0
	v_mov_b32_e32 v2, 0xff
	s_and_saveexec_b64 s[2:3], vcc
; %bb.353:
	s_mov_b32 s0, 0x3fffff
	v_and_b32_e32 v5, 0x400000, v1
	v_and_or_b32 v0, v1, s0, v0
	v_cmp_ne_u32_e32 vcc, 0, v5
	v_cmp_ne_u32_e64 s[0:1], 0, v0
	s_and_b64 s[0:1], vcc, s[0:1]
	v_lshrrev_b32_e32 v2, 23, v1
	v_cndmask_b32_e64 v0, 0, 1, s[0:1]
	v_add_u32_e32 v2, v2, v0
; %bb.354:
	s_or_b64 exec, exec, s[2:3]
	s_mov_b64 s[2:3], -1
	s_mov_b64 s[0:1], 0
	global_store_byte v[3:4], v2, off
.LBB21_355:
	s_mov_b64 s[6:7], 0
.LBB21_356:
	s_and_b64 vcc, exec, s[6:7]
	s_cbranch_vccz .LBB21_359
; %bb.357:
	s_cmp_eq_u32 s13, 29
	s_mov_b64 s[0:1], -1
	s_cbranch_scc0 .LBB21_359
; %bb.358:
	v_trunc_f32_e32 v0, v1
	v_mul_f32_e32 v2, 0x2f800000, v0
	v_floor_f32_e32 v2, v2
	v_fmac_f32_e32 v0, 0xcf800000, v2
	v_cvt_u32_f32_e32 v6, v2
	v_cvt_u32_f32_e32 v5, v0
	s_mov_b64 s[2:3], -1
	s_mov_b64 s[0:1], 0
	s_mov_b64 s[6:7], 0
	global_store_dwordx2 v[3:4], v[5:6], off
	s_branch .LBB21_360
.LBB21_359:
	s_mov_b64 s[6:7], 0
.LBB21_360:
	s_and_b64 vcc, exec, s[6:7]
	s_cbranch_vccz .LBB21_376
; %bb.361:
	s_cmp_lt_i32 s13, 27
	s_mov_b64 s[2:3], -1
	s_cbranch_scc1 .LBB21_367
; %bb.362:
	v_cvt_u32_f32_e32 v0, v1
	s_cmp_gt_i32 s13, 27
	s_cbranch_scc0 .LBB21_364
; %bb.363:
	s_mov_b64 s[2:3], 0
	global_store_dword v[3:4], v0, off
.LBB21_364:
	s_andn2_b64 vcc, exec, s[2:3]
	s_cbranch_vccnz .LBB21_366
; %bb.365:
	global_store_short v[3:4], v0, off
.LBB21_366:
	s_mov_b64 s[2:3], 0
.LBB21_367:
	s_andn2_b64 vcc, exec, s[2:3]
	s_cbranch_vccnz .LBB21_375
; %bb.368:
	v_and_b32_e32 v0, 0x7fffffff, v1
	s_mov_b32 s2, 0x43800000
	v_cmp_gt_u32_e32 vcc, s2, v0
	v_mov_b32_e32 v2, 0x80
	s_and_saveexec_b64 s[2:3], vcc
	s_cbranch_execz .LBB21_374
; %bb.369:
	s_mov_b32 s6, 0x3bffffff
	v_cmp_lt_u32_e32 vcc, s6, v0
	s_mov_b64 s[6:7], 0
                                        ; implicit-def: $vgpr0
	s_and_saveexec_b64 s[10:11], vcc
	s_xor_b64 s[10:11], exec, s[10:11]
	s_cbranch_execz .LBB21_602
; %bb.370:
	v_bfe_u32 v0, v1, 20, 1
	s_mov_b32 s14, 0x487ffff
	v_add3_u32 v0, v1, v0, s14
	s_mov_b64 s[6:7], exec
	v_lshrrev_b32_e32 v0, 20, v0
	s_andn2_saveexec_b64 s[10:11], s[10:11]
	s_cbranch_execnz .LBB21_603
.LBB21_371:
	s_or_b64 exec, exec, s[10:11]
	v_mov_b32_e32 v2, 0
	s_and_saveexec_b64 s[10:11], s[6:7]
.LBB21_372:
	v_lshrrev_b32_e32 v2, 24, v1
	s_movk_i32 s6, 0x80
	v_and_or_b32 v2, v2, s6, v0
.LBB21_373:
	s_or_b64 exec, exec, s[10:11]
.LBB21_374:
	s_or_b64 exec, exec, s[2:3]
	global_store_byte v[3:4], v2, off
.LBB21_375:
	s_mov_b64 s[2:3], -1
.LBB21_376:
	s_mov_b64 s[6:7], 0
.LBB21_377:
	s_and_b64 vcc, exec, s[6:7]
	s_cbranch_vccz .LBB21_418
; %bb.378:
	s_cmp_gt_i32 s13, 22
	s_mov_b64 s[6:7], -1
	s_cbranch_scc0 .LBB21_410
; %bb.379:
	s_cmp_lt_i32 s13, 24
	s_mov_b64 s[2:3], -1
	s_cbranch_scc1 .LBB21_399
; %bb.380:
	s_cmp_gt_i32 s13, 24
	s_cbranch_scc0 .LBB21_388
; %bb.381:
	v_and_b32_e32 v0, 0x7fffffff, v1
	s_mov_b32 s2, 0x47800000
	v_cmp_gt_u32_e32 vcc, s2, v0
	v_mov_b32_e32 v2, 0x80
	s_and_saveexec_b64 s[2:3], vcc
	s_cbranch_execz .LBB21_387
; %bb.382:
	s_mov_b32 s6, 0x37ffffff
	v_cmp_lt_u32_e32 vcc, s6, v0
	s_mov_b64 s[6:7], 0
                                        ; implicit-def: $vgpr0
	s_and_saveexec_b64 s[10:11], vcc
	s_xor_b64 s[10:11], exec, s[10:11]
	s_cbranch_execz .LBB21_605
; %bb.383:
	v_bfe_u32 v0, v1, 21, 1
	s_mov_b32 s14, 0x88fffff
	v_add3_u32 v0, v1, v0, s14
	s_mov_b64 s[6:7], exec
	v_lshrrev_b32_e32 v0, 21, v0
	s_andn2_saveexec_b64 s[10:11], s[10:11]
	s_cbranch_execnz .LBB21_606
.LBB21_384:
	s_or_b64 exec, exec, s[10:11]
	v_mov_b32_e32 v2, 0
	s_and_saveexec_b64 s[10:11], s[6:7]
.LBB21_385:
	v_lshrrev_b32_e32 v2, 24, v1
	s_movk_i32 s6, 0x80
	v_and_or_b32 v2, v2, s6, v0
.LBB21_386:
	s_or_b64 exec, exec, s[10:11]
.LBB21_387:
	s_or_b64 exec, exec, s[2:3]
	s_mov_b64 s[2:3], 0
	global_store_byte v[3:4], v2, off
.LBB21_388:
	s_and_b64 vcc, exec, s[2:3]
	s_cbranch_vccz .LBB21_398
; %bb.389:
	v_and_b32_e32 v2, 0x7fffffff, v1
	s_mov_b32 s2, 0x43f00000
	v_cmp_gt_u32_e32 vcc, s2, v2
                                        ; implicit-def: $vgpr0
	s_and_saveexec_b64 s[2:3], vcc
	s_xor_b64 s[2:3], exec, s[2:3]
	s_cbranch_execz .LBB21_395
; %bb.390:
	s_mov_b32 s6, 0x3c7fffff
	v_cmp_lt_u32_e32 vcc, s6, v2
                                        ; implicit-def: $vgpr0
	s_and_saveexec_b64 s[6:7], vcc
	s_xor_b64 s[6:7], exec, s[6:7]
; %bb.391:
	v_bfe_u32 v0, v1, 20, 1
	s_mov_b32 s10, 0x407ffff
	v_add3_u32 v0, v1, v0, s10
	v_lshrrev_b32_e32 v2, 20, v0
	v_and_b32_e32 v0, 0xff00000, v0
	s_mov_b32 s10, 0x7f00000
	v_mov_b32_e32 v5, 0x7e
	v_cmp_ne_u32_e32 vcc, s10, v0
	v_cndmask_b32_e32 v0, v5, v2, vcc
; %bb.392:
	s_andn2_saveexec_b64 s[6:7], s[6:7]
; %bb.393:
	s_mov_b32 s10, 0x46800000
	v_add_f32_e64 v0, |v1|, s10
; %bb.394:
	s_or_b64 exec, exec, s[6:7]
                                        ; implicit-def: $vgpr2
.LBB21_395:
	s_andn2_saveexec_b64 s[2:3], s[2:3]
; %bb.396:
	s_mov_b32 s6, 0x7f800000
	v_mov_b32_e32 v0, 0x7e
	v_mov_b32_e32 v5, 0x7f
	v_cmp_lt_u32_e32 vcc, s6, v2
	v_cndmask_b32_e32 v0, v0, v5, vcc
; %bb.397:
	s_or_b64 exec, exec, s[2:3]
	v_lshrrev_b32_e32 v2, 24, v1
	s_movk_i32 s2, 0x80
	v_and_or_b32 v0, v2, s2, v0
	global_store_byte v[3:4], v0, off
.LBB21_398:
	s_mov_b64 s[2:3], 0
.LBB21_399:
	s_andn2_b64 vcc, exec, s[2:3]
	s_cbranch_vccnz .LBB21_409
; %bb.400:
	v_and_b32_e32 v2, 0x7fffffff, v1
	s_mov_b32 s2, 0x47800000
	v_cmp_gt_u32_e32 vcc, s2, v2
                                        ; implicit-def: $vgpr0
	s_and_saveexec_b64 s[2:3], vcc
	s_xor_b64 s[2:3], exec, s[2:3]
	s_cbranch_execz .LBB21_406
; %bb.401:
	s_mov_b32 s6, 0x387fffff
	v_cmp_lt_u32_e32 vcc, s6, v2
                                        ; implicit-def: $vgpr0
	s_and_saveexec_b64 s[6:7], vcc
	s_xor_b64 s[6:7], exec, s[6:7]
; %bb.402:
	v_bfe_u32 v0, v1, 21, 1
	s_mov_b32 s10, 0x80fffff
	v_add3_u32 v0, v1, v0, s10
	v_lshrrev_b32_e32 v0, 21, v0
; %bb.403:
	s_andn2_saveexec_b64 s[6:7], s[6:7]
; %bb.404:
	s_mov_b32 s10, 0x43000000
	v_add_f32_e64 v0, |v1|, s10
; %bb.405:
	s_or_b64 exec, exec, s[6:7]
                                        ; implicit-def: $vgpr2
.LBB21_406:
	s_andn2_saveexec_b64 s[2:3], s[2:3]
; %bb.407:
	s_mov_b32 s6, 0x7f800000
	v_mov_b32_e32 v0, 0x7c
	v_mov_b32_e32 v5, 0x7f
	v_cmp_lt_u32_e32 vcc, s6, v2
	v_cndmask_b32_e32 v0, v0, v5, vcc
; %bb.408:
	s_or_b64 exec, exec, s[2:3]
	v_lshrrev_b32_e32 v2, 24, v1
	s_movk_i32 s2, 0x80
	v_and_or_b32 v0, v2, s2, v0
	global_store_byte v[3:4], v0, off
.LBB21_409:
	s_mov_b64 s[6:7], 0
	s_mov_b64 s[2:3], -1
.LBB21_410:
	s_andn2_b64 vcc, exec, s[6:7]
	s_cbranch_vccnz .LBB21_418
; %bb.411:
	s_cmp_gt_i32 s13, 14
	s_mov_b64 s[6:7], -1
	s_cbranch_scc0 .LBB21_415
; %bb.412:
	s_cmp_eq_u32 s13, 15
	s_mov_b64 s[0:1], -1
	s_cbranch_scc0 .LBB21_414
; %bb.413:
	v_bfe_u32 v0, v1, 16, 1
	s_movk_i32 s0, 0x7fff
	v_add3_u32 v0, v1, v0, s0
	v_cmp_o_f32_e32 vcc, v1, v1
	v_mov_b32_e32 v2, 0x7fc0
	v_cndmask_b32_sdwa v0, v2, v0, vcc dst_sel:DWORD dst_unused:UNUSED_PAD src0_sel:DWORD src1_sel:WORD_1
	global_store_short v[3:4], v0, off
	s_mov_b64 s[2:3], -1
	s_mov_b64 s[0:1], 0
.LBB21_414:
	s_mov_b64 s[6:7], 0
.LBB21_415:
	s_and_b64 vcc, exec, s[6:7]
	s_cbranch_vccz .LBB21_418
; %bb.416:
	s_cmp_eq_u32 s13, 11
	s_mov_b64 s[0:1], -1
	s_cbranch_scc0 .LBB21_418
; %bb.417:
	v_cmp_neq_f32_e32 vcc, 0, v1
	v_cndmask_b32_e64 v0, 0, 1, vcc
	s_mov_b64 s[2:3], -1
	s_mov_b64 s[0:1], 0
	global_store_byte v[3:4], v0, off
.LBB21_418:
	s_mov_b64 s[6:7], 0
.LBB21_419:
	s_and_b64 vcc, exec, s[6:7]
	s_cbranch_vccz .LBB21_458
; %bb.420:
	s_and_b32 s6, 0xffff, s12
	s_cmp_lt_i32 s6, 5
	s_mov_b64 s[2:3], -1
	s_cbranch_scc1 .LBB21_441
; %bb.421:
	s_cmp_lt_i32 s6, 8
	s_cbranch_scc1 .LBB21_431
; %bb.422:
	s_cmp_lt_i32 s6, 9
	s_cbranch_scc1 .LBB21_428
; %bb.423:
	s_cmp_gt_i32 s6, 9
	s_cbranch_scc0 .LBB21_425
; %bb.424:
	v_cvt_f64_f32_e32 v[9:10], v1
	v_mov_b32_e32 v11, 0
	v_mov_b32_e32 v12, v11
	s_mov_b64 s[2:3], 0
	global_store_dwordx4 v[3:4], v[9:12], off
.LBB21_425:
	s_andn2_b64 vcc, exec, s[2:3]
	s_cbranch_vccnz .LBB21_427
; %bb.426:
	v_mov_b32_e32 v2, 0
	global_store_dwordx2 v[3:4], v[1:2], off
.LBB21_427:
	s_mov_b64 s[2:3], 0
.LBB21_428:
	s_andn2_b64 vcc, exec, s[2:3]
	s_cbranch_vccnz .LBB21_430
; %bb.429:
	v_cvt_f16_f32_e32 v0, v1
	global_store_dword v[3:4], v0, off
.LBB21_430:
	s_mov_b64 s[2:3], 0
.LBB21_431:
	s_andn2_b64 vcc, exec, s[2:3]
	s_cbranch_vccnz .LBB21_440
; %bb.432:
	s_cmp_lt_i32 s6, 6
	s_mov_b64 s[2:3], -1
	s_cbranch_scc1 .LBB21_438
; %bb.433:
	s_cmp_gt_i32 s6, 6
	s_cbranch_scc0 .LBB21_435
; %bb.434:
	v_cvt_f64_f32_e32 v[5:6], v1
	s_mov_b64 s[2:3], 0
	global_store_dwordx2 v[3:4], v[5:6], off
.LBB21_435:
	s_andn2_b64 vcc, exec, s[2:3]
	s_cbranch_vccnz .LBB21_437
; %bb.436:
	global_store_dword v[3:4], v1, off
.LBB21_437:
	s_mov_b64 s[2:3], 0
.LBB21_438:
	s_andn2_b64 vcc, exec, s[2:3]
	s_cbranch_vccnz .LBB21_440
; %bb.439:
	v_cvt_f16_f32_e32 v0, v1
	global_store_short v[3:4], v0, off
.LBB21_440:
	s_mov_b64 s[2:3], 0
.LBB21_441:
	s_andn2_b64 vcc, exec, s[2:3]
	s_cbranch_vccnz .LBB21_457
; %bb.442:
	s_cmp_lt_i32 s6, 2
	s_mov_b64 s[2:3], -1
	s_cbranch_scc1 .LBB21_452
; %bb.443:
	s_cmp_lt_i32 s6, 3
	s_cbranch_scc1 .LBB21_449
; %bb.444:
	s_cmp_gt_i32 s6, 3
	s_cbranch_scc0 .LBB21_446
; %bb.445:
	v_trunc_f32_e32 v0, v1
	s_mov_b32 s2, 0x2f800000
	v_mul_f32_e64 v2, |v0|, s2
	v_floor_f32_e32 v2, v2
	s_mov_b32 s2, 0xcf800000
	v_cvt_u32_f32_e32 v5, v2
	v_fma_f32 v2, v2, s2, |v0|
	v_cvt_u32_f32_e32 v2, v2
	v_ashrrev_i32_e32 v0, 31, v0
	v_xor_b32_e32 v6, v5, v0
	s_mov_b64 s[2:3], 0
	v_xor_b32_e32 v2, v2, v0
	v_sub_co_u32_e32 v5, vcc, v2, v0
	v_subb_co_u32_e32 v6, vcc, v6, v0, vcc
	global_store_dwordx2 v[3:4], v[5:6], off
.LBB21_446:
	s_andn2_b64 vcc, exec, s[2:3]
	s_cbranch_vccnz .LBB21_448
; %bb.447:
	v_cvt_i32_f32_e32 v0, v1
	global_store_dword v[3:4], v0, off
.LBB21_448:
	s_mov_b64 s[2:3], 0
.LBB21_449:
	s_andn2_b64 vcc, exec, s[2:3]
	s_cbranch_vccnz .LBB21_451
; %bb.450:
	v_cvt_i32_f32_e32 v0, v1
	global_store_short v[3:4], v0, off
.LBB21_451:
	s_mov_b64 s[2:3], 0
.LBB21_452:
	s_andn2_b64 vcc, exec, s[2:3]
	s_cbranch_vccnz .LBB21_457
; %bb.453:
	s_cmp_gt_i32 s6, 0
	s_mov_b64 s[2:3], -1
	s_cbranch_scc0 .LBB21_455
; %bb.454:
	v_cvt_i32_f32_e32 v0, v1
	s_mov_b64 s[2:3], 0
	global_store_byte v[3:4], v0, off
.LBB21_455:
	s_andn2_b64 vcc, exec, s[2:3]
	s_cbranch_vccnz .LBB21_457
; %bb.456:
	v_trunc_f32_e32 v0, v1
	s_mov_b32 s2, 0x2f800000
	v_mul_f32_e64 v1, |v0|, s2
	v_floor_f32_e32 v1, v1
	s_mov_b32 s2, 0xcf800000
	v_fma_f32 v1, v1, s2, |v0|
	v_cvt_u32_f32_e32 v1, v1
	v_ashrrev_i32_e32 v0, 31, v0
	v_xor_b32_e32 v1, v1, v0
	v_sub_u32_e32 v0, v1, v0
	global_store_byte v[3:4], v0, off
.LBB21_457:
	s_mov_b64 s[2:3], -1
.LBB21_458:
	s_andn2_b64 vcc, exec, s[2:3]
	s_cbranch_vccnz .LBB21_460
; %bb.459:
	v_add_u32_e32 v8, 0x80, v8
	s_mov_b64 s[2:3], -1
	s_branch .LBB21_573
.LBB21_460:
	s_mov_b64 s[2:3], 0
	s_branch .LBB21_572
.LBB21_461:
	s_mov_b64 s[8:9], -1
                                        ; implicit-def: $vgpr3
.LBB21_462:
	s_mov_b64 s[2:3], 0
.LBB21_463:
	s_and_b64 vcc, exec, s[2:3]
	s_cbranch_vccz .LBB21_467
; %bb.464:
	s_cmp_eq_u32 s10, 29
	s_cbranch_scc0 .LBB21_466
; %bb.465:
	global_load_dwordx2 v[3:4], v[1:2], off
	s_mov_b64 s[0:1], -1
	s_mov_b64 s[8:9], 0
	s_mov_b64 s[2:3], 0
	s_waitcnt vmcnt(0)
	v_ffbh_u32_e32 v5, v4
	v_min_u32_e32 v5, 32, v5
	v_lshlrev_b64 v[3:4], v5, v[3:4]
	v_min_u32_e32 v3, 1, v3
	v_or_b32_e32 v3, v4, v3
	v_cvt_f32_u32_e32 v3, v3
	v_sub_u32_e32 v4, 32, v5
	v_ldexp_f32 v3, v3, v4
	s_branch .LBB21_468
.LBB21_466:
	s_mov_b64 s[8:9], -1
                                        ; implicit-def: $vgpr3
.LBB21_467:
	s_mov_b64 s[2:3], 0
.LBB21_468:
	s_and_b64 vcc, exec, s[2:3]
	s_cbranch_vccz .LBB21_486
; %bb.469:
	s_cmp_lt_i32 s10, 27
	s_cbranch_scc1 .LBB21_472
; %bb.470:
	s_cmp_gt_i32 s10, 27
	s_cbranch_scc0 .LBB21_473
; %bb.471:
	global_load_dword v3, v[1:2], off
	s_mov_b64 s[0:1], 0
	s_waitcnt vmcnt(0)
	v_cvt_f32_u32_e32 v3, v3
	s_branch .LBB21_474
.LBB21_472:
	s_mov_b64 s[0:1], -1
                                        ; implicit-def: $vgpr3
	s_branch .LBB21_477
.LBB21_473:
	s_mov_b64 s[0:1], -1
                                        ; implicit-def: $vgpr3
.LBB21_474:
	s_andn2_b64 vcc, exec, s[0:1]
	s_cbranch_vccnz .LBB21_476
; %bb.475:
	global_load_ushort v3, v[1:2], off
	s_waitcnt vmcnt(0)
	v_cvt_f32_u32_e32 v3, v3
.LBB21_476:
	s_mov_b64 s[0:1], 0
.LBB21_477:
	s_andn2_b64 vcc, exec, s[0:1]
	s_cbranch_vccnz .LBB21_485
; %bb.478:
	global_load_ubyte v4, v[1:2], off
	s_movk_i32 s0, 0x7f
	s_waitcnt vmcnt(0)
	v_cmp_lt_i16_e32 vcc, s0, v4
	s_mov_b64 s[0:1], 0
	s_and_saveexec_b64 s[2:3], vcc
	s_xor_b64 s[2:3], exec, s[2:3]
	s_cbranch_execz .LBB21_499
; %bb.479:
	s_movk_i32 s0, 0x80
	v_cmp_eq_u16_e32 vcc, s0, v4
	s_mov_b64 s[0:1], -1
	s_and_saveexec_b64 s[6:7], vcc
; %bb.480:
	s_xor_b64 s[0:1], exec, -1
; %bb.481:
	s_or_b64 exec, exec, s[6:7]
	s_and_b64 s[0:1], s[0:1], exec
	s_or_saveexec_b64 s[2:3], s[2:3]
	v_mov_b32_e32 v3, 0x7f800001
	s_xor_b64 exec, exec, s[2:3]
	s_cbranch_execnz .LBB21_500
.LBB21_482:
	s_or_b64 exec, exec, s[2:3]
	s_and_saveexec_b64 s[2:3], s[0:1]
	s_cbranch_execz .LBB21_484
.LBB21_483:
	v_lshlrev_b32_e32 v3, 24, v4
	v_and_b32_e32 v4, 0xffff, v4
	v_and_b32_e32 v5, 7, v4
	v_ffbh_u32_e32 v7, v5
	v_min_u32_e32 v7, 32, v7
	v_subrev_u32_e32 v9, 28, v7
	v_bfe_u32 v6, v4, 3, 4
	v_lshlrev_b32_e32 v4, v9, v4
	v_sub_u32_e32 v7, 29, v7
	v_and_b32_e32 v4, 7, v4
	v_cmp_eq_u32_e32 vcc, 0, v6
	v_cndmask_b32_e32 v6, v6, v7, vcc
	v_cndmask_b32_e32 v4, v5, v4, vcc
	v_mov_b32_e32 v5, 0x3b800000
	v_lshlrev_b32_e32 v4, 20, v4
	v_and_b32_e32 v3, 0x80000000, v3
	v_lshl_add_u32 v5, v6, 23, v5
	v_or3_b32 v3, v3, v5, v4
.LBB21_484:
	s_or_b64 exec, exec, s[2:3]
.LBB21_485:
	s_mov_b64 s[0:1], -1
.LBB21_486:
	s_mov_b64 s[2:3], 0
.LBB21_487:
	s_and_b64 vcc, exec, s[2:3]
	s_cbranch_vccz .LBB21_522
; %bb.488:
	s_cmp_gt_i32 s10, 22
	s_cbranch_scc0 .LBB21_498
; %bb.489:
	s_cmp_lt_i32 s10, 24
	s_cbranch_scc1 .LBB21_501
; %bb.490:
	s_cmp_gt_i32 s10, 24
	s_cbranch_scc0 .LBB21_502
; %bb.491:
	global_load_ubyte v4, v[1:2], off
	s_movk_i32 s0, 0x7f
	s_waitcnt vmcnt(0)
	v_cmp_lt_i16_e32 vcc, s0, v4
	s_mov_b64 s[0:1], 0
	s_and_saveexec_b64 s[2:3], vcc
	s_xor_b64 s[2:3], exec, s[2:3]
	s_cbranch_execz .LBB21_514
; %bb.492:
	s_movk_i32 s0, 0x80
	v_cmp_eq_u16_e32 vcc, s0, v4
	s_mov_b64 s[0:1], -1
	s_and_saveexec_b64 s[6:7], vcc
; %bb.493:
	s_xor_b64 s[0:1], exec, -1
; %bb.494:
	s_or_b64 exec, exec, s[6:7]
	s_and_b64 s[0:1], s[0:1], exec
	s_or_saveexec_b64 s[2:3], s[2:3]
	v_mov_b32_e32 v3, 0x7f800001
	s_xor_b64 exec, exec, s[2:3]
	s_cbranch_execnz .LBB21_515
.LBB21_495:
	s_or_b64 exec, exec, s[2:3]
	s_and_saveexec_b64 s[2:3], s[0:1]
	s_cbranch_execz .LBB21_497
.LBB21_496:
	v_lshlrev_b32_e32 v3, 24, v4
	v_and_b32_e32 v4, 0xffff, v4
	v_and_b32_e32 v5, 3, v4
	v_ffbh_u32_e32 v7, v5
	v_min_u32_e32 v7, 32, v7
	v_subrev_u32_e32 v9, 29, v7
	v_bfe_u32 v6, v4, 2, 5
	v_lshlrev_b32_e32 v4, v9, v4
	v_sub_u32_e32 v7, 30, v7
	v_and_b32_e32 v4, 3, v4
	v_cmp_eq_u32_e32 vcc, 0, v6
	v_cndmask_b32_e32 v6, v6, v7, vcc
	v_cndmask_b32_e32 v4, v5, v4, vcc
	v_mov_b32_e32 v5, 0x37800000
	v_lshlrev_b32_e32 v4, 21, v4
	v_and_b32_e32 v3, 0x80000000, v3
	v_lshl_add_u32 v5, v6, 23, v5
	v_or3_b32 v3, v3, v5, v4
.LBB21_497:
	s_or_b64 exec, exec, s[2:3]
	s_mov_b64 s[0:1], 0
	s_branch .LBB21_503
.LBB21_498:
	s_mov_b64 s[2:3], -1
                                        ; implicit-def: $vgpr3
	s_branch .LBB21_509
.LBB21_499:
	s_or_saveexec_b64 s[2:3], s[2:3]
	v_mov_b32_e32 v3, 0x7f800001
	s_xor_b64 exec, exec, s[2:3]
	s_cbranch_execz .LBB21_482
.LBB21_500:
	v_cmp_ne_u16_e32 vcc, 0, v4
	s_andn2_b64 s[0:1], s[0:1], exec
	s_and_b64 s[6:7], vcc, exec
	v_mov_b32_e32 v3, 0
	s_or_b64 s[0:1], s[0:1], s[6:7]
	s_or_b64 exec, exec, s[2:3]
	s_and_saveexec_b64 s[2:3], s[0:1]
	s_cbranch_execnz .LBB21_483
	s_branch .LBB21_484
.LBB21_501:
	s_mov_b64 s[0:1], -1
                                        ; implicit-def: $vgpr3
	s_branch .LBB21_506
.LBB21_502:
	s_mov_b64 s[0:1], -1
                                        ; implicit-def: $vgpr3
.LBB21_503:
	s_and_b64 vcc, exec, s[0:1]
	s_cbranch_vccz .LBB21_505
; %bb.504:
	global_load_ubyte v3, v[1:2], off
	s_mov_b32 s0, 0x7f800000
	s_waitcnt vmcnt(0)
	v_lshlrev_b32_e32 v3, 24, v3
	v_and_b32_e32 v4, 0x7f000000, v3
	v_ffbh_u32_e32 v5, v4
	v_min_u32_e32 v5, 32, v5
	v_sub_u32_e64 v5, v5, 4 clamp
	v_lshlrev_b32_e32 v7, v5, v4
	v_lshlrev_b32_e32 v5, 23, v5
	v_lshrrev_b32_e32 v7, 4, v7
	v_add_u32_e32 v6, 0x1000000, v4
	v_sub_u32_e32 v5, v7, v5
	v_ashrrev_i32_e32 v6, 8, v6
	v_add_u32_e32 v5, 0x3c000000, v5
	v_and_or_b32 v5, v6, s0, v5
	v_cmp_ne_u32_e32 vcc, 0, v4
	v_cndmask_b32_e32 v4, 0, v5, vcc
	s_brev_b32 s0, 1
	v_and_or_b32 v3, v3, s0, v4
.LBB21_505:
	s_mov_b64 s[0:1], 0
.LBB21_506:
	s_andn2_b64 vcc, exec, s[0:1]
	s_cbranch_vccnz .LBB21_508
; %bb.507:
	global_load_ubyte v3, v[1:2], off
	s_movk_i32 s0, 0x7f00
	s_brev_b32 s1, 16
	s_waitcnt vmcnt(0)
	v_lshlrev_b16_e32 v4, 8, v3
	v_lshlrev_b32_e32 v3, 25, v3
	v_lshrrev_b32_e32 v5, 4, v3
	v_and_or_b32 v6, v4, s0, 0.5
	v_or_b32_e32 v5, 0x70000000, v5
	v_add_f32_e32 v6, -0.5, v6
	v_mul_f32_e32 v5, 0x7800000, v5
	v_cmp_gt_u32_e32 vcc, s1, v3
	v_bfe_i32 v4, v4, 0, 16
	v_cndmask_b32_e32 v3, v5, v6, vcc
	s_brev_b32 s0, 1
	v_and_or_b32 v3, v4, s0, v3
.LBB21_508:
	s_mov_b64 s[2:3], 0
	s_mov_b64 s[0:1], -1
.LBB21_509:
	s_andn2_b64 vcc, exec, s[2:3]
	s_cbranch_vccnz .LBB21_522
; %bb.510:
	s_cmp_gt_i32 s10, 14
	s_cbranch_scc0 .LBB21_513
; %bb.511:
	s_cmp_eq_u32 s10, 15
	s_cbranch_scc0 .LBB21_516
; %bb.512:
	global_load_ushort v3, v[1:2], off
	s_mov_b64 s[0:1], -1
	s_mov_b64 s[8:9], 0
	s_waitcnt vmcnt(0)
	v_lshlrev_b32_e32 v3, 16, v3
	s_branch .LBB21_517
.LBB21_513:
	s_mov_b64 s[2:3], -1
                                        ; implicit-def: $vgpr3
	s_branch .LBB21_518
.LBB21_514:
	s_or_saveexec_b64 s[2:3], s[2:3]
	v_mov_b32_e32 v3, 0x7f800001
	s_xor_b64 exec, exec, s[2:3]
	s_cbranch_execz .LBB21_495
.LBB21_515:
	v_cmp_ne_u16_e32 vcc, 0, v4
	s_andn2_b64 s[0:1], s[0:1], exec
	s_and_b64 s[6:7], vcc, exec
	v_mov_b32_e32 v3, 0
	s_or_b64 s[0:1], s[0:1], s[6:7]
	s_or_b64 exec, exec, s[2:3]
	s_and_saveexec_b64 s[2:3], s[0:1]
	s_cbranch_execnz .LBB21_496
	s_branch .LBB21_497
.LBB21_516:
	s_mov_b64 s[8:9], -1
                                        ; implicit-def: $vgpr3
.LBB21_517:
	s_mov_b64 s[2:3], 0
.LBB21_518:
	s_and_b64 vcc, exec, s[2:3]
	s_cbranch_vccz .LBB21_522
; %bb.519:
	s_cmp_eq_u32 s10, 11
	s_cbranch_scc0 .LBB21_521
; %bb.520:
	global_load_ubyte v3, v[1:2], off
	s_mov_b64 s[0:1], -1
	s_mov_b64 s[8:9], 0
	s_waitcnt vmcnt(0)
	v_cmp_ne_u16_e32 vcc, 0, v3
	v_cndmask_b32_e64 v3, 0, 1.0, vcc
	s_branch .LBB21_522
.LBB21_521:
	s_mov_b64 s[8:9], -1
                                        ; implicit-def: $vgpr3
.LBB21_522:
	s_branch .LBB21_309
.LBB21_523:
	s_cmp_lt_i32 s10, 5
	s_cbranch_scc1 .LBB21_528
; %bb.524:
	s_cmp_lt_i32 s10, 8
	s_cbranch_scc1 .LBB21_529
; %bb.525:
	;; [unrolled: 3-line block ×3, first 2 shown]
	s_cmp_gt_i32 s10, 9
	s_cbranch_scc0 .LBB21_531
; %bb.527:
	global_load_dwordx2 v[3:4], v[1:2], off
	s_mov_b64 s[0:1], 0
	s_waitcnt vmcnt(0)
	v_cvt_f32_f64_e32 v3, v[3:4]
	s_branch .LBB21_532
.LBB21_528:
	s_mov_b64 s[0:1], -1
                                        ; implicit-def: $vgpr3
	s_branch .LBB21_550
.LBB21_529:
	s_mov_b64 s[0:1], -1
                                        ; implicit-def: $vgpr3
	s_branch .LBB21_538
.LBB21_530:
	s_mov_b64 s[0:1], -1
                                        ; implicit-def: $vgpr3
	s_branch .LBB21_535
.LBB21_531:
	s_mov_b64 s[0:1], -1
                                        ; implicit-def: $vgpr3
.LBB21_532:
	s_andn2_b64 vcc, exec, s[0:1]
	s_cbranch_vccnz .LBB21_534
; %bb.533:
	global_load_dword v3, v[1:2], off
.LBB21_534:
	s_mov_b64 s[0:1], 0
.LBB21_535:
	s_andn2_b64 vcc, exec, s[0:1]
	s_cbranch_vccnz .LBB21_537
; %bb.536:
	global_load_dword v3, v[1:2], off
	s_waitcnt vmcnt(0)
	v_cvt_f32_f16_e32 v3, v3
.LBB21_537:
	s_mov_b64 s[0:1], 0
.LBB21_538:
	s_andn2_b64 vcc, exec, s[0:1]
	s_cbranch_vccnz .LBB21_549
; %bb.539:
	s_cmp_lt_i32 s10, 6
	s_cbranch_scc1 .LBB21_542
; %bb.540:
	s_cmp_gt_i32 s10, 6
	s_cbranch_scc0 .LBB21_543
; %bb.541:
	global_load_dwordx2 v[3:4], v[1:2], off
	s_mov_b64 s[0:1], 0
	s_waitcnt vmcnt(0)
	v_cvt_f32_f64_e32 v3, v[3:4]
	s_branch .LBB21_544
.LBB21_542:
	s_mov_b64 s[0:1], -1
                                        ; implicit-def: $vgpr3
	s_branch .LBB21_547
.LBB21_543:
	s_mov_b64 s[0:1], -1
                                        ; implicit-def: $vgpr3
.LBB21_544:
	s_andn2_b64 vcc, exec, s[0:1]
	s_cbranch_vccnz .LBB21_546
; %bb.545:
	global_load_dword v3, v[1:2], off
.LBB21_546:
	s_mov_b64 s[0:1], 0
.LBB21_547:
	s_andn2_b64 vcc, exec, s[0:1]
	s_cbranch_vccnz .LBB21_549
; %bb.548:
	global_load_ushort v3, v[1:2], off
	s_waitcnt vmcnt(0)
	v_cvt_f32_f16_e32 v3, v3
.LBB21_549:
	s_mov_b64 s[0:1], 0
.LBB21_550:
	s_andn2_b64 vcc, exec, s[0:1]
	s_cbranch_vccnz .LBB21_570
; %bb.551:
	s_cmp_lt_i32 s10, 2
	s_cbranch_scc1 .LBB21_555
; %bb.552:
	s_cmp_lt_i32 s10, 3
	s_cbranch_scc1 .LBB21_556
; %bb.553:
	s_cmp_gt_i32 s10, 3
	s_cbranch_scc0 .LBB21_557
; %bb.554:
	global_load_dwordx2 v[3:4], v[1:2], off
	s_mov_b64 s[0:1], 0
	s_waitcnt vmcnt(0)
	v_xor_b32_e32 v6, v3, v4
	v_ffbh_i32_e32 v5, v4
	v_ashrrev_i32_e32 v6, 31, v6
	v_add_u32_e32 v5, -1, v5
	v_add_u32_e32 v6, 32, v6
	v_min_u32_e32 v5, v5, v6
	v_lshlrev_b64 v[3:4], v5, v[3:4]
	v_min_u32_e32 v3, 1, v3
	v_or_b32_e32 v3, v4, v3
	v_cvt_f32_i32_e32 v3, v3
	v_sub_u32_e32 v4, 32, v5
	v_ldexp_f32 v3, v3, v4
	s_branch .LBB21_558
.LBB21_555:
	s_mov_b64 s[0:1], -1
                                        ; implicit-def: $vgpr3
	s_branch .LBB21_564
.LBB21_556:
	s_mov_b64 s[0:1], -1
                                        ; implicit-def: $vgpr3
	s_branch .LBB21_561
.LBB21_557:
	s_mov_b64 s[0:1], -1
                                        ; implicit-def: $vgpr3
.LBB21_558:
	s_andn2_b64 vcc, exec, s[0:1]
	s_cbranch_vccnz .LBB21_560
; %bb.559:
	global_load_dword v3, v[1:2], off
	s_waitcnt vmcnt(0)
	v_cvt_f32_i32_e32 v3, v3
.LBB21_560:
	s_mov_b64 s[0:1], 0
.LBB21_561:
	s_andn2_b64 vcc, exec, s[0:1]
	s_cbranch_vccnz .LBB21_563
; %bb.562:
	global_load_sshort v3, v[1:2], off
	s_waitcnt vmcnt(0)
	v_cvt_f32_i32_e32 v3, v3
.LBB21_563:
	s_mov_b64 s[0:1], 0
.LBB21_564:
	s_andn2_b64 vcc, exec, s[0:1]
	s_cbranch_vccnz .LBB21_570
; %bb.565:
	s_cmp_gt_i32 s10, 0
	s_cbranch_scc0 .LBB21_567
; %bb.566:
	global_load_sbyte v3, v[1:2], off
	s_mov_b64 s[0:1], 0
	s_waitcnt vmcnt(0)
	v_cvt_f32_i32_e32 v3, v3
	s_branch .LBB21_568
.LBB21_567:
	s_mov_b64 s[0:1], -1
                                        ; implicit-def: $vgpr3
.LBB21_568:
	s_andn2_b64 vcc, exec, s[0:1]
	s_cbranch_vccnz .LBB21_570
; %bb.569:
	global_load_ubyte v1, v[1:2], off
	s_waitcnt vmcnt(0)
	v_cvt_f32_ubyte0_e32 v3, v1
.LBB21_570:
	s_branch .LBB21_310
.LBB21_571:
	s_mov_b64 s[2:3], 0
	s_mov_b64 s[0:1], s[54:55]
.LBB21_572:
                                        ; implicit-def: $vgpr8
.LBB21_573:
	s_andn2_b64 s[6:7], s[54:55], exec
	s_and_b64 s[0:1], s[0:1], exec
	s_or_b64 s[62:63], s[6:7], s[0:1]
	s_andn2_b64 s[0:1], s[56:57], exec
	s_and_b64 s[6:7], s[8:9], exec
	s_or_b64 s[60:61], s[0:1], s[6:7]
	s_orn2_b64 s[0:1], s[2:3], exec
.LBB21_574:
	s_or_b64 exec, exec, s[64:65]
	s_mov_b64 s[2:3], 0
	s_mov_b64 s[8:9], 0
	;; [unrolled: 1-line block ×3, first 2 shown]
                                        ; implicit-def: $vgpr1_vgpr2
                                        ; implicit-def: $vgpr0
                                        ; implicit-def: $vgpr5
	s_and_saveexec_b64 s[64:65], s[0:1]
	s_cbranch_execz .LBB21_965
; %bb.575:
	v_cmp_gt_i32_e32 vcc, s70, v8
	s_mov_b64 s[2:3], -1
	s_mov_b64 s[6:7], s[60:61]
	s_mov_b64 s[68:69], s[62:63]
	s_and_saveexec_b64 s[66:67], vcc
	s_cbranch_execz .LBB21_865
; %bb.576:
	s_andn2_b64 vcc, exec, s[42:43]
	s_cbranch_vccnz .LBB21_581
; %bb.577:
	s_andn2_b64 vcc, exec, s[52:53]
	s_cbranch_vccnz .LBB21_582
; %bb.578:
	s_add_i32 s76, s75, 1
	s_cmp_eq_u32 s72, 2
	s_cbranch_scc1 .LBB21_583
; %bb.579:
	s_and_b32 s71, s76, 28
	v_mov_b32_e32 v2, 0
	s_mov_b32 s77, 0
	s_mov_b64 s[6:7], s[34:35]
	s_mov_b64 s[68:69], s[50:51]
	v_mov_b32_e32 v0, 0
	v_mov_b32_e32 v1, v8
.LBB21_580:                             ; =>This Inner Loop Header: Depth=1
	s_load_dwordx8 s[16:23], s[6:7], 0x4
	s_load_dwordx4 s[0:3], s[6:7], 0x24
	s_load_dwordx8 s[8:15], s[68:69], 0x0
	s_add_u32 s6, s6, 48
	s_addc_u32 s7, s7, 0
	s_waitcnt vmcnt(0) lgkmcnt(0)
	v_mul_hi_u32 v3, s17, v1
	s_add_i32 s77, s77, 4
	s_add_u32 s68, s68, 32
	s_addc_u32 s69, s69, 0
	v_add_u32_e32 v3, v1, v3
	v_lshrrev_b32_e32 v3, s18, v3
	v_mul_lo_u32 v4, v3, s16
	v_mul_hi_u32 v5, s20, v3
	s_cmp_eq_u32 s71, s77
	v_sub_u32_e32 v1, v1, v4
	v_add_u32_e32 v4, v3, v5
	v_mul_lo_u32 v5, v1, s8
	v_mul_lo_u32 v6, v1, s9
	v_lshrrev_b32_e32 v1, s21, v4
	v_mul_lo_u32 v4, v1, s19
	v_mul_hi_u32 v7, s23, v1
	v_sub_u32_e32 v3, v3, v4
	v_add_u32_e32 v4, v1, v7
	v_lshrrev_b32_e32 v4, s0, v4
	v_mul_hi_u32 v9, s2, v4
	v_mul_lo_u32 v10, v4, s22
	v_mul_lo_u32 v7, v3, s10
	;; [unrolled: 1-line block ×3, first 2 shown]
	v_sub_u32_e32 v10, v1, v10
	v_add_u32_e32 v1, v4, v9
	v_lshrrev_b32_e32 v1, s3, v1
	v_mul_lo_u32 v9, v1, s1
	v_mul_lo_u32 v11, v10, s12
	;; [unrolled: 1-line block ×3, first 2 shown]
	v_add3_u32 v0, v5, v0, v7
	v_sub_u32_e32 v4, v4, v9
	v_mul_lo_u32 v9, v4, s14
	v_mul_lo_u32 v4, v4, s15
	v_add3_u32 v2, v6, v2, v3
	v_add3_u32 v0, v11, v0, v9
	;; [unrolled: 1-line block ×3, first 2 shown]
	s_cbranch_scc0 .LBB21_580
	s_branch .LBB21_584
.LBB21_581:
	s_mov_b64 s[0:1], -1
                                        ; implicit-def: $vgpr0
                                        ; implicit-def: $vgpr2
	s_branch .LBB21_588
.LBB21_582:
	v_mov_b32_e32 v0, 0
	v_mov_b32_e32 v2, 0
	s_branch .LBB21_587
.LBB21_583:
	s_mov_b32 s71, 0
	v_mov_b32_e32 v0, 0
	v_mov_b32_e32 v2, 0
	;; [unrolled: 1-line block ×3, first 2 shown]
.LBB21_584:
	s_and_b32 s6, s76, 3
	s_cmp_eq_u32 s6, 0
	s_cbranch_scc1 .LBB21_587
; %bb.585:
	s_lshl_b32 s0, s71, 3
	s_add_u32 s0, s34, s0
	s_addc_u32 s1, s35, 0
	s_add_u32 s0, s0, 0xc4
	s_addc_u32 s1, s1, 0
	s_mul_i32 s2, s71, 12
	s_add_u32 s2, s34, s2
	s_addc_u32 s3, s35, 0
.LBB21_586:                             ; =>This Inner Loop Header: Depth=1
	s_load_dwordx2 s[8:9], s[2:3], 0x4
	s_load_dword s7, s[2:3], 0xc
	s_load_dwordx2 s[10:11], s[0:1], 0x0
	s_add_u32 s2, s2, 12
	s_addc_u32 s3, s3, 0
	s_waitcnt vmcnt(0) lgkmcnt(0)
	v_mul_hi_u32 v3, s9, v1
	s_add_u32 s0, s0, 8
	s_addc_u32 s1, s1, 0
	s_add_i32 s6, s6, -1
	v_add_u32_e32 v3, v1, v3
	v_lshrrev_b32_e32 v4, s7, v3
	v_mul_lo_u32 v3, v4, s8
	s_cmp_lg_u32 s6, 0
	v_sub_u32_e32 v3, v1, v3
	v_mad_u64_u32 v[0:1], s[8:9], v3, s10, v[0:1]
	v_mad_u64_u32 v[2:3], s[8:9], v3, s11, v[2:3]
	v_mov_b32_e32 v1, v4
	s_cbranch_scc1 .LBB21_586
.LBB21_587:
	s_mov_b64 s[0:1], 0
.LBB21_588:
	s_andn2_b64 vcc, exec, s[0:1]
	s_cbranch_vccnz .LBB21_591
; %bb.589:
	s_waitcnt lgkmcnt(0)
	v_mul_hi_u32 v0, s37, v8
	s_andn2_b64 vcc, exec, s[48:49]
	v_add_u32_e32 v0, v8, v0
	v_lshrrev_b32_e32 v1, s38, v0
	v_mul_lo_u32 v0, v1, s36
	v_sub_u32_e32 v2, v8, v0
	v_mul_lo_u32 v0, v2, s28
	v_mul_lo_u32 v2, v2, s29
	s_cbranch_vccnz .LBB21_591
; %bb.590:
	s_waitcnt vmcnt(0)
	v_mul_hi_u32 v3, s46, v1
	v_add_u32_e32 v3, v1, v3
	v_lshrrev_b32_e32 v3, s47, v3
	v_mul_lo_u32 v3, v3, s39
	v_sub_u32_e32 v3, v1, v3
	v_mad_u64_u32 v[0:1], s[0:1], v3, s30, v[0:1]
	v_mad_u64_u32 v[2:3], s[0:1], v3, s31, v[2:3]
.LBB21_591:
	s_waitcnt vmcnt(0) lgkmcnt(0)
	v_mov_b32_e32 v3, s27
	s_and_b32 s10, 0xffff, s74
	v_add_co_u32_e32 v1, vcc, s26, v2
	s_cmp_lt_i32 s10, 11
	v_addc_co_u32_e32 v2, vcc, 0, v3, vcc
	s_cbranch_scc1 .LBB21_598
; %bb.592:
	s_cmp_gt_i32 s10, 25
	s_cbranch_scc0 .LBB21_599
; %bb.593:
	s_cmp_gt_i32 s10, 28
	s_cbranch_scc0 .LBB21_600
	;; [unrolled: 3-line block ×4, first 2 shown]
; %bb.596:
	s_cmp_eq_u32 s10, 46
	s_mov_b64 s[2:3], 0
	s_cbranch_scc0 .LBB21_607
; %bb.597:
	global_load_dword v3, v[1:2], off
	s_mov_b64 s[0:1], -1
	s_mov_b64 s[8:9], 0
	s_waitcnt vmcnt(0)
	v_lshlrev_b32_e32 v3, 16, v3
	s_branch .LBB21_608
.LBB21_598:
	s_mov_b64 s[2:3], -1
	s_mov_b64 s[0:1], 0
                                        ; implicit-def: $vgpr3
	s_mov_b64 s[8:9], s[60:61]
	s_branch .LBB21_673
.LBB21_599:
	s_mov_b64 s[2:3], -1
	s_mov_b64 s[0:1], 0
	s_mov_b64 s[8:9], s[60:61]
                                        ; implicit-def: $vgpr3
	s_branch .LBB21_637
.LBB21_600:
	s_mov_b64 s[2:3], -1
	s_mov_b64 s[0:1], 0
	s_mov_b64 s[8:9], s[60:61]
                                        ; implicit-def: $vgpr3
	s_branch .LBB21_618
.LBB21_601:
	s_mov_b64 s[2:3], -1
	s_mov_b64 s[0:1], 0
	s_mov_b64 s[8:9], s[60:61]
                                        ; implicit-def: $vgpr3
	s_branch .LBB21_613
.LBB21_602:
	s_andn2_saveexec_b64 s[10:11], s[10:11]
	s_cbranch_execz .LBB21_371
.LBB21_603:
	s_mov_b32 s14, 0x46000000
	v_add_f32_e64 v0, |v1|, s14
	v_and_b32_e32 v0, 0xff, v0
	v_cmp_ne_u32_e32 vcc, 0, v0
	s_andn2_b64 s[6:7], s[6:7], exec
	s_and_b64 s[14:15], vcc, exec
	s_or_b64 s[6:7], s[6:7], s[14:15]
	s_or_b64 exec, exec, s[10:11]
	v_mov_b32_e32 v2, 0
	s_and_saveexec_b64 s[10:11], s[6:7]
	s_cbranch_execnz .LBB21_372
	s_branch .LBB21_373
.LBB21_604:
	s_mov_b64 s[2:3], -1
	s_mov_b64 s[0:1], 0
	s_mov_b64 s[8:9], s[60:61]
                                        ; implicit-def: $vgpr3
	s_branch .LBB21_608
.LBB21_605:
	s_andn2_saveexec_b64 s[10:11], s[10:11]
	s_cbranch_execz .LBB21_384
.LBB21_606:
	s_mov_b32 s14, 0x42800000
	v_add_f32_e64 v0, |v1|, s14
	v_and_b32_e32 v0, 0xff, v0
	v_cmp_ne_u32_e32 vcc, 0, v0
	s_andn2_b64 s[6:7], s[6:7], exec
	s_and_b64 s[14:15], vcc, exec
	s_or_b64 s[6:7], s[6:7], s[14:15]
	s_or_b64 exec, exec, s[10:11]
	v_mov_b32_e32 v2, 0
	s_and_saveexec_b64 s[10:11], s[6:7]
	s_cbranch_execnz .LBB21_385
	s_branch .LBB21_386
.LBB21_607:
	s_mov_b64 s[8:9], -1
                                        ; implicit-def: $vgpr3
	s_mov_b64 s[0:1], 0
.LBB21_608:
	s_and_b64 vcc, exec, s[2:3]
	s_cbranch_vccz .LBB21_612
; %bb.609:
	s_cmp_eq_u32 s10, 44
	s_cbranch_scc0 .LBB21_611
; %bb.610:
	global_load_ubyte v3, v[1:2], off
	s_movk_i32 s2, 0xff
	v_mov_b32_e32 v4, 0x7f800001
	v_mov_b32_e32 v5, 0x400000
	s_mov_b64 s[0:1], -1
	s_mov_b64 s[8:9], 0
	s_waitcnt vmcnt(0)
	v_lshlrev_b32_e32 v6, 23, v3
	v_cmp_ne_u32_e32 vcc, s2, v3
	v_cndmask_b32_e32 v4, v4, v6, vcc
	v_cmp_ne_u32_e32 vcc, 0, v3
	v_cndmask_b32_e32 v3, v5, v4, vcc
	s_branch .LBB21_612
.LBB21_611:
	s_mov_b64 s[8:9], -1
                                        ; implicit-def: $vgpr3
.LBB21_612:
	s_mov_b64 s[2:3], 0
.LBB21_613:
	s_and_b64 vcc, exec, s[2:3]
	s_cbranch_vccz .LBB21_617
; %bb.614:
	s_cmp_eq_u32 s10, 29
	s_cbranch_scc0 .LBB21_616
; %bb.615:
	global_load_dwordx2 v[3:4], v[1:2], off
	s_mov_b64 s[0:1], -1
	s_mov_b64 s[8:9], 0
	s_mov_b64 s[2:3], 0
	s_waitcnt vmcnt(0)
	v_ffbh_u32_e32 v5, v4
	v_min_u32_e32 v5, 32, v5
	v_lshlrev_b64 v[3:4], v5, v[3:4]
	v_min_u32_e32 v3, 1, v3
	v_or_b32_e32 v3, v4, v3
	v_cvt_f32_u32_e32 v3, v3
	v_sub_u32_e32 v4, 32, v5
	v_ldexp_f32 v3, v3, v4
	s_branch .LBB21_618
.LBB21_616:
	s_mov_b64 s[8:9], -1
                                        ; implicit-def: $vgpr3
.LBB21_617:
	s_mov_b64 s[2:3], 0
.LBB21_618:
	s_and_b64 vcc, exec, s[2:3]
	s_cbranch_vccz .LBB21_636
; %bb.619:
	s_cmp_lt_i32 s10, 27
	s_cbranch_scc1 .LBB21_622
; %bb.620:
	s_cmp_gt_i32 s10, 27
	s_cbranch_scc0 .LBB21_623
; %bb.621:
	global_load_dword v3, v[1:2], off
	s_mov_b64 s[0:1], 0
	s_waitcnt vmcnt(0)
	v_cvt_f32_u32_e32 v3, v3
	s_branch .LBB21_624
.LBB21_622:
	s_mov_b64 s[0:1], -1
                                        ; implicit-def: $vgpr3
	s_branch .LBB21_627
.LBB21_623:
	s_mov_b64 s[0:1], -1
                                        ; implicit-def: $vgpr3
.LBB21_624:
	s_andn2_b64 vcc, exec, s[0:1]
	s_cbranch_vccnz .LBB21_626
; %bb.625:
	global_load_ushort v3, v[1:2], off
	s_waitcnt vmcnt(0)
	v_cvt_f32_u32_e32 v3, v3
.LBB21_626:
	s_mov_b64 s[0:1], 0
.LBB21_627:
	s_andn2_b64 vcc, exec, s[0:1]
	s_cbranch_vccnz .LBB21_635
; %bb.628:
	global_load_ubyte v4, v[1:2], off
	s_movk_i32 s0, 0x7f
	s_waitcnt vmcnt(0)
	v_cmp_lt_i16_e32 vcc, s0, v4
	s_mov_b64 s[0:1], 0
	s_and_saveexec_b64 s[2:3], vcc
	s_xor_b64 s[2:3], exec, s[2:3]
	s_cbranch_execz .LBB21_649
; %bb.629:
	s_movk_i32 s0, 0x80
	v_cmp_eq_u16_e32 vcc, s0, v4
	s_mov_b64 s[0:1], -1
	s_and_saveexec_b64 s[6:7], vcc
; %bb.630:
	s_xor_b64 s[0:1], exec, -1
; %bb.631:
	s_or_b64 exec, exec, s[6:7]
	s_and_b64 s[0:1], s[0:1], exec
	s_or_saveexec_b64 s[2:3], s[2:3]
	v_mov_b32_e32 v3, 0x7f800001
	s_xor_b64 exec, exec, s[2:3]
	s_cbranch_execnz .LBB21_650
.LBB21_632:
	s_or_b64 exec, exec, s[2:3]
	s_and_saveexec_b64 s[2:3], s[0:1]
	s_cbranch_execz .LBB21_634
.LBB21_633:
	v_lshlrev_b32_e32 v3, 24, v4
	v_and_b32_e32 v4, 0xffff, v4
	v_and_b32_e32 v5, 7, v4
	v_ffbh_u32_e32 v7, v5
	v_min_u32_e32 v7, 32, v7
	v_subrev_u32_e32 v9, 28, v7
	v_bfe_u32 v6, v4, 3, 4
	v_lshlrev_b32_e32 v4, v9, v4
	v_sub_u32_e32 v7, 29, v7
	v_and_b32_e32 v4, 7, v4
	v_cmp_eq_u32_e32 vcc, 0, v6
	v_cndmask_b32_e32 v6, v6, v7, vcc
	v_cndmask_b32_e32 v4, v5, v4, vcc
	v_mov_b32_e32 v5, 0x3b800000
	v_lshlrev_b32_e32 v4, 20, v4
	v_and_b32_e32 v3, 0x80000000, v3
	v_lshl_add_u32 v5, v6, 23, v5
	v_or3_b32 v3, v3, v5, v4
.LBB21_634:
	s_or_b64 exec, exec, s[2:3]
.LBB21_635:
	s_mov_b64 s[0:1], -1
.LBB21_636:
	s_mov_b64 s[2:3], 0
.LBB21_637:
	s_and_b64 vcc, exec, s[2:3]
	s_cbranch_vccz .LBB21_672
; %bb.638:
	s_cmp_gt_i32 s10, 22
	s_cbranch_scc0 .LBB21_648
; %bb.639:
	s_cmp_lt_i32 s10, 24
	s_cbranch_scc1 .LBB21_651
; %bb.640:
	s_cmp_gt_i32 s10, 24
	s_cbranch_scc0 .LBB21_652
; %bb.641:
	global_load_ubyte v4, v[1:2], off
	s_movk_i32 s0, 0x7f
	s_waitcnt vmcnt(0)
	v_cmp_lt_i16_e32 vcc, s0, v4
	s_mov_b64 s[0:1], 0
	s_and_saveexec_b64 s[2:3], vcc
	s_xor_b64 s[2:3], exec, s[2:3]
	s_cbranch_execz .LBB21_664
; %bb.642:
	s_movk_i32 s0, 0x80
	v_cmp_eq_u16_e32 vcc, s0, v4
	s_mov_b64 s[0:1], -1
	s_and_saveexec_b64 s[6:7], vcc
; %bb.643:
	s_xor_b64 s[0:1], exec, -1
; %bb.644:
	s_or_b64 exec, exec, s[6:7]
	s_and_b64 s[0:1], s[0:1], exec
	s_or_saveexec_b64 s[2:3], s[2:3]
	v_mov_b32_e32 v3, 0x7f800001
	s_xor_b64 exec, exec, s[2:3]
	s_cbranch_execnz .LBB21_665
.LBB21_645:
	s_or_b64 exec, exec, s[2:3]
	s_and_saveexec_b64 s[2:3], s[0:1]
	s_cbranch_execz .LBB21_647
.LBB21_646:
	v_lshlrev_b32_e32 v3, 24, v4
	v_and_b32_e32 v4, 0xffff, v4
	v_and_b32_e32 v5, 3, v4
	v_ffbh_u32_e32 v7, v5
	v_min_u32_e32 v7, 32, v7
	v_subrev_u32_e32 v9, 29, v7
	v_bfe_u32 v6, v4, 2, 5
	v_lshlrev_b32_e32 v4, v9, v4
	v_sub_u32_e32 v7, 30, v7
	v_and_b32_e32 v4, 3, v4
	v_cmp_eq_u32_e32 vcc, 0, v6
	v_cndmask_b32_e32 v6, v6, v7, vcc
	v_cndmask_b32_e32 v4, v5, v4, vcc
	v_mov_b32_e32 v5, 0x37800000
	v_lshlrev_b32_e32 v4, 21, v4
	v_and_b32_e32 v3, 0x80000000, v3
	v_lshl_add_u32 v5, v6, 23, v5
	v_or3_b32 v3, v3, v5, v4
.LBB21_647:
	s_or_b64 exec, exec, s[2:3]
	s_mov_b64 s[0:1], 0
	s_branch .LBB21_653
.LBB21_648:
	s_mov_b64 s[2:3], -1
                                        ; implicit-def: $vgpr3
	s_branch .LBB21_659
.LBB21_649:
	s_or_saveexec_b64 s[2:3], s[2:3]
	v_mov_b32_e32 v3, 0x7f800001
	s_xor_b64 exec, exec, s[2:3]
	s_cbranch_execz .LBB21_632
.LBB21_650:
	v_cmp_ne_u16_e32 vcc, 0, v4
	s_andn2_b64 s[0:1], s[0:1], exec
	s_and_b64 s[6:7], vcc, exec
	v_mov_b32_e32 v3, 0
	s_or_b64 s[0:1], s[0:1], s[6:7]
	s_or_b64 exec, exec, s[2:3]
	s_and_saveexec_b64 s[2:3], s[0:1]
	s_cbranch_execnz .LBB21_633
	s_branch .LBB21_634
.LBB21_651:
	s_mov_b64 s[0:1], -1
                                        ; implicit-def: $vgpr3
	s_branch .LBB21_656
.LBB21_652:
	s_mov_b64 s[0:1], -1
                                        ; implicit-def: $vgpr3
.LBB21_653:
	s_and_b64 vcc, exec, s[0:1]
	s_cbranch_vccz .LBB21_655
; %bb.654:
	global_load_ubyte v3, v[1:2], off
	s_mov_b32 s0, 0x7f800000
	s_waitcnt vmcnt(0)
	v_lshlrev_b32_e32 v3, 24, v3
	v_and_b32_e32 v4, 0x7f000000, v3
	v_ffbh_u32_e32 v5, v4
	v_min_u32_e32 v5, 32, v5
	v_sub_u32_e64 v5, v5, 4 clamp
	v_lshlrev_b32_e32 v7, v5, v4
	v_lshlrev_b32_e32 v5, 23, v5
	v_lshrrev_b32_e32 v7, 4, v7
	v_add_u32_e32 v6, 0x1000000, v4
	v_sub_u32_e32 v5, v7, v5
	v_ashrrev_i32_e32 v6, 8, v6
	v_add_u32_e32 v5, 0x3c000000, v5
	v_and_or_b32 v5, v6, s0, v5
	v_cmp_ne_u32_e32 vcc, 0, v4
	v_cndmask_b32_e32 v4, 0, v5, vcc
	s_brev_b32 s0, 1
	v_and_or_b32 v3, v3, s0, v4
.LBB21_655:
	s_mov_b64 s[0:1], 0
.LBB21_656:
	s_andn2_b64 vcc, exec, s[0:1]
	s_cbranch_vccnz .LBB21_658
; %bb.657:
	global_load_ubyte v3, v[1:2], off
	s_movk_i32 s0, 0x7f00
	s_brev_b32 s1, 16
	s_waitcnt vmcnt(0)
	v_lshlrev_b16_e32 v4, 8, v3
	v_lshlrev_b32_e32 v3, 25, v3
	v_lshrrev_b32_e32 v5, 4, v3
	v_and_or_b32 v6, v4, s0, 0.5
	v_or_b32_e32 v5, 0x70000000, v5
	v_add_f32_e32 v6, -0.5, v6
	v_mul_f32_e32 v5, 0x7800000, v5
	v_cmp_gt_u32_e32 vcc, s1, v3
	v_bfe_i32 v4, v4, 0, 16
	v_cndmask_b32_e32 v3, v5, v6, vcc
	s_brev_b32 s0, 1
	v_and_or_b32 v3, v4, s0, v3
.LBB21_658:
	s_mov_b64 s[2:3], 0
	s_mov_b64 s[0:1], -1
.LBB21_659:
	s_andn2_b64 vcc, exec, s[2:3]
	s_cbranch_vccnz .LBB21_672
; %bb.660:
	s_cmp_gt_i32 s10, 14
	s_cbranch_scc0 .LBB21_663
; %bb.661:
	s_cmp_eq_u32 s10, 15
	s_cbranch_scc0 .LBB21_666
; %bb.662:
	global_load_ushort v3, v[1:2], off
	s_mov_b64 s[0:1], -1
	s_mov_b64 s[8:9], 0
	s_waitcnt vmcnt(0)
	v_lshlrev_b32_e32 v3, 16, v3
	s_branch .LBB21_667
.LBB21_663:
	s_mov_b64 s[2:3], -1
                                        ; implicit-def: $vgpr3
	s_branch .LBB21_668
.LBB21_664:
	s_or_saveexec_b64 s[2:3], s[2:3]
	v_mov_b32_e32 v3, 0x7f800001
	s_xor_b64 exec, exec, s[2:3]
	s_cbranch_execz .LBB21_645
.LBB21_665:
	v_cmp_ne_u16_e32 vcc, 0, v4
	s_andn2_b64 s[0:1], s[0:1], exec
	s_and_b64 s[6:7], vcc, exec
	v_mov_b32_e32 v3, 0
	s_or_b64 s[0:1], s[0:1], s[6:7]
	s_or_b64 exec, exec, s[2:3]
	s_and_saveexec_b64 s[2:3], s[0:1]
	s_cbranch_execnz .LBB21_646
	s_branch .LBB21_647
.LBB21_666:
	s_mov_b64 s[8:9], -1
                                        ; implicit-def: $vgpr3
.LBB21_667:
	s_mov_b64 s[2:3], 0
.LBB21_668:
	s_and_b64 vcc, exec, s[2:3]
	s_cbranch_vccz .LBB21_672
; %bb.669:
	s_cmp_eq_u32 s10, 11
	s_cbranch_scc0 .LBB21_671
; %bb.670:
	global_load_ubyte v3, v[1:2], off
	s_mov_b64 s[0:1], -1
	s_mov_b64 s[8:9], 0
	s_waitcnt vmcnt(0)
	v_cmp_ne_u16_e32 vcc, 0, v3
	v_cndmask_b32_e64 v3, 0, 1.0, vcc
	s_branch .LBB21_672
.LBB21_671:
	s_mov_b64 s[8:9], -1
                                        ; implicit-def: $vgpr3
.LBB21_672:
	s_mov_b64 s[2:3], 0
.LBB21_673:
	s_and_b64 vcc, exec, s[2:3]
	s_cbranch_vccz .LBB21_722
; %bb.674:
	s_cmp_lt_i32 s10, 5
	s_cbranch_scc1 .LBB21_679
; %bb.675:
	s_cmp_lt_i32 s10, 8
	s_cbranch_scc1 .LBB21_680
	;; [unrolled: 3-line block ×3, first 2 shown]
; %bb.677:
	s_cmp_gt_i32 s10, 9
	s_cbranch_scc0 .LBB21_682
; %bb.678:
	global_load_dwordx2 v[3:4], v[1:2], off
	s_mov_b64 s[0:1], 0
	s_waitcnt vmcnt(0)
	v_cvt_f32_f64_e32 v3, v[3:4]
	s_branch .LBB21_683
.LBB21_679:
	s_mov_b64 s[0:1], -1
                                        ; implicit-def: $vgpr3
	s_branch .LBB21_701
.LBB21_680:
	s_mov_b64 s[0:1], -1
                                        ; implicit-def: $vgpr3
	s_branch .LBB21_689
.LBB21_681:
	s_mov_b64 s[0:1], -1
                                        ; implicit-def: $vgpr3
	s_branch .LBB21_686
.LBB21_682:
	s_mov_b64 s[0:1], -1
                                        ; implicit-def: $vgpr3
.LBB21_683:
	s_andn2_b64 vcc, exec, s[0:1]
	s_cbranch_vccnz .LBB21_685
; %bb.684:
	global_load_dword v3, v[1:2], off
.LBB21_685:
	s_mov_b64 s[0:1], 0
.LBB21_686:
	s_andn2_b64 vcc, exec, s[0:1]
	s_cbranch_vccnz .LBB21_688
; %bb.687:
	global_load_dword v3, v[1:2], off
	s_waitcnt vmcnt(0)
	v_cvt_f32_f16_e32 v3, v3
.LBB21_688:
	s_mov_b64 s[0:1], 0
.LBB21_689:
	s_andn2_b64 vcc, exec, s[0:1]
	s_cbranch_vccnz .LBB21_700
; %bb.690:
	s_cmp_lt_i32 s10, 6
	s_cbranch_scc1 .LBB21_693
; %bb.691:
	s_cmp_gt_i32 s10, 6
	s_cbranch_scc0 .LBB21_694
; %bb.692:
	global_load_dwordx2 v[3:4], v[1:2], off
	s_mov_b64 s[0:1], 0
	s_waitcnt vmcnt(0)
	v_cvt_f32_f64_e32 v3, v[3:4]
	s_branch .LBB21_695
.LBB21_693:
	s_mov_b64 s[0:1], -1
                                        ; implicit-def: $vgpr3
	s_branch .LBB21_698
.LBB21_694:
	s_mov_b64 s[0:1], -1
                                        ; implicit-def: $vgpr3
.LBB21_695:
	s_andn2_b64 vcc, exec, s[0:1]
	s_cbranch_vccnz .LBB21_697
; %bb.696:
	global_load_dword v3, v[1:2], off
.LBB21_697:
	s_mov_b64 s[0:1], 0
.LBB21_698:
	s_andn2_b64 vcc, exec, s[0:1]
	s_cbranch_vccnz .LBB21_700
; %bb.699:
	global_load_ushort v3, v[1:2], off
	s_waitcnt vmcnt(0)
	v_cvt_f32_f16_e32 v3, v3
.LBB21_700:
	s_mov_b64 s[0:1], 0
.LBB21_701:
	s_andn2_b64 vcc, exec, s[0:1]
	s_cbranch_vccnz .LBB21_721
; %bb.702:
	s_cmp_lt_i32 s10, 2
	s_cbranch_scc1 .LBB21_706
; %bb.703:
	s_cmp_lt_i32 s10, 3
	s_cbranch_scc1 .LBB21_707
; %bb.704:
	s_cmp_gt_i32 s10, 3
	s_cbranch_scc0 .LBB21_708
; %bb.705:
	global_load_dwordx2 v[3:4], v[1:2], off
	s_mov_b64 s[0:1], 0
	s_waitcnt vmcnt(0)
	v_xor_b32_e32 v6, v3, v4
	v_ffbh_i32_e32 v5, v4
	v_ashrrev_i32_e32 v6, 31, v6
	v_add_u32_e32 v5, -1, v5
	v_add_u32_e32 v6, 32, v6
	v_min_u32_e32 v5, v5, v6
	v_lshlrev_b64 v[3:4], v5, v[3:4]
	v_min_u32_e32 v3, 1, v3
	v_or_b32_e32 v3, v4, v3
	v_cvt_f32_i32_e32 v3, v3
	v_sub_u32_e32 v4, 32, v5
	v_ldexp_f32 v3, v3, v4
	s_branch .LBB21_709
.LBB21_706:
	s_mov_b64 s[0:1], -1
                                        ; implicit-def: $vgpr3
	s_branch .LBB21_715
.LBB21_707:
	s_mov_b64 s[0:1], -1
                                        ; implicit-def: $vgpr3
	s_branch .LBB21_712
.LBB21_708:
	s_mov_b64 s[0:1], -1
                                        ; implicit-def: $vgpr3
.LBB21_709:
	s_andn2_b64 vcc, exec, s[0:1]
	s_cbranch_vccnz .LBB21_711
; %bb.710:
	global_load_dword v3, v[1:2], off
	s_waitcnt vmcnt(0)
	v_cvt_f32_i32_e32 v3, v3
.LBB21_711:
	s_mov_b64 s[0:1], 0
.LBB21_712:
	s_andn2_b64 vcc, exec, s[0:1]
	s_cbranch_vccnz .LBB21_714
; %bb.713:
	global_load_sshort v3, v[1:2], off
	s_waitcnt vmcnt(0)
	v_cvt_f32_i32_e32 v3, v3
.LBB21_714:
	s_mov_b64 s[0:1], 0
.LBB21_715:
	s_andn2_b64 vcc, exec, s[0:1]
	s_cbranch_vccnz .LBB21_721
; %bb.716:
	s_cmp_gt_i32 s10, 0
	s_cbranch_scc0 .LBB21_718
; %bb.717:
	global_load_sbyte v3, v[1:2], off
	s_mov_b64 s[0:1], 0
	s_waitcnt vmcnt(0)
	v_cvt_f32_i32_e32 v3, v3
	s_branch .LBB21_719
.LBB21_718:
	s_mov_b64 s[0:1], -1
                                        ; implicit-def: $vgpr3
.LBB21_719:
	s_andn2_b64 vcc, exec, s[0:1]
	s_cbranch_vccnz .LBB21_721
; %bb.720:
	global_load_ubyte v1, v[1:2], off
	s_waitcnt vmcnt(0)
	v_cvt_f32_ubyte0_e32 v3, v1
.LBB21_721:
	s_mov_b64 s[0:1], -1
.LBB21_722:
	s_andn2_b64 vcc, exec, s[0:1]
	s_cbranch_vccnz .LBB21_732
; %bb.723:
	s_waitcnt vmcnt(0)
	v_cmp_gt_f32_e32 vcc, 0, v3
	v_cndmask_b32_e64 v2, v3, -v3, vcc
	s_mov_b32 s0, 0x40a00000
	v_cmp_ge_f32_e32 vcc, s0, v2
                                        ; implicit-def: $vgpr1
	s_and_saveexec_b64 s[0:1], vcc
	s_xor_b64 s[0:1], exec, s[0:1]
	s_cbranch_execz .LBB21_729
; %bb.724:
	s_mov_b32 s2, 0x3727c5ac
	v_cmp_ngt_f32_e32 vcc, s2, v2
	v_mul_f32_e32 v2, v2, v2
                                        ; implicit-def: $vgpr1
	s_and_saveexec_b64 s[2:3], vcc
	s_xor_b64 s[2:3], exec, s[2:3]
	s_cbranch_execz .LBB21_726
; %bb.725:
	v_mov_b32_e32 v1, 0xcf8ee29d
	v_fmac_f32_e32 v1, 0, v2
	v_mov_b32_e32 v3, 0x53e3ba8e
	v_fmac_f32_e32 v3, v2, v1
	;; [unrolled: 2-line block ×12, first 2 shown]
	v_add_f32_e32 v1, 0xc0b90fdc, v2
	v_add_f32_e32 v2, 0xc1f3c525, v2
	v_mul_f32_e32 v1, v1, v2
	v_mul_f32_e32 v1, v1, v3
	v_div_scale_f32 v2, s[6:7], v4, v4, v1
	v_div_scale_f32 v3, vcc, v1, v4, v1
	v_rcp_f32_e32 v5, v2
	v_fma_f32 v6, -v2, v5, 1.0
	v_fmac_f32_e32 v5, v6, v5
	v_mul_f32_e32 v6, v3, v5
	v_fma_f32 v7, -v2, v6, v3
	v_fmac_f32_e32 v6, v7, v5
	v_fma_f32 v2, -v2, v6, v3
	v_div_fmas_f32 v2, v2, v5, v6
	v_div_fixup_f32 v1, v2, v4, v1
                                        ; implicit-def: $vgpr2
.LBB21_726:
	s_andn2_saveexec_b64 s[2:3], s[2:3]
; %bb.727:
	s_mov_b32 s6, 0xbe800000
	v_fma_f32 v1, v2, s6, 1.0
; %bb.728:
	s_or_b64 exec, exec, s[2:3]
                                        ; implicit-def: $vgpr2
.LBB21_729:
	s_andn2_saveexec_b64 s[10:11], s[0:1]
	s_cbranch_execz .LBB21_740
; %bb.730:
	v_add_f32_e32 v1, 0xbf490fdb, v2
	s_brev_b32 s0, 18
	v_and_b32_e32 v3, 0x7fffffff, v1
	v_cmp_nlt_f32_e64 s[12:13], |v1|, s0
                                        ; implicit-def: $vgpr4
                                        ; implicit-def: $vgpr5
	s_and_saveexec_b64 s[0:1], s[12:13]
	s_xor_b64 s[14:15], exec, s[0:1]
	s_cbranch_execz .LBB21_733
; %bb.731:
	v_and_b32_e32 v4, 0x7fffff, v3
	v_or_b32_e32 v7, 0x800000, v4
	s_mov_b32 s0, 0xfe5163ab
	v_mad_u64_u32 v[4:5], s[0:1], v7, s0, 0
	v_mov_b32_e32 v6, 0
	s_mov_b32 s0, 0x3c439041
	v_mad_u64_u32 v[9:10], s[0:1], v7, s0, v[5:6]
	s_mov_b32 s0, 0xdb629599
	v_not_b32_e32 v14, 63
	v_mov_b32_e32 v5, v10
	v_mad_u64_u32 v[10:11], s[0:1], v7, s0, v[5:6]
	s_mov_b32 s0, 0xf534ddc0
	v_not_b32_e32 v16, 31
	v_mov_b32_e32 v5, v11
	v_mad_u64_u32 v[11:12], s[0:1], v7, s0, v[5:6]
	v_lshrrev_b32_e32 v5, 23, v3
	v_add_u32_e32 v15, 0xffffff88, v5
	v_mov_b32_e32 v5, v12
	s_mov_b32 s0, 0xfc2757d1
	v_mad_u64_u32 v[12:13], s[0:1], v7, s0, v[5:6]
	v_cmp_lt_u32_e32 vcc, 63, v15
	v_cndmask_b32_e32 v5, 0, v14, vcc
	v_add_u32_e32 v15, v5, v15
	v_mov_b32_e32 v5, v13
	s_mov_b32 s0, 0x4e441529
	v_mad_u64_u32 v[13:14], s[0:1], v7, s0, v[5:6]
	v_cmp_lt_u32_e64 s[0:1], 31, v15
	v_cndmask_b32_e64 v5, 0, v16, s[0:1]
	v_add_u32_e32 v15, v5, v15
	v_mov_b32_e32 v5, v14
	s_mov_b32 s2, 0xa2f9836e
	v_mad_u64_u32 v[5:6], s[2:3], v7, s2, v[5:6]
	v_cmp_lt_u32_e64 s[2:3], 31, v15
	v_cndmask_b32_e64 v7, 0, v16, s[2:3]
	v_cndmask_b32_e32 v14, v13, v11, vcc
	v_cndmask_b32_e32 v5, v5, v12, vcc
	;; [unrolled: 1-line block ×3, first 2 shown]
	v_add_u32_e32 v7, v7, v15
	v_cndmask_b32_e64 v15, v5, v14, s[0:1]
	v_cndmask_b32_e64 v5, v6, v5, s[0:1]
	v_cndmask_b32_e32 v6, v12, v10, vcc
	v_cndmask_b32_e64 v12, v14, v6, s[0:1]
	v_cndmask_b32_e64 v5, v5, v15, s[2:3]
	;; [unrolled: 1-line block ×3, first 2 shown]
	v_sub_u32_e32 v14, 32, v7
	v_alignbit_b32 v15, v5, v13, v14
	v_cmp_eq_u32_e64 s[6:7], 0, v7
	v_cndmask_b32_e64 v7, v15, v5, s[6:7]
	v_cndmask_b32_e32 v5, v11, v9, vcc
	v_cndmask_b32_e64 v6, v6, v5, s[0:1]
	v_cndmask_b32_e64 v9, v12, v6, s[2:3]
	v_alignbit_b32 v11, v13, v9, v14
	v_cndmask_b32_e32 v4, v10, v4, vcc
	v_cndmask_b32_e64 v11, v11, v13, s[6:7]
	v_bfe_u32 v15, v7, 29, 1
	v_cndmask_b32_e64 v4, v5, v4, s[0:1]
	v_alignbit_b32 v12, v7, v11, 30
	v_sub_u32_e32 v16, 0, v15
	v_cndmask_b32_e64 v4, v6, v4, s[2:3]
	v_xor_b32_e32 v12, v12, v16
	v_alignbit_b32 v5, v9, v4, v14
	v_cndmask_b32_e64 v5, v5, v9, s[6:7]
	v_ffbh_u32_e32 v9, v12
	v_alignbit_b32 v6, v11, v5, 30
	v_min_u32_e32 v9, 32, v9
	v_alignbit_b32 v4, v5, v4, 30
	v_xor_b32_e32 v6, v6, v16
	v_sub_u32_e32 v10, 31, v9
	v_xor_b32_e32 v4, v4, v16
	v_alignbit_b32 v11, v12, v6, v10
	v_alignbit_b32 v4, v6, v4, v10
	;; [unrolled: 1-line block ×3, first 2 shown]
	v_ffbh_u32_e32 v6, v5
	v_min_u32_e32 v6, 32, v6
	v_lshrrev_b32_e32 v13, 29, v7
	v_not_b32_e32 v10, v6
	v_alignbit_b32 v4, v5, v4, v10
	v_lshlrev_b32_e32 v5, 31, v13
	v_or_b32_e32 v10, 0x33000000, v5
	v_add_lshl_u32 v6, v6, v9, 23
	v_lshrrev_b32_e32 v4, 9, v4
	v_sub_u32_e32 v6, v10, v6
	v_or_b32_e32 v5, 0.5, v5
	v_lshlrev_b32_e32 v9, 23, v9
	v_or_b32_e32 v4, v6, v4
	v_lshrrev_b32_e32 v6, 9, v11
	v_sub_u32_e32 v5, v5, v9
	v_or_b32_e32 v5, v6, v5
	s_mov_b32 s0, 0x3fc90fda
	v_mul_f32_e32 v6, 0x3fc90fda, v5
	v_fma_f32 v9, v5, s0, -v6
	v_fmac_f32_e32 v9, 0x33a22168, v5
	v_fmac_f32_e32 v9, 0x3fc90fda, v4
	v_lshrrev_b32_e32 v4, 30, v7
	v_add_f32_e32 v5, v6, v9
	v_add_u32_e32 v4, v15, v4
	s_andn2_saveexec_b64 s[0:1], s[14:15]
	s_cbranch_execz .LBB21_735
	s_branch .LBB21_734
.LBB21_732:
	s_mov_b64 s[2:3], 0
	s_mov_b64 s[0:1], s[62:63]
	s_branch .LBB21_863
.LBB21_733:
	s_andn2_saveexec_b64 s[0:1], s[14:15]
	s_cbranch_execz .LBB21_735
.LBB21_734:
	s_mov_b32 s2, 0x3f22f983
	v_mul_f32_e64 v4, |v1|, s2
	v_rndne_f32_e32 v6, v4
	s_mov_b32 s2, 0xbfc90fda
	v_cvt_i32_f32_e32 v4, v6
	v_fma_f32 v5, v6, s2, |v1|
	v_fmac_f32_e32 v5, 0xb3a22168, v6
	v_fmac_f32_e32 v5, 0xa7c234c4, v6
.LBB21_735:
	s_or_b64 exec, exec, s[0:1]
                                        ; implicit-def: $vgpr6
                                        ; implicit-def: $vgpr7
	s_and_saveexec_b64 s[0:1], s[12:13]
	s_xor_b64 s[12:13], exec, s[0:1]
	s_cbranch_execz .LBB21_737
; %bb.736:
	v_and_b32_e32 v6, 0x7fffff, v3
	v_or_b32_e32 v17, 0x800000, v6
	s_mov_b32 s0, 0xfe5163ab
	v_mad_u64_u32 v[6:7], s[0:1], v17, s0, 0
	v_mov_b32_e32 v10, 0
	s_mov_b32 s0, 0x3c439041
	v_mov_b32_e32 v9, v7
	v_mad_u64_u32 v[11:12], s[0:1], v17, s0, v[9:10]
	s_mov_b32 s0, 0xdb629599
	v_lshrrev_b32_e32 v7, 23, v3
	v_mov_b32_e32 v9, v12
	v_mad_u64_u32 v[12:13], s[0:1], v17, s0, v[9:10]
	s_mov_b32 s0, 0xf534ddc0
	v_add_u32_e32 v7, 0xffffff88, v7
	v_mov_b32_e32 v9, v13
	v_mad_u64_u32 v[13:14], s[0:1], v17, s0, v[9:10]
	s_mov_b32 s0, 0xfc2757d1
	v_not_b32_e32 v16, 63
	v_mov_b32_e32 v9, v14
	v_mad_u64_u32 v[14:15], s[0:1], v17, s0, v[9:10]
	v_cmp_lt_u32_e32 vcc, 63, v7
	v_cndmask_b32_e32 v9, 0, v16, vcc
	v_add_u32_e32 v7, v9, v7
	v_mov_b32_e32 v9, v15
	s_mov_b32 s0, 0x4e441529
	v_mad_u64_u32 v[15:16], s[0:1], v17, s0, v[9:10]
	v_not_b32_e32 v18, 31
	v_cmp_lt_u32_e64 s[0:1], 31, v7
	v_cndmask_b32_e64 v9, 0, v18, s[0:1]
	v_add_u32_e32 v7, v9, v7
	v_mov_b32_e32 v9, v16
	s_mov_b32 s2, 0xa2f9836e
	v_mad_u64_u32 v[9:10], s[2:3], v17, s2, v[9:10]
	v_cmp_lt_u32_e64 s[2:3], 31, v7
	v_cndmask_b32_e64 v16, 0, v18, s[2:3]
	v_add_u32_e32 v7, v16, v7
	v_cndmask_b32_e32 v16, v15, v13, vcc
	v_cndmask_b32_e32 v9, v9, v14, vcc
	;; [unrolled: 1-line block ×3, first 2 shown]
	v_cndmask_b32_e64 v17, v9, v16, s[0:1]
	v_cndmask_b32_e64 v9, v10, v9, s[0:1]
	v_cndmask_b32_e32 v10, v14, v12, vcc
	v_cndmask_b32_e64 v14, v16, v10, s[0:1]
	v_sub_u32_e32 v16, 32, v7
	v_cmp_eq_u32_e64 s[6:7], 0, v7
	v_cndmask_b32_e32 v7, v13, v11, vcc
	v_cndmask_b32_e64 v9, v9, v17, s[2:3]
	v_cndmask_b32_e64 v15, v17, v14, s[2:3]
	;; [unrolled: 1-line block ×3, first 2 shown]
	v_alignbit_b32 v17, v9, v15, v16
	v_cndmask_b32_e64 v11, v14, v10, s[2:3]
	v_cndmask_b32_e64 v9, v17, v9, s[6:7]
	v_alignbit_b32 v13, v15, v11, v16
	v_cndmask_b32_e32 v6, v12, v6, vcc
	v_cndmask_b32_e64 v13, v13, v15, s[6:7]
	v_bfe_u32 v17, v9, 29, 1
	v_cndmask_b32_e64 v6, v7, v6, s[0:1]
	v_alignbit_b32 v14, v9, v13, 30
	v_sub_u32_e32 v18, 0, v17
	v_cndmask_b32_e64 v6, v10, v6, s[2:3]
	v_xor_b32_e32 v14, v14, v18
	v_alignbit_b32 v7, v11, v6, v16
	v_cndmask_b32_e64 v7, v7, v11, s[6:7]
	v_ffbh_u32_e32 v11, v14
	v_alignbit_b32 v10, v13, v7, 30
	v_min_u32_e32 v11, 32, v11
	v_alignbit_b32 v6, v7, v6, 30
	v_xor_b32_e32 v10, v10, v18
	v_sub_u32_e32 v12, 31, v11
	v_xor_b32_e32 v6, v6, v18
	v_alignbit_b32 v13, v14, v10, v12
	v_alignbit_b32 v6, v10, v6, v12
	;; [unrolled: 1-line block ×3, first 2 shown]
	v_ffbh_u32_e32 v10, v7
	v_min_u32_e32 v10, 32, v10
	v_lshrrev_b32_e32 v15, 29, v9
	v_not_b32_e32 v12, v10
	v_alignbit_b32 v6, v7, v6, v12
	v_lshlrev_b32_e32 v7, 31, v15
	v_or_b32_e32 v12, 0x33000000, v7
	v_add_lshl_u32 v10, v10, v11, 23
	v_lshrrev_b32_e32 v6, 9, v6
	v_sub_u32_e32 v10, v12, v10
	v_or_b32_e32 v7, 0.5, v7
	v_lshlrev_b32_e32 v11, 23, v11
	v_or_b32_e32 v6, v10, v6
	v_lshrrev_b32_e32 v10, 9, v13
	v_sub_u32_e32 v7, v7, v11
	v_or_b32_e32 v7, v10, v7
	s_mov_b32 s0, 0x3fc90fda
	v_mul_f32_e32 v10, 0x3fc90fda, v7
	v_fma_f32 v11, v7, s0, -v10
	v_fmac_f32_e32 v11, 0x33a22168, v7
	v_fmac_f32_e32 v11, 0x3fc90fda, v6
	v_lshrrev_b32_e32 v6, 30, v9
	v_add_f32_e32 v7, v10, v11
	v_add_u32_e32 v6, v17, v6
	s_andn2_saveexec_b64 s[0:1], s[12:13]
	s_cbranch_execnz .LBB21_738
	s_branch .LBB21_739
.LBB21_737:
	s_andn2_saveexec_b64 s[0:1], s[12:13]
	s_cbranch_execz .LBB21_739
.LBB21_738:
	s_mov_b32 s2, 0x3f22f983
	v_mul_f32_e64 v6, |v1|, s2
	v_rndne_f32_e32 v9, v6
	s_mov_b32 s2, 0xbfc90fda
	v_cvt_i32_f32_e32 v6, v9
	v_fma_f32 v7, v9, s2, |v1|
	v_fmac_f32_e32 v7, 0xb3a22168, v9
	v_fmac_f32_e32 v7, 0xa7c234c4, v9
.LBB21_739:
	s_or_b64 exec, exec, s[0:1]
	v_mul_f32_e32 v9, v2, v2
	s_mov_b32 s2, 0x41c80000
	v_div_scale_f32 v10, s[0:1], v9, v9, s2
	v_div_scale_f32 v11, vcc, s2, v9, s2
	v_mov_b32_e32 v13, 0x3a50e985
	v_mov_b32_e32 v14, 0x3da9a586
	v_mov_b32_e32 v18, 0x3daf5e2d
	v_mov_b32_e32 v15, 0x3f9ea90a
	v_mov_b32_e32 v19, 0x3fa07396
	v_mov_b32_e32 v20, 0x40af123f
	v_mov_b32_e32 v21, 0x410c30c7
	v_mov_b32_e32 v22, 0x40a9cb2f
	v_mov_b32_e32 v23, 0xbc3a3a12
	v_mov_b32_e32 v24, 0xbfa429da
	v_mov_b32_e32 v25, 0xc19c6e80
	v_mov_b32_e32 v26, 0xc2ba697b
	v_rcp_f32_e32 v12, v10
	v_mov_b32_e32 v27, 0xc331ae61
	v_mov_b32_e32 v28, 0xc31313d7
	v_mul_f32_e32 v29, v5, v5
	v_fma_f32 v16, -v10, v12, 1.0
	v_fmac_f32_e32 v12, v16, v12
	v_mul_f32_e32 v16, v11, v12
	v_fma_f32 v17, -v10, v16, v11
	v_fmac_f32_e32 v16, v17, v12
	v_fma_f32 v10, -v10, v16, v11
	v_div_fmas_f32 v10, v10, v12, v16
	v_mov_b32_e32 v17, 0x3a725406
	v_mov_b32_e32 v11, 0x40ae4fdf
	;; [unrolled: 1-line block ×5, first 2 shown]
	v_fmac_f32_e32 v31, 0xb94c1982, v29
	v_mov_b32_e32 v30, 0x3c0881c4
	v_div_fixup_f32 v10, v10, v9, s2
	v_fmac_f32_e32 v13, 0, v10
	v_fmac_f32_e32 v17, 0, v10
	;; [unrolled: 1-line block ×12, first 2 shown]
	v_fma_f32 v11, v10, v22, 1.0
	v_fma_f32 v12, v10, v16, 1.0
	v_div_scale_f32 v13, s[0:1], v11, v11, v12
	v_div_scale_f32 v17, vcc, v12, v11, v12
	v_mov_b32_e32 v15, 0x4280a2ba
	s_mov_b32 s2, 0xc0a00000
	v_fmac_f32_e32 v23, 0, v10
	v_mov_b32_e32 v16, 0x44561b86
	v_div_scale_f32 v33, s[0:1], v2, v2, s2
	v_fmac_f32_e32 v15, 0, v10
	v_fmac_f32_e32 v24, v10, v23
	v_mov_b32_e32 v18, 0x4572a66e
	v_fmac_f32_e32 v16, v10, v15
	v_fmac_f32_e32 v25, v10, v24
	v_mov_b32_e32 v19, 0x45e243be
	v_rcp_f32_e32 v32, v13
	v_fmac_f32_e32 v18, v10, v16
	v_fmac_f32_e32 v26, v10, v25
	v_mov_b32_e32 v20, 0x45b955d1
	v_fma_f32 v34, -v13, v32, 1.0
	v_fmac_f32_e32 v32, v34, v32
	v_mul_f32_e32 v34, v17, v32
	v_fma_f32 v35, -v13, v34, v17
	v_fmac_f32_e32 v34, v35, v32
	v_fma_f32 v13, -v13, v34, v17
	v_div_fmas_f32 v13, v13, v32, v34
	v_fmac_f32_e32 v19, v10, v18
	v_fmac_f32_e32 v27, v10, v26
	v_mov_b32_e32 v14, 0xc24da463
	v_mov_b32_e32 v21, 0x4500e17e
	v_fmac_f32_e32 v20, v10, v19
	v_fmac_f32_e32 v28, v10, v27
	v_mov_b32_e32 v9, 0xc0c19ac7
	v_mov_b32_e32 v22, 0x43720178
	v_fmac_f32_e32 v21, v10, v20
	v_fmac_f32_e32 v14, v10, v28
	;; [unrolled: 1-line block ×4, first 2 shown]
	v_rcp_f32_e32 v16, v33
	v_mov_b32_e32 v17, 0xbab64f3b
	v_fmac_f32_e32 v17, 0x37d75334, v29
	v_div_fixup_f32 v10, v13, v11, v12
	v_div_scale_f32 v11, vcc, s2, v2, s2
	v_div_scale_f32 v13, s[0:1], v22, v22, v9
	v_div_scale_f32 v15, s[0:1], v9, v22, v9
	v_fma_f32 v19, -v33, v16, 1.0
	v_fmac_f32_e32 v16, v19, v16
	v_mov_b32_e32 v12, 0xbe2aaa9d
	v_fma_f32 v14, v29, v31, v12
	v_mul_f32_e32 v14, v29, v14
	v_fmac_f32_e32 v5, v5, v14
	v_mov_b32_e32 v14, 0xbab64f3b
	v_mov_b32_e32 v18, 0x3d2aabf7
	v_mul_f32_e32 v19, v11, v16
	v_fma_f32 v20, -v33, v19, v11
	v_fmac_f32_e32 v19, v20, v16
	v_rcp_f32_e32 v20, v13
	v_fma_f32 v11, -v33, v19, v11
	v_div_fmas_f32 v11, v11, v16, v19
	s_mov_b64 vcc, s[0:1]
	v_fma_f32 v16, -v13, v20, 1.0
	v_fmac_f32_e32 v20, v16, v20
	v_mul_f32_e32 v16, v15, v20
	v_fma_f32 v19, -v13, v16, v15
	v_fmac_f32_e32 v16, v19, v20
	v_fma_f32 v13, -v13, v16, v15
	v_div_fmas_f32 v13, v13, v20, v16
	v_fma_f32 v15, v29, v17, v18
	v_mov_b32_e32 v16, 0xbf000004
	v_fma_f32 v15, v29, v15, v16
	v_and_b32_e32 v17, 1, v4
	v_fma_f32 v15, v29, v15, 1.0
	v_cmp_eq_u32_e32 vcc, 0, v17
	s_movk_i32 s0, 0x1f8
	v_div_fixup_f32 v11, v11, v2, s2
	v_cndmask_b32_e64 v5, -v5, v15, vcc
	v_lshlrev_b32_e32 v4, 30, v4
	v_cmp_class_f32_e64 vcc, v1, s0
	v_xor_b32_e32 v1, v3, v1
	v_and_b32_e32 v4, 0x80000000, v4
	v_xor_b32_e32 v4, v4, v5
	v_mov_b32_e32 v5, 0x7fc00000
	v_div_fixup_f32 v9, v13, v22, v9
	v_mul_f32_e32 v9, v11, v9
	v_mul_f32_e32 v11, v7, v7
	v_fmac_f32_e32 v30, 0xb94c1982, v11
	v_fmac_f32_e32 v12, v11, v30
	;; [unrolled: 1-line block ×3, first 2 shown]
	v_mul_f32_e32 v12, v11, v12
	v_fmac_f32_e32 v18, v11, v14
	v_fmac_f32_e32 v7, v7, v12
	;; [unrolled: 1-line block ×3, first 2 shown]
	v_and_b32_e32 v12, 1, v6
	v_lshlrev_b32_e32 v6, 30, v6
	v_fma_f32 v11, v11, v16, 1.0
	v_cmp_eq_u32_e64 s[0:1], 0, v12
	v_and_b32_e32 v6, 0x80000000, v6
	v_cndmask_b32_e64 v7, v11, v7, s[0:1]
	v_xor_b32_e32 v1, v1, v6
	v_xor_b32_e32 v1, v1, v7
	s_mov_b32 s0, 0xf800000
	v_cndmask_b32_e32 v4, v5, v4, vcc
	v_cndmask_b32_e32 v1, v5, v1, vcc
	v_mul_f32_e32 v3, 0x4f800000, v2
	v_cmp_gt_f32_e32 vcc, s0, v2
	v_cndmask_b32_e32 v2, v2, v3, vcc
	v_sqrt_f32_e32 v3, v2
	v_mul_f32_e32 v1, v9, v1
	v_fmac_f32_e32 v1, v10, v4
	v_mul_f32_e32 v1, 0x3f4c422a, v1
	v_add_u32_e32 v4, -1, v3
	v_fma_f32 v5, -v4, v3, v2
	v_cmp_ge_f32_e64 s[0:1], 0, v5
	v_add_u32_e32 v5, 1, v3
	v_cndmask_b32_e64 v4, v3, v4, s[0:1]
	v_fma_f32 v3, -v5, v3, v2
	v_cmp_lt_f32_e64 s[0:1], 0, v3
	v_cndmask_b32_e64 v3, v4, v5, s[0:1]
	v_mul_f32_e32 v4, 0x37800000, v3
	v_cndmask_b32_e32 v3, v3, v4, vcc
	v_mov_b32_e32 v4, 0x260
	v_cmp_class_f32_e32 vcc, v2, v4
	v_cndmask_b32_e32 v2, v3, v2, vcc
	v_div_scale_f32 v3, s[0:1], v2, v2, v1
	v_div_scale_f32 v4, vcc, v1, v2, v1
	v_rcp_f32_e32 v5, v3
	v_fma_f32 v6, -v3, v5, 1.0
	v_fmac_f32_e32 v5, v6, v5
	v_mul_f32_e32 v6, v4, v5
	v_fma_f32 v7, -v3, v6, v4
	v_fmac_f32_e32 v6, v7, v5
	v_fma_f32 v3, -v3, v6, v4
	v_div_fmas_f32 v3, v3, v5, v6
	v_div_fixup_f32 v1, v3, v2, v1
.LBB21_740:
	s_or_b64 exec, exec, s[10:11]
	v_mov_b32_e32 v2, s25
	s_and_b32 s12, s73, 0xff
	v_add_co_u32_e32 v3, vcc, s24, v0
	s_cmp_lt_i32 s12, 11
	v_addc_co_u32_e32 v4, vcc, 0, v2, vcc
	s_cbranch_scc1 .LBB21_747
; %bb.741:
	s_and_b32 s13, 0xffff, s12
	s_cmp_gt_i32 s13, 25
	s_cbranch_scc0 .LBB21_748
; %bb.742:
	s_cmp_gt_i32 s13, 28
	s_cbranch_scc0 .LBB21_749
; %bb.743:
	s_cmp_gt_i32 s13, 43
	s_cbranch_scc0 .LBB21_750
; %bb.744:
	s_cmp_gt_i32 s13, 45
	s_cbranch_scc0 .LBB21_751
; %bb.745:
	s_mov_b64 s[6:7], 0
	s_mov_b64 s[0:1], -1
	s_cmp_eq_u32 s13, 46
	s_mov_b64 s[2:3], 0
	s_cbranch_scc0 .LBB21_752
; %bb.746:
	v_bfe_u32 v0, v1, 16, 1
	s_movk_i32 s0, 0x7fff
	v_add3_u32 v0, v1, v0, s0
	v_cmp_o_f32_e32 vcc, v1, v1
	v_mov_b32_e32 v2, 0x7fc0
	v_cndmask_b32_sdwa v0, v2, v0, vcc dst_sel:DWORD dst_unused:UNUSED_PAD src0_sel:DWORD src1_sel:WORD_1
	global_store_dword v[3:4], v0, off
	s_mov_b64 s[2:3], -1
	s_mov_b64 s[0:1], 0
	s_branch .LBB21_752
.LBB21_747:
	s_mov_b64 s[6:7], -1
	s_mov_b64 s[2:3], 0
	s_mov_b64 s[0:1], s[62:63]
	s_branch .LBB21_821
.LBB21_748:
	s_mov_b64 s[6:7], -1
	s_mov_b64 s[2:3], 0
	s_mov_b64 s[0:1], s[62:63]
	s_branch .LBB21_779
.LBB21_749:
	s_mov_b64 s[6:7], -1
	s_mov_b64 s[2:3], 0
	s_mov_b64 s[0:1], s[62:63]
	s_branch .LBB21_762
.LBB21_750:
	s_mov_b64 s[6:7], -1
	s_mov_b64 s[2:3], 0
	s_mov_b64 s[0:1], s[62:63]
	s_branch .LBB21_758
.LBB21_751:
	s_mov_b64 s[6:7], -1
	s_mov_b64 s[2:3], 0
	s_mov_b64 s[0:1], s[62:63]
.LBB21_752:
	s_and_b64 vcc, exec, s[6:7]
	s_cbranch_vccz .LBB21_757
; %bb.753:
	s_cmp_eq_u32 s13, 44
	s_mov_b64 s[0:1], -1
	s_cbranch_scc0 .LBB21_757
; %bb.754:
	v_bfe_u32 v0, v1, 23, 8
	s_movk_i32 s0, 0xff
	v_cmp_ne_u32_e32 vcc, s0, v0
	v_mov_b32_e32 v2, 0xff
	s_and_saveexec_b64 s[2:3], vcc
; %bb.755:
	s_mov_b32 s0, 0x3fffff
	v_and_b32_e32 v5, 0x400000, v1
	v_and_or_b32 v0, v1, s0, v0
	v_cmp_ne_u32_e32 vcc, 0, v5
	v_cmp_ne_u32_e64 s[0:1], 0, v0
	s_and_b64 s[0:1], vcc, s[0:1]
	v_lshrrev_b32_e32 v2, 23, v1
	v_cndmask_b32_e64 v0, 0, 1, s[0:1]
	v_add_u32_e32 v2, v2, v0
; %bb.756:
	s_or_b64 exec, exec, s[2:3]
	s_mov_b64 s[2:3], -1
	s_mov_b64 s[0:1], 0
	global_store_byte v[3:4], v2, off
.LBB21_757:
	s_mov_b64 s[6:7], 0
.LBB21_758:
	s_and_b64 vcc, exec, s[6:7]
	s_cbranch_vccz .LBB21_761
; %bb.759:
	s_cmp_eq_u32 s13, 29
	s_mov_b64 s[0:1], -1
	s_cbranch_scc0 .LBB21_761
; %bb.760:
	v_trunc_f32_e32 v0, v1
	v_mul_f32_e32 v2, 0x2f800000, v0
	v_floor_f32_e32 v2, v2
	v_fmac_f32_e32 v0, 0xcf800000, v2
	v_cvt_u32_f32_e32 v6, v2
	v_cvt_u32_f32_e32 v5, v0
	s_mov_b64 s[2:3], -1
	s_mov_b64 s[0:1], 0
	s_mov_b64 s[6:7], 0
	global_store_dwordx2 v[3:4], v[5:6], off
	s_branch .LBB21_762
.LBB21_761:
	s_mov_b64 s[6:7], 0
.LBB21_762:
	s_and_b64 vcc, exec, s[6:7]
	s_cbranch_vccz .LBB21_778
; %bb.763:
	s_cmp_lt_i32 s13, 27
	s_mov_b64 s[2:3], -1
	s_cbranch_scc1 .LBB21_769
; %bb.764:
	v_cvt_u32_f32_e32 v0, v1
	s_cmp_gt_i32 s13, 27
	s_cbranch_scc0 .LBB21_766
; %bb.765:
	s_mov_b64 s[2:3], 0
	global_store_dword v[3:4], v0, off
.LBB21_766:
	s_andn2_b64 vcc, exec, s[2:3]
	s_cbranch_vccnz .LBB21_768
; %bb.767:
	global_store_short v[3:4], v0, off
.LBB21_768:
	s_mov_b64 s[2:3], 0
.LBB21_769:
	s_andn2_b64 vcc, exec, s[2:3]
	s_cbranch_vccnz .LBB21_777
; %bb.770:
	v_and_b32_e32 v0, 0x7fffffff, v1
	s_mov_b32 s2, 0x43800000
	v_cmp_gt_u32_e32 vcc, s2, v0
	v_mov_b32_e32 v2, 0x80
	s_and_saveexec_b64 s[2:3], vcc
	s_cbranch_execz .LBB21_776
; %bb.771:
	s_mov_b32 s6, 0x3bffffff
	v_cmp_lt_u32_e32 vcc, s6, v0
	s_mov_b64 s[6:7], 0
                                        ; implicit-def: $vgpr0
	s_and_saveexec_b64 s[10:11], vcc
	s_xor_b64 s[10:11], exec, s[10:11]
	s_cbranch_execz .LBB21_893
; %bb.772:
	v_bfe_u32 v0, v1, 20, 1
	s_mov_b32 s14, 0x487ffff
	v_add3_u32 v0, v1, v0, s14
	s_mov_b64 s[6:7], exec
	v_lshrrev_b32_e32 v0, 20, v0
	s_andn2_saveexec_b64 s[10:11], s[10:11]
	s_cbranch_execnz .LBB21_894
.LBB21_773:
	s_or_b64 exec, exec, s[10:11]
	v_mov_b32_e32 v2, 0
	s_and_saveexec_b64 s[10:11], s[6:7]
.LBB21_774:
	v_lshrrev_b32_e32 v2, 24, v1
	s_movk_i32 s6, 0x80
	v_and_or_b32 v2, v2, s6, v0
.LBB21_775:
	s_or_b64 exec, exec, s[10:11]
.LBB21_776:
	s_or_b64 exec, exec, s[2:3]
	global_store_byte v[3:4], v2, off
.LBB21_777:
	s_mov_b64 s[2:3], -1
.LBB21_778:
	s_mov_b64 s[6:7], 0
.LBB21_779:
	s_and_b64 vcc, exec, s[6:7]
	s_cbranch_vccz .LBB21_820
; %bb.780:
	s_cmp_gt_i32 s13, 22
	s_mov_b64 s[6:7], -1
	s_cbranch_scc0 .LBB21_812
; %bb.781:
	s_cmp_lt_i32 s13, 24
	s_mov_b64 s[2:3], -1
	s_cbranch_scc1 .LBB21_801
; %bb.782:
	s_cmp_gt_i32 s13, 24
	s_cbranch_scc0 .LBB21_790
; %bb.783:
	v_and_b32_e32 v0, 0x7fffffff, v1
	s_mov_b32 s2, 0x47800000
	v_cmp_gt_u32_e32 vcc, s2, v0
	v_mov_b32_e32 v2, 0x80
	s_and_saveexec_b64 s[2:3], vcc
	s_cbranch_execz .LBB21_789
; %bb.784:
	s_mov_b32 s6, 0x37ffffff
	v_cmp_lt_u32_e32 vcc, s6, v0
	s_mov_b64 s[6:7], 0
                                        ; implicit-def: $vgpr0
	s_and_saveexec_b64 s[10:11], vcc
	s_xor_b64 s[10:11], exec, s[10:11]
	s_cbranch_execz .LBB21_896
; %bb.785:
	v_bfe_u32 v0, v1, 21, 1
	s_mov_b32 s14, 0x88fffff
	v_add3_u32 v0, v1, v0, s14
	s_mov_b64 s[6:7], exec
	v_lshrrev_b32_e32 v0, 21, v0
	s_andn2_saveexec_b64 s[10:11], s[10:11]
	s_cbranch_execnz .LBB21_897
.LBB21_786:
	s_or_b64 exec, exec, s[10:11]
	v_mov_b32_e32 v2, 0
	s_and_saveexec_b64 s[10:11], s[6:7]
.LBB21_787:
	v_lshrrev_b32_e32 v2, 24, v1
	s_movk_i32 s6, 0x80
	v_and_or_b32 v2, v2, s6, v0
.LBB21_788:
	s_or_b64 exec, exec, s[10:11]
.LBB21_789:
	s_or_b64 exec, exec, s[2:3]
	s_mov_b64 s[2:3], 0
	global_store_byte v[3:4], v2, off
.LBB21_790:
	s_and_b64 vcc, exec, s[2:3]
	s_cbranch_vccz .LBB21_800
; %bb.791:
	v_and_b32_e32 v2, 0x7fffffff, v1
	s_mov_b32 s2, 0x43f00000
	v_cmp_gt_u32_e32 vcc, s2, v2
                                        ; implicit-def: $vgpr0
	s_and_saveexec_b64 s[2:3], vcc
	s_xor_b64 s[2:3], exec, s[2:3]
	s_cbranch_execz .LBB21_797
; %bb.792:
	s_mov_b32 s6, 0x3c7fffff
	v_cmp_lt_u32_e32 vcc, s6, v2
                                        ; implicit-def: $vgpr0
	s_and_saveexec_b64 s[6:7], vcc
	s_xor_b64 s[6:7], exec, s[6:7]
; %bb.793:
	v_bfe_u32 v0, v1, 20, 1
	s_mov_b32 s10, 0x407ffff
	v_add3_u32 v0, v1, v0, s10
	v_lshrrev_b32_e32 v2, 20, v0
	v_and_b32_e32 v0, 0xff00000, v0
	s_mov_b32 s10, 0x7f00000
	v_mov_b32_e32 v5, 0x7e
	v_cmp_ne_u32_e32 vcc, s10, v0
	v_cndmask_b32_e32 v0, v5, v2, vcc
; %bb.794:
	s_andn2_saveexec_b64 s[6:7], s[6:7]
; %bb.795:
	s_mov_b32 s10, 0x46800000
	v_add_f32_e64 v0, |v1|, s10
; %bb.796:
	s_or_b64 exec, exec, s[6:7]
                                        ; implicit-def: $vgpr2
.LBB21_797:
	s_andn2_saveexec_b64 s[2:3], s[2:3]
; %bb.798:
	s_mov_b32 s6, 0x7f800000
	v_mov_b32_e32 v0, 0x7e
	v_mov_b32_e32 v5, 0x7f
	v_cmp_lt_u32_e32 vcc, s6, v2
	v_cndmask_b32_e32 v0, v0, v5, vcc
; %bb.799:
	s_or_b64 exec, exec, s[2:3]
	v_lshrrev_b32_e32 v2, 24, v1
	s_movk_i32 s2, 0x80
	v_and_or_b32 v0, v2, s2, v0
	global_store_byte v[3:4], v0, off
.LBB21_800:
	s_mov_b64 s[2:3], 0
.LBB21_801:
	s_andn2_b64 vcc, exec, s[2:3]
	s_cbranch_vccnz .LBB21_811
; %bb.802:
	v_and_b32_e32 v2, 0x7fffffff, v1
	s_mov_b32 s2, 0x47800000
	v_cmp_gt_u32_e32 vcc, s2, v2
                                        ; implicit-def: $vgpr0
	s_and_saveexec_b64 s[2:3], vcc
	s_xor_b64 s[2:3], exec, s[2:3]
	s_cbranch_execz .LBB21_808
; %bb.803:
	s_mov_b32 s6, 0x387fffff
	v_cmp_lt_u32_e32 vcc, s6, v2
                                        ; implicit-def: $vgpr0
	s_and_saveexec_b64 s[6:7], vcc
	s_xor_b64 s[6:7], exec, s[6:7]
; %bb.804:
	v_bfe_u32 v0, v1, 21, 1
	s_mov_b32 s10, 0x80fffff
	v_add3_u32 v0, v1, v0, s10
	v_lshrrev_b32_e32 v0, 21, v0
; %bb.805:
	s_andn2_saveexec_b64 s[6:7], s[6:7]
; %bb.806:
	s_mov_b32 s10, 0x43000000
	v_add_f32_e64 v0, |v1|, s10
; %bb.807:
	s_or_b64 exec, exec, s[6:7]
                                        ; implicit-def: $vgpr2
.LBB21_808:
	s_andn2_saveexec_b64 s[2:3], s[2:3]
; %bb.809:
	s_mov_b32 s6, 0x7f800000
	v_mov_b32_e32 v0, 0x7c
	v_mov_b32_e32 v5, 0x7f
	v_cmp_lt_u32_e32 vcc, s6, v2
	v_cndmask_b32_e32 v0, v0, v5, vcc
; %bb.810:
	s_or_b64 exec, exec, s[2:3]
	v_lshrrev_b32_e32 v2, 24, v1
	s_movk_i32 s2, 0x80
	v_and_or_b32 v0, v2, s2, v0
	global_store_byte v[3:4], v0, off
.LBB21_811:
	s_mov_b64 s[6:7], 0
	s_mov_b64 s[2:3], -1
.LBB21_812:
	s_andn2_b64 vcc, exec, s[6:7]
	s_cbranch_vccnz .LBB21_820
; %bb.813:
	s_cmp_gt_i32 s13, 14
	s_mov_b64 s[6:7], -1
	s_cbranch_scc0 .LBB21_817
; %bb.814:
	s_cmp_eq_u32 s13, 15
	s_mov_b64 s[0:1], -1
	s_cbranch_scc0 .LBB21_816
; %bb.815:
	v_bfe_u32 v0, v1, 16, 1
	s_movk_i32 s0, 0x7fff
	v_add3_u32 v0, v1, v0, s0
	v_cmp_o_f32_e32 vcc, v1, v1
	v_mov_b32_e32 v2, 0x7fc0
	v_cndmask_b32_sdwa v0, v2, v0, vcc dst_sel:DWORD dst_unused:UNUSED_PAD src0_sel:DWORD src1_sel:WORD_1
	global_store_short v[3:4], v0, off
	s_mov_b64 s[2:3], -1
	s_mov_b64 s[0:1], 0
.LBB21_816:
	s_mov_b64 s[6:7], 0
.LBB21_817:
	s_and_b64 vcc, exec, s[6:7]
	s_cbranch_vccz .LBB21_820
; %bb.818:
	s_cmp_eq_u32 s13, 11
	s_mov_b64 s[0:1], -1
	s_cbranch_scc0 .LBB21_820
; %bb.819:
	v_cmp_neq_f32_e32 vcc, 0, v1
	v_cndmask_b32_e64 v0, 0, 1, vcc
	s_mov_b64 s[2:3], -1
	s_mov_b64 s[0:1], 0
	global_store_byte v[3:4], v0, off
.LBB21_820:
	s_mov_b64 s[6:7], 0
.LBB21_821:
	s_and_b64 vcc, exec, s[6:7]
	s_cbranch_vccz .LBB21_860
; %bb.822:
	s_and_b32 s6, 0xffff, s12
	s_cmp_lt_i32 s6, 5
	s_mov_b64 s[2:3], -1
	s_cbranch_scc1 .LBB21_843
; %bb.823:
	s_cmp_lt_i32 s6, 8
	s_cbranch_scc1 .LBB21_833
; %bb.824:
	s_cmp_lt_i32 s6, 9
	s_cbranch_scc1 .LBB21_830
; %bb.825:
	s_cmp_gt_i32 s6, 9
	s_cbranch_scc0 .LBB21_827
; %bb.826:
	v_cvt_f64_f32_e32 v[9:10], v1
	v_mov_b32_e32 v11, 0
	v_mov_b32_e32 v12, v11
	s_mov_b64 s[2:3], 0
	global_store_dwordx4 v[3:4], v[9:12], off
.LBB21_827:
	s_andn2_b64 vcc, exec, s[2:3]
	s_cbranch_vccnz .LBB21_829
; %bb.828:
	v_mov_b32_e32 v2, 0
	global_store_dwordx2 v[3:4], v[1:2], off
.LBB21_829:
	s_mov_b64 s[2:3], 0
.LBB21_830:
	s_andn2_b64 vcc, exec, s[2:3]
	s_cbranch_vccnz .LBB21_832
; %bb.831:
	v_cvt_f16_f32_e32 v0, v1
	global_store_dword v[3:4], v0, off
.LBB21_832:
	s_mov_b64 s[2:3], 0
.LBB21_833:
	s_andn2_b64 vcc, exec, s[2:3]
	s_cbranch_vccnz .LBB21_842
; %bb.834:
	s_cmp_lt_i32 s6, 6
	s_mov_b64 s[2:3], -1
	s_cbranch_scc1 .LBB21_840
; %bb.835:
	s_cmp_gt_i32 s6, 6
	s_cbranch_scc0 .LBB21_837
; %bb.836:
	v_cvt_f64_f32_e32 v[5:6], v1
	s_mov_b64 s[2:3], 0
	global_store_dwordx2 v[3:4], v[5:6], off
.LBB21_837:
	s_andn2_b64 vcc, exec, s[2:3]
	s_cbranch_vccnz .LBB21_839
; %bb.838:
	global_store_dword v[3:4], v1, off
.LBB21_839:
	s_mov_b64 s[2:3], 0
.LBB21_840:
	s_andn2_b64 vcc, exec, s[2:3]
	s_cbranch_vccnz .LBB21_842
; %bb.841:
	v_cvt_f16_f32_e32 v0, v1
	global_store_short v[3:4], v0, off
.LBB21_842:
	s_mov_b64 s[2:3], 0
.LBB21_843:
	s_andn2_b64 vcc, exec, s[2:3]
	s_cbranch_vccnz .LBB21_859
; %bb.844:
	s_cmp_lt_i32 s6, 2
	s_mov_b64 s[2:3], -1
	s_cbranch_scc1 .LBB21_854
; %bb.845:
	s_cmp_lt_i32 s6, 3
	s_cbranch_scc1 .LBB21_851
; %bb.846:
	s_cmp_gt_i32 s6, 3
	s_cbranch_scc0 .LBB21_848
; %bb.847:
	v_trunc_f32_e32 v0, v1
	s_mov_b32 s2, 0x2f800000
	v_mul_f32_e64 v2, |v0|, s2
	v_floor_f32_e32 v2, v2
	s_mov_b32 s2, 0xcf800000
	v_cvt_u32_f32_e32 v5, v2
	v_fma_f32 v2, v2, s2, |v0|
	v_cvt_u32_f32_e32 v2, v2
	v_ashrrev_i32_e32 v0, 31, v0
	v_xor_b32_e32 v6, v5, v0
	s_mov_b64 s[2:3], 0
	v_xor_b32_e32 v2, v2, v0
	v_sub_co_u32_e32 v5, vcc, v2, v0
	v_subb_co_u32_e32 v6, vcc, v6, v0, vcc
	global_store_dwordx2 v[3:4], v[5:6], off
.LBB21_848:
	s_andn2_b64 vcc, exec, s[2:3]
	s_cbranch_vccnz .LBB21_850
; %bb.849:
	v_cvt_i32_f32_e32 v0, v1
	global_store_dword v[3:4], v0, off
.LBB21_850:
	s_mov_b64 s[2:3], 0
.LBB21_851:
	s_andn2_b64 vcc, exec, s[2:3]
	s_cbranch_vccnz .LBB21_853
; %bb.852:
	v_cvt_i32_f32_e32 v0, v1
	global_store_short v[3:4], v0, off
.LBB21_853:
	s_mov_b64 s[2:3], 0
.LBB21_854:
	s_andn2_b64 vcc, exec, s[2:3]
	s_cbranch_vccnz .LBB21_859
; %bb.855:
	s_cmp_gt_i32 s6, 0
	s_mov_b64 s[2:3], -1
	s_cbranch_scc0 .LBB21_857
; %bb.856:
	v_cvt_i32_f32_e32 v0, v1
	s_mov_b64 s[2:3], 0
	global_store_byte v[3:4], v0, off
.LBB21_857:
	s_andn2_b64 vcc, exec, s[2:3]
	s_cbranch_vccnz .LBB21_859
; %bb.858:
	v_trunc_f32_e32 v0, v1
	s_mov_b32 s2, 0x2f800000
	v_mul_f32_e64 v1, |v0|, s2
	v_floor_f32_e32 v1, v1
	s_mov_b32 s2, 0xcf800000
	v_fma_f32 v1, v1, s2, |v0|
	v_cvt_u32_f32_e32 v1, v1
	v_ashrrev_i32_e32 v0, 31, v0
	v_xor_b32_e32 v1, v1, v0
	v_sub_u32_e32 v0, v1, v0
	global_store_byte v[3:4], v0, off
.LBB21_859:
	s_mov_b64 s[2:3], -1
.LBB21_860:
	s_andn2_b64 vcc, exec, s[2:3]
	s_cbranch_vccnz .LBB21_862
; %bb.861:
	v_add_u32_e32 v8, 0x80, v8
	s_mov_b64 s[2:3], -1
	s_branch .LBB21_864
.LBB21_862:
	s_mov_b64 s[2:3], 0
.LBB21_863:
                                        ; implicit-def: $vgpr8
.LBB21_864:
	s_andn2_b64 s[6:7], s[62:63], exec
	s_and_b64 s[0:1], s[0:1], exec
	s_or_b64 s[68:69], s[6:7], s[0:1]
	s_andn2_b64 s[0:1], s[60:61], exec
	s_and_b64 s[6:7], s[8:9], exec
	s_or_b64 s[6:7], s[0:1], s[6:7]
	s_orn2_b64 s[2:3], s[2:3], exec
.LBB21_865:
	s_or_b64 exec, exec, s[66:67]
	s_mov_b64 s[0:1], 0
	s_mov_b64 s[8:9], 0
	;; [unrolled: 1-line block ×3, first 2 shown]
                                        ; implicit-def: $vgpr1_vgpr2
                                        ; implicit-def: $vgpr0
                                        ; implicit-def: $vgpr5
	s_and_saveexec_b64 s[66:67], s[2:3]
	s_cbranch_execz .LBB21_964
; %bb.866:
	v_cmp_gt_i32_e32 vcc, s70, v8
	s_mov_b64 s[2:3], 0
	s_mov_b64 s[12:13], s[6:7]
                                        ; implicit-def: $vgpr1_vgpr2
                                        ; implicit-def: $vgpr0
                                        ; implicit-def: $vgpr5
	s_and_saveexec_b64 s[70:71], vcc
	s_cbranch_execz .LBB21_963
; %bb.867:
	s_andn2_b64 vcc, exec, s[42:43]
	s_cbranch_vccnz .LBB21_872
; %bb.868:
	s_andn2_b64 vcc, exec, s[52:53]
	s_cbranch_vccnz .LBB21_873
; %bb.869:
	s_add_i32 s76, s75, 1
	s_cmp_eq_u32 s72, 2
	s_cbranch_scc1 .LBB21_874
; %bb.870:
	s_and_b32 s75, s76, 28
	v_mov_b32_e32 v2, 0
	s_mov_b32 s77, 0
	s_mov_b64 s[52:53], s[34:35]
	v_mov_b32_e32 v0, 0
	v_mov_b32_e32 v1, v8
.LBB21_871:                             ; =>This Inner Loop Header: Depth=1
	s_load_dwordx8 s[16:23], s[52:53], 0x4
	s_load_dwordx4 s[0:3], s[52:53], 0x24
	s_load_dwordx8 s[8:15], s[50:51], 0x0
	s_add_u32 s52, s52, 48
	s_addc_u32 s53, s53, 0
	s_waitcnt vmcnt(0) lgkmcnt(0)
	v_mul_hi_u32 v3, s17, v1
	s_add_i32 s77, s77, 4
	s_add_u32 s50, s50, 32
	s_addc_u32 s51, s51, 0
	v_add_u32_e32 v3, v1, v3
	v_lshrrev_b32_e32 v3, s18, v3
	v_mul_lo_u32 v4, v3, s16
	v_mul_hi_u32 v5, s20, v3
	s_cmp_eq_u32 s75, s77
	v_sub_u32_e32 v1, v1, v4
	v_add_u32_e32 v4, v3, v5
	v_mul_lo_u32 v5, v1, s8
	v_mul_lo_u32 v6, v1, s9
	v_lshrrev_b32_e32 v1, s21, v4
	v_mul_lo_u32 v4, v1, s19
	v_mul_hi_u32 v7, s23, v1
	v_sub_u32_e32 v3, v3, v4
	v_add_u32_e32 v4, v1, v7
	v_lshrrev_b32_e32 v4, s0, v4
	v_mul_hi_u32 v9, s2, v4
	v_mul_lo_u32 v10, v4, s22
	v_mul_lo_u32 v7, v3, s10
	v_mul_lo_u32 v3, v3, s11
	v_sub_u32_e32 v10, v1, v10
	v_add_u32_e32 v1, v4, v9
	v_lshrrev_b32_e32 v1, s3, v1
	v_mul_lo_u32 v9, v1, s1
	v_mul_lo_u32 v11, v10, s12
	;; [unrolled: 1-line block ×3, first 2 shown]
	v_add3_u32 v0, v5, v0, v7
	v_sub_u32_e32 v4, v4, v9
	v_mul_lo_u32 v9, v4, s14
	v_mul_lo_u32 v4, v4, s15
	v_add3_u32 v2, v6, v2, v3
	v_add3_u32 v0, v11, v0, v9
	v_add3_u32 v2, v10, v2, v4
	s_cbranch_scc0 .LBB21_871
	s_branch .LBB21_875
.LBB21_872:
	s_mov_b64 s[0:1], -1
                                        ; implicit-def: $vgpr0
                                        ; implicit-def: $vgpr2
	s_branch .LBB21_879
.LBB21_873:
	v_mov_b32_e32 v0, 0
	v_mov_b32_e32 v2, 0
	s_branch .LBB21_878
.LBB21_874:
	s_mov_b32 s75, 0
	v_mov_b32_e32 v0, 0
	v_mov_b32_e32 v2, 0
	;; [unrolled: 1-line block ×3, first 2 shown]
.LBB21_875:
	s_and_b32 s8, s76, 3
	s_cmp_eq_u32 s8, 0
	s_cbranch_scc1 .LBB21_878
; %bb.876:
	s_lshl_b32 s0, s75, 3
	s_add_u32 s0, s34, s0
	s_addc_u32 s1, s35, 0
	s_add_u32 s0, s0, 0xc4
	s_addc_u32 s1, s1, 0
	s_mul_i32 s2, s75, 12
	s_add_u32 s2, s34, s2
	s_addc_u32 s3, s35, 0
.LBB21_877:                             ; =>This Inner Loop Header: Depth=1
	s_load_dwordx2 s[10:11], s[2:3], 0x4
	s_load_dword s9, s[2:3], 0xc
	s_load_dwordx2 s[12:13], s[0:1], 0x0
	s_add_u32 s2, s2, 12
	s_addc_u32 s3, s3, 0
	s_waitcnt vmcnt(0) lgkmcnt(0)
	v_mul_hi_u32 v3, s11, v1
	s_add_u32 s0, s0, 8
	s_addc_u32 s1, s1, 0
	s_add_i32 s8, s8, -1
	v_add_u32_e32 v3, v1, v3
	v_lshrrev_b32_e32 v4, s9, v3
	v_mul_lo_u32 v3, v4, s10
	s_cmp_lg_u32 s8, 0
	v_sub_u32_e32 v3, v1, v3
	v_mad_u64_u32 v[0:1], s[10:11], v3, s12, v[0:1]
	v_mad_u64_u32 v[2:3], s[10:11], v3, s13, v[2:3]
	v_mov_b32_e32 v1, v4
	s_cbranch_scc1 .LBB21_877
.LBB21_878:
	s_mov_b64 s[0:1], 0
.LBB21_879:
	s_andn2_b64 vcc, exec, s[0:1]
	s_cbranch_vccnz .LBB21_882
; %bb.880:
	s_waitcnt lgkmcnt(0)
	v_mul_hi_u32 v0, s37, v8
	s_andn2_b64 vcc, exec, s[48:49]
	v_add_u32_e32 v0, v8, v0
	v_lshrrev_b32_e32 v1, s38, v0
	v_mul_lo_u32 v0, v1, s36
	v_sub_u32_e32 v2, v8, v0
	v_mul_lo_u32 v0, v2, s28
	v_mul_lo_u32 v2, v2, s29
	s_cbranch_vccnz .LBB21_882
; %bb.881:
	s_waitcnt vmcnt(0)
	v_mul_hi_u32 v3, s46, v1
	v_add_u32_e32 v3, v1, v3
	v_lshrrev_b32_e32 v3, s47, v3
	v_mul_lo_u32 v3, v3, s39
	v_sub_u32_e32 v3, v1, v3
	v_mad_u64_u32 v[0:1], s[0:1], v3, s30, v[0:1]
	v_mad_u64_u32 v[2:3], s[0:1], v3, s31, v[2:3]
.LBB21_882:
	s_waitcnt vmcnt(0) lgkmcnt(0)
	v_mov_b32_e32 v3, s27
	s_and_b32 s14, 0xffff, s74
	v_add_co_u32_e32 v1, vcc, s26, v2
	s_cmp_lt_i32 s14, 11
	v_addc_co_u32_e32 v2, vcc, 0, v3, vcc
	s_cbranch_scc1 .LBB21_889
; %bb.883:
	s_cmp_gt_i32 s14, 25
	s_mov_b64 s[2:3], 0
	s_cbranch_scc0 .LBB21_890
; %bb.884:
	s_cmp_gt_i32 s14, 28
	s_cbranch_scc0 .LBB21_891
; %bb.885:
	s_cmp_gt_i32 s14, 43
	;; [unrolled: 3-line block ×3, first 2 shown]
	s_cbranch_scc0 .LBB21_895
; %bb.887:
	s_cmp_eq_u32 s14, 46
	s_mov_b64 s[10:11], 0
	s_cbranch_scc0 .LBB21_898
; %bb.888:
	global_load_dword v3, v[1:2], off
	s_mov_b64 s[0:1], 0
	s_mov_b64 s[8:9], -1
	s_waitcnt vmcnt(0)
	v_lshlrev_b32_e32 v5, 16, v3
	s_branch .LBB21_899
.LBB21_889:
	s_mov_b64 s[12:13], -1
	s_mov_b64 s[8:9], 0
	s_mov_b64 s[2:3], 0
	;; [unrolled: 1-line block ×3, first 2 shown]
                                        ; implicit-def: $vgpr5
	s_branch .LBB21_962
.LBB21_890:
	s_mov_b64 s[10:11], -1
	s_mov_b64 s[8:9], 0
	s_mov_b64 s[0:1], s[6:7]
                                        ; implicit-def: $vgpr5
	s_branch .LBB21_928
.LBB21_891:
	s_mov_b64 s[10:11], -1
	s_mov_b64 s[8:9], 0
	s_mov_b64 s[0:1], s[6:7]
                                        ; implicit-def: $vgpr5
	s_branch .LBB21_909
.LBB21_892:
	s_mov_b64 s[10:11], -1
	s_mov_b64 s[8:9], 0
	s_mov_b64 s[0:1], s[6:7]
                                        ; implicit-def: $vgpr5
	s_branch .LBB21_904
.LBB21_893:
	s_andn2_saveexec_b64 s[10:11], s[10:11]
	s_cbranch_execz .LBB21_773
.LBB21_894:
	s_mov_b32 s14, 0x46000000
	v_add_f32_e64 v0, |v1|, s14
	v_and_b32_e32 v0, 0xff, v0
	v_cmp_ne_u32_e32 vcc, 0, v0
	s_andn2_b64 s[6:7], s[6:7], exec
	s_and_b64 s[14:15], vcc, exec
	s_or_b64 s[6:7], s[6:7], s[14:15]
	s_or_b64 exec, exec, s[10:11]
	v_mov_b32_e32 v2, 0
	s_and_saveexec_b64 s[10:11], s[6:7]
	s_cbranch_execnz .LBB21_774
	s_branch .LBB21_775
.LBB21_895:
	s_mov_b64 s[10:11], -1
	s_mov_b64 s[8:9], 0
	s_mov_b64 s[0:1], s[6:7]
                                        ; implicit-def: $vgpr5
	s_branch .LBB21_899
.LBB21_896:
	s_andn2_saveexec_b64 s[10:11], s[10:11]
	s_cbranch_execz .LBB21_786
.LBB21_897:
	s_mov_b32 s14, 0x42800000
	v_add_f32_e64 v0, |v1|, s14
	v_and_b32_e32 v0, 0xff, v0
	v_cmp_ne_u32_e32 vcc, 0, v0
	s_andn2_b64 s[6:7], s[6:7], exec
	s_and_b64 s[14:15], vcc, exec
	s_or_b64 s[6:7], s[6:7], s[14:15]
	s_or_b64 exec, exec, s[10:11]
	v_mov_b32_e32 v2, 0
	s_and_saveexec_b64 s[10:11], s[6:7]
	s_cbranch_execnz .LBB21_787
	s_branch .LBB21_788
.LBB21_898:
	s_mov_b64 s[0:1], -1
                                        ; implicit-def: $vgpr5
	s_mov_b64 s[8:9], 0
.LBB21_899:
	s_and_b64 vcc, exec, s[10:11]
	s_cbranch_vccz .LBB21_903
; %bb.900:
	s_cmp_eq_u32 s14, 44
	s_cbranch_scc0 .LBB21_902
; %bb.901:
	global_load_ubyte v3, v[1:2], off
	s_movk_i32 s8, 0xff
	v_mov_b32_e32 v4, 0x7f800001
	v_mov_b32_e32 v5, 0x400000
	s_mov_b64 s[0:1], 0
	s_waitcnt vmcnt(0)
	v_lshlrev_b32_e32 v6, 23, v3
	v_cmp_ne_u32_e32 vcc, s8, v3
	v_cndmask_b32_e32 v4, v4, v6, vcc
	v_cmp_ne_u32_e32 vcc, 0, v3
	v_cndmask_b32_e32 v5, v5, v4, vcc
	s_mov_b64 s[8:9], -1
	s_branch .LBB21_903
.LBB21_902:
	s_mov_b64 s[0:1], -1
                                        ; implicit-def: $vgpr5
.LBB21_903:
	s_mov_b64 s[10:11], 0
.LBB21_904:
	s_and_b64 vcc, exec, s[10:11]
	s_cbranch_vccz .LBB21_908
; %bb.905:
	s_cmp_eq_u32 s14, 29
	s_cbranch_scc0 .LBB21_907
; %bb.906:
	global_load_dwordx2 v[3:4], v[1:2], off
	s_mov_b64 s[0:1], 0
	s_mov_b64 s[8:9], -1
	s_mov_b64 s[10:11], 0
	s_waitcnt vmcnt(0)
	v_ffbh_u32_e32 v5, v4
	v_min_u32_e32 v5, 32, v5
	v_lshlrev_b64 v[3:4], v5, v[3:4]
	v_min_u32_e32 v3, 1, v3
	v_or_b32_e32 v3, v4, v3
	v_cvt_f32_u32_e32 v3, v3
	v_sub_u32_e32 v4, 32, v5
	v_ldexp_f32 v5, v3, v4
	s_branch .LBB21_909
.LBB21_907:
	s_mov_b64 s[0:1], -1
                                        ; implicit-def: $vgpr5
.LBB21_908:
	s_mov_b64 s[10:11], 0
.LBB21_909:
	s_and_b64 vcc, exec, s[10:11]
	s_cbranch_vccz .LBB21_927
; %bb.910:
	s_cmp_lt_i32 s14, 27
	s_cbranch_scc1 .LBB21_913
; %bb.911:
	s_cmp_gt_i32 s14, 27
	s_cbranch_scc0 .LBB21_914
; %bb.912:
	global_load_dword v3, v[1:2], off
	s_mov_b64 s[8:9], 0
	s_waitcnt vmcnt(0)
	v_cvt_f32_u32_e32 v5, v3
	s_branch .LBB21_915
.LBB21_913:
	s_mov_b64 s[8:9], -1
                                        ; implicit-def: $vgpr5
	s_branch .LBB21_918
.LBB21_914:
	s_mov_b64 s[8:9], -1
                                        ; implicit-def: $vgpr5
.LBB21_915:
	s_andn2_b64 vcc, exec, s[8:9]
	s_cbranch_vccnz .LBB21_917
; %bb.916:
	global_load_ushort v3, v[1:2], off
	s_waitcnt vmcnt(0)
	v_cvt_f32_u32_e32 v5, v3
.LBB21_917:
	s_mov_b64 s[8:9], 0
.LBB21_918:
	s_andn2_b64 vcc, exec, s[8:9]
	s_cbranch_vccnz .LBB21_926
; %bb.919:
	global_load_ubyte v3, v[1:2], off
	s_movk_i32 s8, 0x7f
	s_waitcnt vmcnt(0)
	v_cmp_lt_i16_e32 vcc, s8, v3
	s_mov_b64 s[8:9], 0
	s_and_saveexec_b64 s[10:11], vcc
	s_xor_b64 s[10:11], exec, s[10:11]
	s_cbranch_execz .LBB21_940
; %bb.920:
	s_movk_i32 s8, 0x80
	v_cmp_eq_u16_e32 vcc, s8, v3
	s_mov_b64 s[8:9], -1
	s_and_saveexec_b64 s[12:13], vcc
; %bb.921:
	s_xor_b64 s[8:9], exec, -1
; %bb.922:
	s_or_b64 exec, exec, s[12:13]
	s_and_b64 s[8:9], s[8:9], exec
	s_or_saveexec_b64 s[10:11], s[10:11]
	v_mov_b32_e32 v5, 0x7f800001
	s_xor_b64 exec, exec, s[10:11]
	s_cbranch_execnz .LBB21_941
.LBB21_923:
	s_or_b64 exec, exec, s[10:11]
	s_and_saveexec_b64 s[10:11], s[8:9]
	s_cbranch_execz .LBB21_925
.LBB21_924:
	v_lshlrev_b32_e32 v4, 24, v3
	v_and_b32_e32 v3, 0xffff, v3
	v_and_b32_e32 v5, 7, v3
	v_ffbh_u32_e32 v7, v5
	v_min_u32_e32 v7, 32, v7
	v_subrev_u32_e32 v8, 28, v7
	v_bfe_u32 v6, v3, 3, 4
	v_lshlrev_b32_e32 v3, v8, v3
	v_sub_u32_e32 v7, 29, v7
	v_and_b32_e32 v3, 7, v3
	v_cmp_eq_u32_e32 vcc, 0, v6
	v_cndmask_b32_e32 v6, v6, v7, vcc
	v_cndmask_b32_e32 v3, v5, v3, vcc
	v_mov_b32_e32 v5, 0x3b800000
	v_lshlrev_b32_e32 v3, 20, v3
	v_and_b32_e32 v4, 0x80000000, v4
	v_lshl_add_u32 v5, v6, 23, v5
	v_or3_b32 v5, v4, v5, v3
.LBB21_925:
	s_or_b64 exec, exec, s[10:11]
.LBB21_926:
	s_mov_b64 s[8:9], -1
.LBB21_927:
	s_mov_b64 s[10:11], 0
.LBB21_928:
	s_and_b64 vcc, exec, s[10:11]
	s_cbranch_vccz .LBB21_961
; %bb.929:
	s_cmp_gt_i32 s14, 22
	s_cbranch_scc0 .LBB21_939
; %bb.930:
	s_cmp_lt_i32 s14, 24
	s_cbranch_scc1 .LBB21_942
; %bb.931:
	s_cmp_gt_i32 s14, 24
	s_cbranch_scc0 .LBB21_943
; %bb.932:
	global_load_ubyte v3, v[1:2], off
	s_movk_i32 s2, 0x7f
	s_waitcnt vmcnt(0)
	v_cmp_lt_i16_e32 vcc, s2, v3
	s_mov_b64 s[2:3], 0
	s_and_saveexec_b64 s[8:9], vcc
	s_xor_b64 s[8:9], exec, s[8:9]
	s_cbranch_execz .LBB21_955
; %bb.933:
	s_movk_i32 s2, 0x80
	v_cmp_eq_u16_e32 vcc, s2, v3
	s_mov_b64 s[2:3], -1
	s_and_saveexec_b64 s[10:11], vcc
; %bb.934:
	s_xor_b64 s[2:3], exec, -1
; %bb.935:
	s_or_b64 exec, exec, s[10:11]
	s_and_b64 s[2:3], s[2:3], exec
	s_or_saveexec_b64 s[8:9], s[8:9]
	v_mov_b32_e32 v5, 0x7f800001
	s_xor_b64 exec, exec, s[8:9]
	s_cbranch_execnz .LBB21_956
.LBB21_936:
	s_or_b64 exec, exec, s[8:9]
	s_and_saveexec_b64 s[8:9], s[2:3]
	s_cbranch_execz .LBB21_938
.LBB21_937:
	v_lshlrev_b32_e32 v4, 24, v3
	v_and_b32_e32 v3, 0xffff, v3
	v_and_b32_e32 v5, 3, v3
	v_ffbh_u32_e32 v7, v5
	v_min_u32_e32 v7, 32, v7
	v_subrev_u32_e32 v8, 29, v7
	v_bfe_u32 v6, v3, 2, 5
	v_lshlrev_b32_e32 v3, v8, v3
	v_sub_u32_e32 v7, 30, v7
	v_and_b32_e32 v3, 3, v3
	v_cmp_eq_u32_e32 vcc, 0, v6
	v_cndmask_b32_e32 v6, v6, v7, vcc
	v_cndmask_b32_e32 v3, v5, v3, vcc
	v_mov_b32_e32 v5, 0x37800000
	v_lshlrev_b32_e32 v3, 21, v3
	v_and_b32_e32 v4, 0x80000000, v4
	v_lshl_add_u32 v5, v6, 23, v5
	v_or3_b32 v5, v4, v5, v3
.LBB21_938:
	s_or_b64 exec, exec, s[8:9]
	s_mov_b64 s[2:3], 0
	s_branch .LBB21_944
.LBB21_939:
	s_mov_b64 s[2:3], -1
                                        ; implicit-def: $vgpr5
	s_branch .LBB21_950
.LBB21_940:
	s_or_saveexec_b64 s[10:11], s[10:11]
	v_mov_b32_e32 v5, 0x7f800001
	s_xor_b64 exec, exec, s[10:11]
	s_cbranch_execz .LBB21_923
.LBB21_941:
	v_cmp_ne_u16_e32 vcc, 0, v3
	s_andn2_b64 s[8:9], s[8:9], exec
	s_and_b64 s[12:13], vcc, exec
	v_mov_b32_e32 v5, 0
	s_or_b64 s[8:9], s[8:9], s[12:13]
	s_or_b64 exec, exec, s[10:11]
	s_and_saveexec_b64 s[10:11], s[8:9]
	s_cbranch_execnz .LBB21_924
	s_branch .LBB21_925
.LBB21_942:
	s_mov_b64 s[2:3], -1
                                        ; implicit-def: $vgpr5
	s_branch .LBB21_947
.LBB21_943:
	s_mov_b64 s[2:3], -1
                                        ; implicit-def: $vgpr5
.LBB21_944:
	s_and_b64 vcc, exec, s[2:3]
	s_cbranch_vccz .LBB21_946
; %bb.945:
	global_load_ubyte v3, v[1:2], off
	s_mov_b32 s2, 0x7f800000
	s_waitcnt vmcnt(0)
	v_lshlrev_b32_e32 v3, 24, v3
	v_and_b32_e32 v4, 0x7f000000, v3
	v_ffbh_u32_e32 v5, v4
	v_min_u32_e32 v5, 32, v5
	v_sub_u32_e64 v5, v5, 4 clamp
	v_lshlrev_b32_e32 v7, v5, v4
	v_lshlrev_b32_e32 v5, 23, v5
	v_lshrrev_b32_e32 v7, 4, v7
	v_add_u32_e32 v6, 0x1000000, v4
	v_sub_u32_e32 v5, v7, v5
	v_ashrrev_i32_e32 v6, 8, v6
	v_add_u32_e32 v5, 0x3c000000, v5
	v_and_or_b32 v5, v6, s2, v5
	v_cmp_ne_u32_e32 vcc, 0, v4
	v_cndmask_b32_e32 v4, 0, v5, vcc
	s_brev_b32 s2, 1
	v_and_or_b32 v5, v3, s2, v4
.LBB21_946:
	s_mov_b64 s[2:3], 0
.LBB21_947:
	s_andn2_b64 vcc, exec, s[2:3]
	s_cbranch_vccnz .LBB21_949
; %bb.948:
	global_load_ubyte v3, v[1:2], off
	s_movk_i32 s2, 0x7f00
	s_brev_b32 s3, 16
	s_waitcnt vmcnt(0)
	v_lshlrev_b16_e32 v4, 8, v3
	v_lshlrev_b32_e32 v3, 25, v3
	v_lshrrev_b32_e32 v5, 4, v3
	v_and_or_b32 v6, v4, s2, 0.5
	v_or_b32_e32 v5, 0x70000000, v5
	v_add_f32_e32 v6, -0.5, v6
	v_mul_f32_e32 v5, 0x7800000, v5
	v_cmp_gt_u32_e32 vcc, s3, v3
	v_bfe_i32 v4, v4, 0, 16
	v_cndmask_b32_e32 v3, v5, v6, vcc
	s_brev_b32 s2, 1
	v_and_or_b32 v5, v4, s2, v3
.LBB21_949:
	s_mov_b64 s[2:3], 0
	s_mov_b64 s[8:9], -1
.LBB21_950:
	s_andn2_b64 vcc, exec, s[2:3]
	s_mov_b64 s[2:3], 0
	s_cbranch_vccnz .LBB21_961
; %bb.951:
	s_cmp_gt_i32 s14, 14
	s_cbranch_scc0 .LBB21_954
; %bb.952:
	s_cmp_eq_u32 s14, 15
	s_cbranch_scc0 .LBB21_957
; %bb.953:
	global_load_ushort v3, v[1:2], off
	s_mov_b64 s[0:1], 0
	s_mov_b64 s[8:9], -1
	s_waitcnt vmcnt(0)
	v_lshlrev_b32_e32 v5, 16, v3
	s_branch .LBB21_958
.LBB21_954:
	s_mov_b64 s[10:11], -1
                                        ; implicit-def: $vgpr5
	s_branch .LBB21_959
.LBB21_955:
	s_or_saveexec_b64 s[8:9], s[8:9]
	v_mov_b32_e32 v5, 0x7f800001
	s_xor_b64 exec, exec, s[8:9]
	s_cbranch_execz .LBB21_936
.LBB21_956:
	v_cmp_ne_u16_e32 vcc, 0, v3
	s_andn2_b64 s[2:3], s[2:3], exec
	s_and_b64 s[10:11], vcc, exec
	v_mov_b32_e32 v5, 0
	s_or_b64 s[2:3], s[2:3], s[10:11]
	s_or_b64 exec, exec, s[8:9]
	s_and_saveexec_b64 s[8:9], s[2:3]
	s_cbranch_execnz .LBB21_937
	s_branch .LBB21_938
.LBB21_957:
	s_mov_b64 s[0:1], -1
                                        ; implicit-def: $vgpr5
.LBB21_958:
	s_mov_b64 s[10:11], 0
.LBB21_959:
	s_and_b64 vcc, exec, s[10:11]
	s_cbranch_vccz .LBB21_961
; %bb.960:
	s_cmp_lg_u32 s14, 11
	s_cselect_b64 s[10:11], -1, 0
	s_andn2_b64 s[0:1], s[0:1], exec
	s_and_b64 s[10:11], s[10:11], exec
	s_mov_b64 s[2:3], -1
	s_or_b64 s[0:1], s[0:1], s[10:11]
.LBB21_961:
	s_mov_b64 s[12:13], 0
.LBB21_962:
	s_and_b64 s[10:11], s[8:9], exec
	s_and_b64 s[8:9], s[12:13], exec
	s_andn2_b64 s[12:13], s[6:7], exec
	s_and_b64 s[0:1], s[0:1], exec
	s_and_b64 s[2:3], s[2:3], exec
	s_or_b64 s[12:13], s[12:13], s[0:1]
.LBB21_963:
	s_or_b64 exec, exec, s[70:71]
	s_and_b64 s[0:1], s[2:3], exec
	s_andn2_b64 s[2:3], s[6:7], exec
	s_and_b64 s[6:7], s[12:13], exec
	s_and_b64 s[10:11], s[10:11], exec
	;; [unrolled: 1-line block ×3, first 2 shown]
	s_or_b64 s[6:7], s[2:3], s[6:7]
.LBB21_964:
	s_or_b64 exec, exec, s[66:67]
	s_andn2_b64 s[2:3], s[62:63], exec
	s_and_b64 s[12:13], s[68:69], exec
	s_or_b64 s[62:63], s[2:3], s[12:13]
	s_and_b64 s[2:3], s[0:1], exec
	s_andn2_b64 s[0:1], s[60:61], exec
	s_and_b64 s[6:7], s[6:7], exec
	s_and_b64 s[10:11], s[10:11], exec
	;; [unrolled: 1-line block ×3, first 2 shown]
	s_or_b64 s[60:61], s[0:1], s[6:7]
.LBB21_965:
	s_or_b64 exec, exec, s[64:65]
	s_andn2_b64 s[0:1], s[54:55], exec
	s_and_b64 s[6:7], s[62:63], exec
	s_or_b64 s[54:55], s[0:1], s[6:7]
	s_and_b64 s[6:7], s[8:9], exec
	s_and_b64 s[62:63], s[2:3], exec
	s_andn2_b64 s[2:3], s[56:57], exec
	s_and_b64 s[8:9], s[60:61], exec
	s_and_b64 s[0:1], s[10:11], exec
	s_or_b64 s[56:57], s[2:3], s[8:9]
	s_or_b64 exec, exec, s[58:59]
	s_mov_b64 s[8:9], 0
	s_and_saveexec_b64 s[2:3], s[56:57]
	s_cbranch_execz .LBB21_290
.LBB21_966:
	s_mov_b64 s[8:9], exec
	s_andn2_b64 s[62:63], s[62:63], exec
	s_trap 2
	s_or_b64 exec, exec, s[2:3]
	s_and_saveexec_b64 s[2:3], s[62:63]
	s_xor_b64 s[2:3], exec, s[2:3]
	s_cbranch_execnz .LBB21_291
.LBB21_967:
	s_or_b64 exec, exec, s[2:3]
	s_and_saveexec_b64 s[2:3], s[6:7]
	s_cbranch_execz .LBB21_1013
.LBB21_968:
	s_sext_i32_i16 s6, s74
	s_cmp_lt_i32 s6, 5
	s_cbranch_scc1 .LBB21_973
; %bb.969:
	s_cmp_lt_i32 s6, 8
	s_cbranch_scc1 .LBB21_974
; %bb.970:
	;; [unrolled: 3-line block ×3, first 2 shown]
	s_cmp_gt_i32 s6, 9
	s_cbranch_scc0 .LBB21_976
; %bb.972:
	global_load_dwordx2 v[3:4], v[1:2], off
	s_mov_b64 s[6:7], 0
	s_waitcnt vmcnt(0)
	v_cvt_f32_f64_e32 v5, v[3:4]
	s_branch .LBB21_977
.LBB21_973:
                                        ; implicit-def: $vgpr5
	s_branch .LBB21_994
.LBB21_974:
                                        ; implicit-def: $vgpr5
	s_branch .LBB21_983
.LBB21_975:
	s_mov_b64 s[6:7], -1
                                        ; implicit-def: $vgpr5
	s_branch .LBB21_980
.LBB21_976:
	s_mov_b64 s[6:7], -1
                                        ; implicit-def: $vgpr5
.LBB21_977:
	s_andn2_b64 vcc, exec, s[6:7]
	s_cbranch_vccnz .LBB21_979
; %bb.978:
	global_load_dword v5, v[1:2], off
.LBB21_979:
	s_mov_b64 s[6:7], 0
.LBB21_980:
	s_andn2_b64 vcc, exec, s[6:7]
	s_cbranch_vccnz .LBB21_982
; %bb.981:
	global_load_dword v3, v[1:2], off
	s_waitcnt vmcnt(0)
	v_cvt_f32_f16_e32 v5, v3
.LBB21_982:
	s_cbranch_execnz .LBB21_993
.LBB21_983:
	s_sext_i32_i16 s6, s74
	s_cmp_lt_i32 s6, 6
	s_cbranch_scc1 .LBB21_986
; %bb.984:
	s_cmp_gt_i32 s6, 6
	s_cbranch_scc0 .LBB21_987
; %bb.985:
	global_load_dwordx2 v[3:4], v[1:2], off
	s_mov_b64 s[6:7], 0
	s_waitcnt vmcnt(0)
	v_cvt_f32_f64_e32 v5, v[3:4]
	s_branch .LBB21_988
.LBB21_986:
	s_mov_b64 s[6:7], -1
                                        ; implicit-def: $vgpr5
	s_branch .LBB21_991
.LBB21_987:
	s_mov_b64 s[6:7], -1
                                        ; implicit-def: $vgpr5
.LBB21_988:
	s_andn2_b64 vcc, exec, s[6:7]
	s_cbranch_vccnz .LBB21_990
; %bb.989:
	global_load_dword v5, v[1:2], off
.LBB21_990:
	s_mov_b64 s[6:7], 0
.LBB21_991:
	s_andn2_b64 vcc, exec, s[6:7]
	s_cbranch_vccnz .LBB21_993
; %bb.992:
	global_load_ushort v3, v[1:2], off
	s_waitcnt vmcnt(0)
	v_cvt_f32_f16_e32 v5, v3
.LBB21_993:
	s_cbranch_execnz .LBB21_1012
.LBB21_994:
	s_sext_i32_i16 s6, s74
	s_cmp_lt_i32 s6, 2
	s_cbranch_scc1 .LBB21_998
; %bb.995:
	s_cmp_lt_i32 s6, 3
	s_cbranch_scc1 .LBB21_999
; %bb.996:
	s_cmp_gt_i32 s6, 3
	s_cbranch_scc0 .LBB21_1000
; %bb.997:
	global_load_dwordx2 v[3:4], v[1:2], off
	s_mov_b64 s[6:7], 0
	s_waitcnt vmcnt(0)
	v_xor_b32_e32 v6, v3, v4
	v_ffbh_i32_e32 v5, v4
	v_ashrrev_i32_e32 v6, 31, v6
	v_add_u32_e32 v5, -1, v5
	v_add_u32_e32 v6, 32, v6
	v_min_u32_e32 v5, v5, v6
	v_lshlrev_b64 v[3:4], v5, v[3:4]
	v_min_u32_e32 v3, 1, v3
	v_or_b32_e32 v3, v4, v3
	v_cvt_f32_i32_e32 v3, v3
	v_sub_u32_e32 v4, 32, v5
	v_ldexp_f32 v5, v3, v4
	s_branch .LBB21_1001
.LBB21_998:
                                        ; implicit-def: $vgpr5
	s_branch .LBB21_1007
.LBB21_999:
	s_mov_b64 s[6:7], -1
                                        ; implicit-def: $vgpr5
	s_branch .LBB21_1004
.LBB21_1000:
	s_mov_b64 s[6:7], -1
                                        ; implicit-def: $vgpr5
.LBB21_1001:
	s_andn2_b64 vcc, exec, s[6:7]
	s_cbranch_vccnz .LBB21_1003
; %bb.1002:
	global_load_dword v3, v[1:2], off
	s_waitcnt vmcnt(0)
	v_cvt_f32_i32_e32 v5, v3
.LBB21_1003:
	s_mov_b64 s[6:7], 0
.LBB21_1004:
	s_andn2_b64 vcc, exec, s[6:7]
	s_cbranch_vccnz .LBB21_1006
; %bb.1005:
	global_load_sshort v3, v[1:2], off
	s_waitcnt vmcnt(0)
	v_cvt_f32_i32_e32 v5, v3
.LBB21_1006:
	s_cbranch_execnz .LBB21_1012
.LBB21_1007:
	s_sext_i32_i16 s6, s74
	s_cmp_gt_i32 s6, 0
	s_cbranch_scc0 .LBB21_1009
; %bb.1008:
	global_load_sbyte v3, v[1:2], off
	s_mov_b64 s[6:7], 0
	s_waitcnt vmcnt(0)
	v_cvt_f32_i32_e32 v5, v3
	s_branch .LBB21_1010
.LBB21_1009:
	s_mov_b64 s[6:7], -1
                                        ; implicit-def: $vgpr5
.LBB21_1010:
	s_andn2_b64 vcc, exec, s[6:7]
	s_cbranch_vccnz .LBB21_1012
; %bb.1011:
	global_load_ubyte v1, v[1:2], off
	s_waitcnt vmcnt(0)
	v_cvt_f32_ubyte0_e32 v5, v1
.LBB21_1012:
	s_or_b64 s[0:1], s[0:1], exec
.LBB21_1013:
	s_or_b64 exec, exec, s[2:3]
	s_mov_b64 s[6:7], 0
	s_mov_b64 s[2:3], 0
                                        ; implicit-def: $sgpr16
                                        ; implicit-def: $vgpr3_vgpr4
                                        ; implicit-def: $vgpr1
	s_and_saveexec_b64 s[10:11], s[0:1]
	s_cbranch_execz .LBB21_1023
; %bb.1014:
	s_waitcnt vmcnt(0)
	v_cmp_gt_f32_e32 vcc, 0, v5
	v_cndmask_b32_e64 v2, v5, -v5, vcc
	s_mov_b32 s0, 0x40a00000
	v_cmp_ge_f32_e32 vcc, s0, v2
	v_mul_f32_e32 v4, v2, v2
                                        ; implicit-def: $vgpr1
	s_and_saveexec_b64 s[0:1], vcc
	s_xor_b64 s[0:1], exec, s[0:1]
	s_cbranch_execz .LBB21_1020
; %bb.1015:
	s_mov_b32 s2, 0x3727c5ac
	v_cmp_ngt_f32_e32 vcc, s2, v2
                                        ; implicit-def: $vgpr1
	s_and_saveexec_b64 s[2:3], vcc
	s_xor_b64 s[2:3], exec, s[2:3]
	s_cbranch_execz .LBB21_1017
; %bb.1016:
	v_mov_b32_e32 v1, 0xcf8ee29d
	v_fmac_f32_e32 v1, 0, v4
	v_mov_b32_e32 v2, 0x53e3ba8e
	v_fmac_f32_e32 v2, v4, v1
	;; [unrolled: 2-line block ×12, first 2 shown]
	v_add_f32_e32 v1, 0xc0b90fdc, v4
	v_add_f32_e32 v4, 0xc1f3c525, v4
	v_mul_f32_e32 v1, v1, v4
	v_mul_f32_e32 v1, v1, v2
	v_div_scale_f32 v2, s[6:7], v3, v3, v1
	v_div_scale_f32 v4, vcc, v1, v3, v1
	v_rcp_f32_e32 v5, v2
	v_fma_f32 v6, -v2, v5, 1.0
	v_fmac_f32_e32 v5, v6, v5
	v_mul_f32_e32 v6, v4, v5
	v_fma_f32 v7, -v2, v6, v4
	v_fmac_f32_e32 v6, v7, v5
	v_fma_f32 v2, -v2, v6, v4
	v_div_fmas_f32 v2, v2, v5, v6
                                        ; implicit-def: $vgpr4
	v_div_fixup_f32 v1, v2, v3, v1
.LBB21_1017:
	s_andn2_saveexec_b64 s[2:3], s[2:3]
; %bb.1018:
	s_mov_b32 s6, 0xbe800000
	v_fma_f32 v1, v4, s6, 1.0
; %bb.1019:
	s_or_b64 exec, exec, s[2:3]
                                        ; implicit-def: $vgpr4
                                        ; implicit-def: $vgpr2
.LBB21_1020:
	s_andn2_saveexec_b64 s[12:13], s[0:1]
	s_cbranch_execz .LBB21_1033
; %bb.1021:
	v_add_f32_e32 v1, 0xbf490fdb, v2
	s_brev_b32 s0, 18
	v_and_b32_e32 v3, 0x7fffffff, v1
	v_cmp_nlt_f32_e64 s[14:15], |v1|, s0
                                        ; implicit-def: $vgpr5
                                        ; implicit-def: $vgpr6
	s_and_saveexec_b64 s[0:1], s[14:15]
	s_xor_b64 s[16:17], exec, s[0:1]
	s_cbranch_execz .LBB21_1026
; %bb.1022:
	v_and_b32_e32 v5, 0x7fffff, v3
	v_or_b32_e32 v14, 0x800000, v5
	s_mov_b32 s0, 0xfe5163ab
	v_mad_u64_u32 v[5:6], s[0:1], v14, s0, 0
	v_mov_b32_e32 v7, 0
	s_mov_b32 s0, 0x3c439041
	v_mad_u64_u32 v[8:9], s[0:1], v14, s0, v[6:7]
	s_mov_b32 s0, 0xdb629599
	v_not_b32_e32 v13, 63
	v_mov_b32_e32 v6, v9
	v_mad_u64_u32 v[9:10], s[0:1], v14, s0, v[6:7]
	s_mov_b32 s0, 0xf534ddc0
	v_not_b32_e32 v16, 31
	v_mov_b32_e32 v6, v10
	v_mad_u64_u32 v[10:11], s[0:1], v14, s0, v[6:7]
	v_lshrrev_b32_e32 v6, 23, v3
	v_add_u32_e32 v15, 0xffffff88, v6
	v_mov_b32_e32 v6, v11
	s_mov_b32 s0, 0xfc2757d1
	v_mad_u64_u32 v[11:12], s[0:1], v14, s0, v[6:7]
	v_cmp_lt_u32_e32 vcc, 63, v15
	v_cndmask_b32_e32 v6, 0, v13, vcc
	v_add_u32_e32 v15, v6, v15
	v_mov_b32_e32 v6, v12
	s_mov_b32 s0, 0x4e441529
	v_mad_u64_u32 v[12:13], s[0:1], v14, s0, v[6:7]
	v_cmp_lt_u32_e64 s[0:1], 31, v15
	v_cndmask_b32_e64 v6, 0, v16, s[0:1]
	v_add_u32_e32 v15, v6, v15
	v_mov_b32_e32 v6, v13
	s_mov_b32 s2, 0xa2f9836e
	v_mad_u64_u32 v[6:7], s[2:3], v14, s2, v[6:7]
	v_cmp_lt_u32_e64 s[2:3], 31, v15
	v_cndmask_b32_e64 v13, 0, v16, s[2:3]
	v_cndmask_b32_e32 v14, v12, v10, vcc
	v_cndmask_b32_e32 v6, v6, v11, vcc
	;; [unrolled: 1-line block ×3, first 2 shown]
	v_add_u32_e32 v13, v13, v15
	v_cndmask_b32_e64 v15, v6, v14, s[0:1]
	v_cndmask_b32_e64 v6, v7, v6, s[0:1]
	v_cndmask_b32_e32 v7, v11, v9, vcc
	v_cndmask_b32_e64 v11, v14, v7, s[0:1]
	v_cndmask_b32_e64 v6, v6, v15, s[2:3]
	;; [unrolled: 1-line block ×3, first 2 shown]
	v_sub_u32_e32 v14, 32, v13
	v_alignbit_b32 v15, v6, v12, v14
	v_cmp_eq_u32_e64 s[6:7], 0, v13
	v_cndmask_b32_e64 v13, v15, v6, s[6:7]
	v_cndmask_b32_e32 v6, v10, v8, vcc
	v_cndmask_b32_e64 v7, v7, v6, s[0:1]
	v_cndmask_b32_e64 v8, v11, v7, s[2:3]
	v_alignbit_b32 v10, v12, v8, v14
	v_cndmask_b32_e32 v5, v9, v5, vcc
	v_cndmask_b32_e64 v10, v10, v12, s[6:7]
	v_bfe_u32 v15, v13, 29, 1
	v_cndmask_b32_e64 v5, v6, v5, s[0:1]
	v_alignbit_b32 v11, v13, v10, 30
	v_sub_u32_e32 v16, 0, v15
	v_cndmask_b32_e64 v5, v7, v5, s[2:3]
	v_xor_b32_e32 v11, v11, v16
	v_alignbit_b32 v6, v8, v5, v14
	v_cndmask_b32_e64 v6, v6, v8, s[6:7]
	v_ffbh_u32_e32 v8, v11
	v_alignbit_b32 v7, v10, v6, 30
	v_min_u32_e32 v8, 32, v8
	v_alignbit_b32 v5, v6, v5, 30
	v_xor_b32_e32 v7, v7, v16
	v_sub_u32_e32 v9, 31, v8
	v_xor_b32_e32 v5, v5, v16
	v_alignbit_b32 v10, v11, v7, v9
	v_alignbit_b32 v5, v7, v5, v9
	;; [unrolled: 1-line block ×3, first 2 shown]
	v_ffbh_u32_e32 v7, v6
	v_min_u32_e32 v7, 32, v7
	v_lshrrev_b32_e32 v12, 29, v13
	v_not_b32_e32 v9, v7
	v_alignbit_b32 v5, v6, v5, v9
	v_lshlrev_b32_e32 v6, 31, v12
	v_or_b32_e32 v9, 0x33000000, v6
	v_add_lshl_u32 v7, v7, v8, 23
	v_lshrrev_b32_e32 v5, 9, v5
	v_sub_u32_e32 v7, v9, v7
	v_or_b32_e32 v6, 0.5, v6
	v_lshlrev_b32_e32 v8, 23, v8
	v_or_b32_e32 v5, v7, v5
	v_lshrrev_b32_e32 v7, 9, v10
	v_sub_u32_e32 v6, v6, v8
	v_or_b32_e32 v6, v7, v6
	s_mov_b32 s0, 0x3fc90fda
	v_mul_f32_e32 v7, 0x3fc90fda, v6
	v_fma_f32 v8, v6, s0, -v7
	v_fmac_f32_e32 v8, 0x33a22168, v6
	v_fmac_f32_e32 v8, 0x3fc90fda, v5
	v_lshrrev_b32_e32 v5, 30, v13
	v_add_f32_e32 v6, v7, v8
	v_add_u32_e32 v5, v15, v5
	s_andn2_saveexec_b64 s[0:1], s[16:17]
	s_cbranch_execz .LBB21_1028
	s_branch .LBB21_1027
.LBB21_1023:
	s_or_b64 exec, exec, s[10:11]
	s_and_saveexec_b64 s[0:1], s[54:55]
	s_cbranch_execnz .LBB21_1110
.LBB21_1024:
	s_or_b64 exec, exec, s[0:1]
	s_and_saveexec_b64 s[0:1], s[6:7]
	s_xor_b64 s[0:1], exec, s[0:1]
	s_cbranch_execz .LBB21_1111
.LBB21_1025:
	v_cmp_neq_f32_e32 vcc, 0, v1
	v_cndmask_b32_e64 v0, 0, 1, vcc
	s_waitcnt vmcnt(0)
	global_store_byte v[3:4], v0, off
	s_or_b64 exec, exec, s[0:1]
	s_and_saveexec_b64 s[0:1], s[2:3]
	s_xor_b64 s[0:1], exec, s[0:1]
	s_cbranch_execz .LBB21_1149
	s_branch .LBB21_1112
.LBB21_1026:
	s_andn2_saveexec_b64 s[0:1], s[16:17]
	s_cbranch_execz .LBB21_1028
.LBB21_1027:
	s_mov_b32 s2, 0x3f22f983
	v_mul_f32_e64 v5, |v1|, s2
	v_rndne_f32_e32 v7, v5
	s_mov_b32 s2, 0xbfc90fda
	v_cvt_i32_f32_e32 v5, v7
	v_fma_f32 v6, v7, s2, |v1|
	v_fmac_f32_e32 v6, 0xb3a22168, v7
	v_fmac_f32_e32 v6, 0xa7c234c4, v7
.LBB21_1028:
	s_or_b64 exec, exec, s[0:1]
                                        ; implicit-def: $vgpr7
                                        ; implicit-def: $vgpr8
	s_and_saveexec_b64 s[0:1], s[14:15]
	s_xor_b64 s[14:15], exec, s[0:1]
	s_cbranch_execz .LBB21_1030
; %bb.1029:
	v_and_b32_e32 v7, 0x7fffff, v3
	v_or_b32_e32 v16, 0x800000, v7
	s_mov_b32 s0, 0xfe5163ab
	v_mad_u64_u32 v[7:8], s[0:1], v16, s0, 0
	v_mov_b32_e32 v9, 0
	s_mov_b32 s0, 0x3c439041
	v_mad_u64_u32 v[10:11], s[0:1], v16, s0, v[8:9]
	s_mov_b32 s0, 0xdb629599
	v_not_b32_e32 v15, 63
	v_mov_b32_e32 v8, v11
	v_mad_u64_u32 v[11:12], s[0:1], v16, s0, v[8:9]
	s_mov_b32 s0, 0xf534ddc0
	v_not_b32_e32 v18, 31
	v_mov_b32_e32 v8, v12
	v_mad_u64_u32 v[12:13], s[0:1], v16, s0, v[8:9]
	v_lshrrev_b32_e32 v8, 23, v3
	v_add_u32_e32 v17, 0xffffff88, v8
	v_mov_b32_e32 v8, v13
	s_mov_b32 s0, 0xfc2757d1
	v_mad_u64_u32 v[13:14], s[0:1], v16, s0, v[8:9]
	v_cmp_lt_u32_e32 vcc, 63, v17
	v_cndmask_b32_e32 v8, 0, v15, vcc
	v_add_u32_e32 v17, v8, v17
	v_mov_b32_e32 v8, v14
	s_mov_b32 s0, 0x4e441529
	v_mad_u64_u32 v[14:15], s[0:1], v16, s0, v[8:9]
	v_cmp_lt_u32_e64 s[0:1], 31, v17
	v_cndmask_b32_e64 v8, 0, v18, s[0:1]
	v_add_u32_e32 v17, v8, v17
	v_mov_b32_e32 v8, v15
	s_mov_b32 s2, 0xa2f9836e
	v_mad_u64_u32 v[8:9], s[2:3], v16, s2, v[8:9]
	v_cmp_lt_u32_e64 s[2:3], 31, v17
	v_cndmask_b32_e64 v15, 0, v18, s[2:3]
	v_cndmask_b32_e32 v16, v14, v12, vcc
	v_cndmask_b32_e32 v8, v8, v13, vcc
	;; [unrolled: 1-line block ×3, first 2 shown]
	v_add_u32_e32 v15, v15, v17
	v_cndmask_b32_e64 v17, v8, v16, s[0:1]
	v_cndmask_b32_e64 v8, v9, v8, s[0:1]
	v_cndmask_b32_e32 v9, v13, v11, vcc
	v_cndmask_b32_e64 v13, v16, v9, s[0:1]
	v_cndmask_b32_e64 v8, v8, v17, s[2:3]
	;; [unrolled: 1-line block ×3, first 2 shown]
	v_sub_u32_e32 v16, 32, v15
	v_alignbit_b32 v17, v8, v14, v16
	v_cmp_eq_u32_e64 s[6:7], 0, v15
	v_cndmask_b32_e64 v15, v17, v8, s[6:7]
	v_cndmask_b32_e32 v8, v12, v10, vcc
	v_cndmask_b32_e64 v9, v9, v8, s[0:1]
	v_cndmask_b32_e64 v10, v13, v9, s[2:3]
	v_alignbit_b32 v12, v14, v10, v16
	v_cndmask_b32_e32 v7, v11, v7, vcc
	v_cndmask_b32_e64 v12, v12, v14, s[6:7]
	v_bfe_u32 v17, v15, 29, 1
	v_cndmask_b32_e64 v7, v8, v7, s[0:1]
	v_alignbit_b32 v13, v15, v12, 30
	v_sub_u32_e32 v18, 0, v17
	v_cndmask_b32_e64 v7, v9, v7, s[2:3]
	v_xor_b32_e32 v13, v13, v18
	v_alignbit_b32 v8, v10, v7, v16
	v_cndmask_b32_e64 v8, v8, v10, s[6:7]
	v_ffbh_u32_e32 v10, v13
	v_alignbit_b32 v9, v12, v8, 30
	v_min_u32_e32 v10, 32, v10
	v_alignbit_b32 v7, v8, v7, 30
	v_xor_b32_e32 v9, v9, v18
	v_sub_u32_e32 v11, 31, v10
	v_xor_b32_e32 v7, v7, v18
	v_alignbit_b32 v12, v13, v9, v11
	v_alignbit_b32 v7, v9, v7, v11
	;; [unrolled: 1-line block ×3, first 2 shown]
	v_ffbh_u32_e32 v9, v8
	v_min_u32_e32 v9, 32, v9
	v_lshrrev_b32_e32 v14, 29, v15
	v_not_b32_e32 v11, v9
	v_alignbit_b32 v7, v8, v7, v11
	v_lshlrev_b32_e32 v8, 31, v14
	v_or_b32_e32 v11, 0x33000000, v8
	v_add_lshl_u32 v9, v9, v10, 23
	v_lshrrev_b32_e32 v7, 9, v7
	v_sub_u32_e32 v9, v11, v9
	v_or_b32_e32 v8, 0.5, v8
	v_lshlrev_b32_e32 v10, 23, v10
	v_or_b32_e32 v7, v9, v7
	v_lshrrev_b32_e32 v9, 9, v12
	v_sub_u32_e32 v8, v8, v10
	v_or_b32_e32 v8, v9, v8
	s_mov_b32 s0, 0x3fc90fda
	v_mul_f32_e32 v9, 0x3fc90fda, v8
	v_fma_f32 v10, v8, s0, -v9
	v_fmac_f32_e32 v10, 0x33a22168, v8
	v_fmac_f32_e32 v10, 0x3fc90fda, v7
	v_lshrrev_b32_e32 v7, 30, v15
	v_add_f32_e32 v8, v9, v10
	v_add_u32_e32 v7, v17, v7
	s_andn2_saveexec_b64 s[0:1], s[14:15]
	s_cbranch_execnz .LBB21_1031
	s_branch .LBB21_1032
.LBB21_1030:
	s_andn2_saveexec_b64 s[0:1], s[14:15]
	s_cbranch_execz .LBB21_1032
.LBB21_1031:
	s_mov_b32 s2, 0x3f22f983
	v_mul_f32_e64 v7, |v1|, s2
	v_rndne_f32_e32 v9, v7
	s_mov_b32 s2, 0xbfc90fda
	v_cvt_i32_f32_e32 v7, v9
	v_fma_f32 v8, v9, s2, |v1|
	v_fmac_f32_e32 v8, 0xb3a22168, v9
	v_fmac_f32_e32 v8, 0xa7c234c4, v9
.LBB21_1032:
	s_or_b64 exec, exec, s[0:1]
	s_mov_b32 s2, 0x41c80000
	v_div_scale_f32 v9, s[0:1], v4, v4, s2
	v_div_scale_f32 v10, vcc, s2, v4, s2
	v_mov_b32_e32 v11, 0x3a50e985
	v_mov_b32_e32 v13, 0x3da9a586
	;; [unrolled: 1-line block ×9, first 2 shown]
	s_mov_b32 s6, 0xc0a00000
	v_mov_b32_e32 v23, 0xbfa429da
	v_div_scale_f32 v32, s[0:1], v2, v2, s6
	v_rcp_f32_e32 v12, v9
	v_mov_b32_e32 v24, 0xc19c6e80
	v_mov_b32_e32 v25, 0xc2ba697b
	v_mov_b32_e32 v26, 0xc331ae61
	v_fma_f32 v16, -v9, v12, 1.0
	v_fmac_f32_e32 v12, v16, v12
	v_mul_f32_e32 v16, v10, v12
	v_fma_f32 v17, -v9, v16, v10
	v_fmac_f32_e32 v16, v17, v12
	v_fma_f32 v9, -v9, v16, v10
	v_div_fmas_f32 v9, v9, v12, v16
	v_mov_b32_e32 v16, 0x3a725406
	v_mov_b32_e32 v17, 0x3daf5e2d
	;; [unrolled: 1-line block ×8, first 2 shown]
	v_div_fixup_f32 v9, v9, v4, s2
	v_fmac_f32_e32 v11, 0, v9
	v_fmac_f32_e32 v16, 0, v9
	;; [unrolled: 1-line block ×12, first 2 shown]
	v_fma_f32 v10, v9, v21, 1.0
	v_fma_f32 v11, v9, v12, 1.0
	v_div_scale_f32 v12, s[0:1], v10, v10, v11
	v_div_scale_f32 v17, vcc, v11, v10, v11
	v_mov_b32_e32 v13, 0x4280a2ba
	v_fmac_f32_e32 v22, 0, v9
	v_mov_b32_e32 v14, 0x44561b86
	v_fmac_f32_e32 v13, 0, v9
	v_fmac_f32_e32 v23, v9, v22
	v_mov_b32_e32 v15, 0x4572a66e
	v_fmac_f32_e32 v14, v9, v13
	;; [unrolled: 3-line block ×3, first 2 shown]
	v_fmac_f32_e32 v25, v9, v24
	v_mov_b32_e32 v18, 0x45b955d1
	v_rcp_f32_e32 v31, v12
	v_fmac_f32_e32 v16, v9, v15
	v_fmac_f32_e32 v26, v9, v25
	v_mov_b32_e32 v19, 0x4500e17e
	v_fma_f32 v34, -v12, v31, 1.0
	v_fmac_f32_e32 v31, v34, v31
	v_mul_f32_e32 v34, v17, v31
	v_fma_f32 v35, -v12, v34, v17
	v_fmac_f32_e32 v34, v35, v31
	v_fma_f32 v12, -v12, v34, v17
	v_div_fmas_f32 v12, v12, v31, v34
	v_fmac_f32_e32 v18, v9, v16
	v_fmac_f32_e32 v27, v9, v26
	v_mov_b32_e32 v4, 0xc0c19ac7
	v_mov_b32_e32 v20, 0x43720178
	v_div_scale_f32 v33, s[0:1], s6, v2, s6
	v_fmac_f32_e32 v19, v9, v18
	v_fmac_f32_e32 v28, v9, v27
	;; [unrolled: 1-line block ×4, first 2 shown]
	v_rcp_f32_e32 v14, v32
	s_mov_b64 vcc, s[0:1]
	v_mul_f32_e32 v21, v6, v6
	v_fmac_f32_e32 v30, 0xb94c1982, v21
	v_fma_f32 v17, -v32, v14, 1.0
	v_div_fixup_f32 v9, v12, v10, v11
	v_div_scale_f32 v11, s[2:3], v20, v20, v4
	v_div_scale_f32 v13, s[2:3], v4, v20, v4
	v_fmac_f32_e32 v14, v17, v14
	v_mul_f32_e32 v17, v33, v14
	v_fma_f32 v18, -v32, v17, v33
	v_fmac_f32_e32 v17, v18, v14
	v_fma_f32 v19, -v32, v17, v33
	v_div_fmas_f32 v14, v19, v14, v17
	s_mov_b64 vcc, s[2:3]
	v_mov_b32_e32 v10, 0xbe2aaa9d
	v_fma_f32 v12, v21, v30, v10
	v_mul_f32_e32 v12, v21, v12
	v_fmac_f32_e32 v6, v6, v12
	v_mov_b32_e32 v12, 0xbab64f3b
	v_rcp_f32_e32 v18, v11
	v_mov_b32_e32 v15, 0xbab64f3b
	v_fmac_f32_e32 v15, 0x37d75334, v21
	v_mov_b32_e32 v16, 0x3d2aabf7
	v_fma_f32 v17, -v11, v18, 1.0
	v_fmac_f32_e32 v18, v17, v18
	v_mul_f32_e32 v17, v13, v18
	v_fma_f32 v19, -v11, v17, v13
	v_fmac_f32_e32 v17, v19, v18
	v_fma_f32 v11, -v11, v17, v13
	v_div_fmas_f32 v11, v11, v18, v17
	v_fma_f32 v13, v21, v15, v16
	v_mov_b32_e32 v15, 0xbf000004
	v_fma_f32 v13, v21, v13, v15
	v_and_b32_e32 v17, 1, v5
	v_fma_f32 v13, v21, v13, 1.0
	v_cmp_eq_u32_e32 vcc, 0, v17
	s_movk_i32 s0, 0x1f8
	v_cndmask_b32_e64 v6, -v6, v13, vcc
	v_lshlrev_b32_e32 v5, 30, v5
	v_cmp_class_f32_e64 vcc, v1, s0
	v_xor_b32_e32 v1, v3, v1
	v_and_b32_e32 v5, 0x80000000, v5
	v_xor_b32_e32 v5, v5, v6
	v_mov_b32_e32 v6, 0x7fc00000
	v_cndmask_b32_e32 v5, v6, v5, vcc
	v_div_fixup_f32 v4, v11, v20, v4
	v_mul_f32_e32 v11, v8, v8
	v_fmac_f32_e32 v29, 0xb94c1982, v11
	v_fmac_f32_e32 v12, 0x37d75334, v11
	;; [unrolled: 1-line block ×4, first 2 shown]
	v_mul_f32_e32 v10, v11, v10
	v_fmac_f32_e32 v15, v11, v16
	v_fmac_f32_e32 v8, v8, v10
	v_fma_f32 v10, v11, v15, 1.0
	v_and_b32_e32 v11, 1, v7
	v_lshlrev_b32_e32 v7, 30, v7
	v_cmp_eq_u32_e64 s[0:1], 0, v11
	v_and_b32_e32 v7, 0x80000000, v7
	v_cndmask_b32_e64 v8, v10, v8, s[0:1]
	v_xor_b32_e32 v1, v1, v7
	v_xor_b32_e32 v1, v1, v8
	s_mov_b32 s0, 0xf800000
	v_cndmask_b32_e32 v1, v6, v1, vcc
	v_mul_f32_e32 v3, 0x4f800000, v2
	v_cmp_gt_f32_e32 vcc, s0, v2
	v_div_fixup_f32 v13, v14, v2, s6
	v_cndmask_b32_e32 v2, v2, v3, vcc
	v_sqrt_f32_e32 v3, v2
	v_mul_f32_e32 v4, v13, v4
	v_mul_f32_e32 v1, v4, v1
	v_fmac_f32_e32 v1, v9, v5
	v_add_u32_e32 v4, -1, v3
	v_fma_f32 v5, -v4, v3, v2
	v_cmp_ge_f32_e64 s[0:1], 0, v5
	v_add_u32_e32 v5, 1, v3
	v_cndmask_b32_e64 v4, v3, v4, s[0:1]
	v_fma_f32 v3, -v5, v3, v2
	v_cmp_lt_f32_e64 s[0:1], 0, v3
	v_cndmask_b32_e64 v3, v4, v5, s[0:1]
	v_mul_f32_e32 v4, 0x37800000, v3
	v_cndmask_b32_e32 v3, v3, v4, vcc
	v_mov_b32_e32 v4, 0x260
	v_cmp_class_f32_e32 vcc, v2, v4
	v_mul_f32_e32 v1, 0x3f4c422a, v1
	v_cndmask_b32_e32 v2, v3, v2, vcc
	v_div_scale_f32 v3, s[0:1], v2, v2, v1
	v_div_scale_f32 v4, vcc, v1, v2, v1
	v_rcp_f32_e32 v5, v3
	v_fma_f32 v6, -v3, v5, 1.0
	v_fmac_f32_e32 v5, v6, v5
	v_mul_f32_e32 v6, v4, v5
	v_fma_f32 v7, -v3, v6, v4
	v_fmac_f32_e32 v6, v7, v5
	v_fma_f32 v3, -v3, v6, v4
	v_div_fmas_f32 v3, v3, v5, v6
	v_div_fixup_f32 v1, v3, v2, v1
.LBB21_1033:
	s_or_b64 exec, exec, s[12:13]
	s_waitcnt lgkmcnt(0)
	v_mov_b32_e32 v2, s25
	s_and_b32 s16, s73, 0xff
	v_add_co_u32_e32 v3, vcc, s24, v0
	s_cmp_lt_i32 s16, 11
	v_addc_co_u32_e32 v4, vcc, 0, v2, vcc
	s_cbranch_scc1 .LBB21_1050
; %bb.1034:
	s_and_b32 s17, 0xffff, s16
	s_mov_b64 s[6:7], -1
	s_cmp_gt_i32 s17, 25
	s_mov_b64 s[0:1], s[54:55]
	s_cbranch_scc0 .LBB21_1068
; %bb.1035:
	s_mov_b64 s[2:3], -1
	s_cmp_gt_i32 s17, 28
	s_mov_b64 s[0:1], s[54:55]
	s_cbranch_scc0 .LBB21_1052
; %bb.1036:
	s_cmp_gt_i32 s17, 43
	s_mov_b64 s[0:1], s[54:55]
	s_cbranch_scc0 .LBB21_1047
; %bb.1037:
	;; [unrolled: 4-line block ×3, first 2 shown]
	s_cmp_eq_u32 s17, 46
	s_mov_b64 s[0:1], -1
	s_cbranch_scc0 .LBB21_1040
; %bb.1039:
	v_bfe_u32 v0, v1, 16, 1
	s_movk_i32 s0, 0x7fff
	v_add3_u32 v0, v1, v0, s0
	v_cmp_o_f32_e32 vcc, v1, v1
	v_mov_b32_e32 v2, 0x7fc0
	v_cndmask_b32_sdwa v0, v2, v0, vcc dst_sel:DWORD dst_unused:UNUSED_PAD src0_sel:DWORD src1_sel:WORD_1
	global_store_dword v[3:4], v0, off
	s_mov_b64 s[0:1], 0
.LBB21_1040:
	s_mov_b64 s[2:3], 0
.LBB21_1041:
	s_and_b64 vcc, exec, s[2:3]
	s_cbranch_vccz .LBB21_1046
; %bb.1042:
	s_cmp_eq_u32 s17, 44
	s_mov_b64 s[0:1], -1
	s_cbranch_scc0 .LBB21_1046
; %bb.1043:
	v_bfe_u32 v0, v1, 23, 8
	s_movk_i32 s0, 0xff
	v_cmp_ne_u32_e32 vcc, s0, v0
	v_mov_b32_e32 v2, 0xff
	s_and_saveexec_b64 s[2:3], vcc
; %bb.1044:
	s_mov_b32 s0, 0x3fffff
	v_and_b32_e32 v5, 0x400000, v1
	v_and_or_b32 v0, v1, s0, v0
	v_cmp_ne_u32_e32 vcc, 0, v5
	v_cmp_ne_u32_e64 s[0:1], 0, v0
	s_and_b64 s[0:1], vcc, s[0:1]
	v_lshrrev_b32_e32 v2, 23, v1
	v_cndmask_b32_e64 v0, 0, 1, s[0:1]
	v_add_u32_e32 v2, v2, v0
; %bb.1045:
	s_or_b64 exec, exec, s[2:3]
	s_mov_b64 s[0:1], 0
	global_store_byte v[3:4], v2, off
.LBB21_1046:
	s_mov_b64 s[2:3], 0
.LBB21_1047:
	s_and_b64 vcc, exec, s[2:3]
	s_cbranch_vccz .LBB21_1051
; %bb.1048:
	s_cmp_eq_u32 s17, 29
	s_mov_b64 s[0:1], -1
	s_cbranch_scc0 .LBB21_1051
; %bb.1049:
	v_trunc_f32_e32 v0, v1
	v_mul_f32_e32 v2, 0x2f800000, v0
	v_floor_f32_e32 v2, v2
	v_fmac_f32_e32 v0, 0xcf800000, v2
	v_cvt_u32_f32_e32 v6, v2
	v_cvt_u32_f32_e32 v5, v0
	s_mov_b64 s[0:1], 0
	s_mov_b64 s[2:3], 0
	global_store_dwordx2 v[3:4], v[5:6], off
	s_branch .LBB21_1052
.LBB21_1050:
	s_mov_b64 s[6:7], 0
	s_mov_b64 s[2:3], -1
	s_mov_b64 s[0:1], s[54:55]
	s_branch .LBB21_1109
.LBB21_1051:
	s_mov_b64 s[2:3], 0
.LBB21_1052:
	s_and_b64 vcc, exec, s[2:3]
	s_cbranch_vccz .LBB21_1067
; %bb.1053:
	s_cmp_lt_i32 s17, 27
	s_mov_b64 s[2:3], -1
	s_cbranch_scc1 .LBB21_1059
; %bb.1054:
	s_cmp_gt_i32 s17, 27
	s_cbranch_scc0 .LBB21_1056
; %bb.1055:
	v_cvt_u32_f32_e32 v0, v1
	s_mov_b64 s[2:3], 0
	global_store_dword v[3:4], v0, off
.LBB21_1056:
	s_andn2_b64 vcc, exec, s[2:3]
	s_cbranch_vccnz .LBB21_1058
; %bb.1057:
	v_cvt_u32_f32_e32 v0, v1
	global_store_short v[3:4], v0, off
.LBB21_1058:
	s_mov_b64 s[2:3], 0
.LBB21_1059:
	s_andn2_b64 vcc, exec, s[2:3]
	s_cbranch_vccnz .LBB21_1067
; %bb.1060:
	v_and_b32_e32 v0, 0x7fffffff, v1
	s_mov_b32 s2, 0x43800000
	v_cmp_gt_u32_e32 vcc, s2, v0
	v_mov_b32_e32 v2, 0x80
	s_and_saveexec_b64 s[2:3], vcc
	s_cbranch_execz .LBB21_1066
; %bb.1061:
	s_mov_b32 s6, 0x3bffffff
	v_cmp_lt_u32_e32 vcc, s6, v0
	s_mov_b64 s[6:7], 0
                                        ; implicit-def: $vgpr0
	s_and_saveexec_b64 s[12:13], vcc
	s_xor_b64 s[12:13], exec, s[12:13]
	s_cbranch_execz .LBB21_1220
; %bb.1062:
	v_bfe_u32 v0, v1, 20, 1
	s_mov_b32 s14, 0x487ffff
	v_add3_u32 v0, v1, v0, s14
	s_mov_b64 s[6:7], exec
	v_lshrrev_b32_e32 v0, 20, v0
	s_andn2_saveexec_b64 s[12:13], s[12:13]
	s_cbranch_execnz .LBB21_1221
.LBB21_1063:
	s_or_b64 exec, exec, s[12:13]
	v_mov_b32_e32 v2, 0
	s_and_saveexec_b64 s[12:13], s[6:7]
.LBB21_1064:
	v_lshrrev_b32_e32 v2, 24, v1
	s_movk_i32 s6, 0x80
	v_and_or_b32 v2, v2, s6, v0
.LBB21_1065:
	s_or_b64 exec, exec, s[12:13]
.LBB21_1066:
	s_or_b64 exec, exec, s[2:3]
	global_store_byte v[3:4], v2, off
.LBB21_1067:
	s_mov_b64 s[6:7], 0
.LBB21_1068:
	s_mov_b64 s[2:3], 0
	s_and_b64 vcc, exec, s[6:7]
	s_cbranch_vccz .LBB21_1108
; %bb.1069:
	s_cmp_gt_i32 s17, 22
	s_mov_b64 s[6:7], -1
	s_cbranch_scc0 .LBB21_1101
; %bb.1070:
	s_cmp_lt_i32 s17, 24
	s_cbranch_scc1 .LBB21_1090
; %bb.1071:
	s_cmp_gt_i32 s17, 24
	s_cbranch_scc0 .LBB21_1079
; %bb.1072:
	v_and_b32_e32 v0, 0x7fffffff, v1
	s_mov_b32 s6, 0x47800000
	v_cmp_gt_u32_e32 vcc, s6, v0
	v_mov_b32_e32 v2, 0x80
	s_and_saveexec_b64 s[6:7], vcc
	s_cbranch_execz .LBB21_1078
; %bb.1073:
	s_mov_b32 s12, 0x37ffffff
	v_cmp_lt_u32_e32 vcc, s12, v0
	s_mov_b64 s[12:13], 0
                                        ; implicit-def: $vgpr0
	s_and_saveexec_b64 s[14:15], vcc
	s_xor_b64 s[14:15], exec, s[14:15]
	s_cbranch_execz .LBB21_1361
; %bb.1074:
	v_bfe_u32 v0, v1, 21, 1
	s_mov_b32 s18, 0x88fffff
	v_add3_u32 v0, v1, v0, s18
	s_mov_b64 s[12:13], exec
	v_lshrrev_b32_e32 v0, 21, v0
	s_andn2_saveexec_b64 s[14:15], s[14:15]
	s_cbranch_execnz .LBB21_1362
.LBB21_1075:
	s_or_b64 exec, exec, s[14:15]
	v_mov_b32_e32 v2, 0
	s_and_saveexec_b64 s[14:15], s[12:13]
.LBB21_1076:
	v_lshrrev_b32_e32 v2, 24, v1
	s_movk_i32 s12, 0x80
	v_and_or_b32 v2, v2, s12, v0
.LBB21_1077:
	s_or_b64 exec, exec, s[14:15]
.LBB21_1078:
	s_or_b64 exec, exec, s[6:7]
	s_mov_b64 s[6:7], 0
	global_store_byte v[3:4], v2, off
.LBB21_1079:
	s_and_b64 vcc, exec, s[6:7]
	s_cbranch_vccz .LBB21_1089
; %bb.1080:
	v_and_b32_e32 v2, 0x7fffffff, v1
	s_mov_b32 s6, 0x43f00000
	v_cmp_gt_u32_e32 vcc, s6, v2
                                        ; implicit-def: $vgpr0
	s_and_saveexec_b64 s[6:7], vcc
	s_xor_b64 s[6:7], exec, s[6:7]
	s_cbranch_execz .LBB21_1086
; %bb.1081:
	s_mov_b32 s12, 0x3c7fffff
	v_cmp_lt_u32_e32 vcc, s12, v2
                                        ; implicit-def: $vgpr0
	s_and_saveexec_b64 s[12:13], vcc
	s_xor_b64 s[12:13], exec, s[12:13]
; %bb.1082:
	v_bfe_u32 v0, v1, 20, 1
	s_mov_b32 s14, 0x407ffff
	v_add3_u32 v0, v1, v0, s14
	v_lshrrev_b32_e32 v2, 20, v0
	v_and_b32_e32 v0, 0xff00000, v0
	s_mov_b32 s14, 0x7f00000
	v_mov_b32_e32 v5, 0x7e
	v_cmp_ne_u32_e32 vcc, s14, v0
	v_cndmask_b32_e32 v0, v5, v2, vcc
; %bb.1083:
	s_andn2_saveexec_b64 s[12:13], s[12:13]
; %bb.1084:
	s_mov_b32 s14, 0x46800000
	v_add_f32_e64 v0, |v1|, s14
; %bb.1085:
	s_or_b64 exec, exec, s[12:13]
                                        ; implicit-def: $vgpr2
.LBB21_1086:
	s_andn2_saveexec_b64 s[6:7], s[6:7]
; %bb.1087:
	s_mov_b32 s12, 0x7f800000
	v_mov_b32_e32 v0, 0x7e
	v_mov_b32_e32 v5, 0x7f
	v_cmp_lt_u32_e32 vcc, s12, v2
	v_cndmask_b32_e32 v0, v0, v5, vcc
; %bb.1088:
	s_or_b64 exec, exec, s[6:7]
	v_lshrrev_b32_e32 v2, 24, v1
	s_movk_i32 s6, 0x80
	v_and_or_b32 v0, v2, s6, v0
	global_store_byte v[3:4], v0, off
.LBB21_1089:
	s_mov_b64 s[6:7], 0
.LBB21_1090:
	s_andn2_b64 vcc, exec, s[6:7]
	s_cbranch_vccnz .LBB21_1100
; %bb.1091:
	v_and_b32_e32 v2, 0x7fffffff, v1
	s_mov_b32 s6, 0x47800000
	v_cmp_gt_u32_e32 vcc, s6, v2
                                        ; implicit-def: $vgpr0
	s_and_saveexec_b64 s[6:7], vcc
	s_xor_b64 s[6:7], exec, s[6:7]
	s_cbranch_execz .LBB21_1097
; %bb.1092:
	s_mov_b32 s12, 0x387fffff
	v_cmp_lt_u32_e32 vcc, s12, v2
                                        ; implicit-def: $vgpr0
	s_and_saveexec_b64 s[12:13], vcc
	s_xor_b64 s[12:13], exec, s[12:13]
; %bb.1093:
	v_bfe_u32 v0, v1, 21, 1
	s_mov_b32 s14, 0x80fffff
	v_add3_u32 v0, v1, v0, s14
	v_lshrrev_b32_e32 v0, 21, v0
; %bb.1094:
	s_andn2_saveexec_b64 s[12:13], s[12:13]
; %bb.1095:
	s_mov_b32 s14, 0x43000000
	v_add_f32_e64 v0, |v1|, s14
; %bb.1096:
	s_or_b64 exec, exec, s[12:13]
                                        ; implicit-def: $vgpr2
.LBB21_1097:
	s_andn2_saveexec_b64 s[6:7], s[6:7]
; %bb.1098:
	s_mov_b32 s12, 0x7f800000
	v_mov_b32_e32 v0, 0x7c
	v_mov_b32_e32 v5, 0x7f
	v_cmp_lt_u32_e32 vcc, s12, v2
	v_cndmask_b32_e32 v0, v0, v5, vcc
; %bb.1099:
	s_or_b64 exec, exec, s[6:7]
	v_lshrrev_b32_e32 v2, 24, v1
	s_movk_i32 s6, 0x80
	v_and_or_b32 v0, v2, s6, v0
	global_store_byte v[3:4], v0, off
.LBB21_1100:
	s_mov_b64 s[6:7], 0
.LBB21_1101:
	s_andn2_b64 vcc, exec, s[6:7]
	s_mov_b64 s[6:7], 0
	s_cbranch_vccnz .LBB21_1109
; %bb.1102:
	s_cmp_gt_i32 s17, 14
	s_mov_b64 s[12:13], -1
	s_cbranch_scc0 .LBB21_1106
; %bb.1103:
	s_cmp_eq_u32 s17, 15
	s_mov_b64 s[0:1], -1
	s_cbranch_scc0 .LBB21_1105
; %bb.1104:
	v_bfe_u32 v0, v1, 16, 1
	s_movk_i32 s0, 0x7fff
	v_add3_u32 v0, v1, v0, s0
	v_cmp_o_f32_e32 vcc, v1, v1
	v_mov_b32_e32 v2, 0x7fc0
	v_cndmask_b32_sdwa v0, v2, v0, vcc dst_sel:DWORD dst_unused:UNUSED_PAD src0_sel:DWORD src1_sel:WORD_1
	global_store_short v[3:4], v0, off
	s_mov_b64 s[0:1], 0
.LBB21_1105:
	s_mov_b64 s[12:13], 0
.LBB21_1106:
	s_and_b64 vcc, exec, s[12:13]
	s_cbranch_vccz .LBB21_1109
; %bb.1107:
	s_cmp_lg_u32 s17, 11
	s_cselect_b64 s[12:13], -1, 0
	s_andn2_b64 s[0:1], s[0:1], exec
	s_and_b64 s[12:13], s[12:13], exec
	s_mov_b64 s[6:7], -1
	s_or_b64 s[0:1], s[0:1], s[12:13]
	s_branch .LBB21_1109
.LBB21_1108:
	s_mov_b64 s[6:7], 0
.LBB21_1109:
	s_andn2_b64 s[12:13], s[54:55], exec
	s_and_b64 s[0:1], s[0:1], exec
	s_and_b64 s[2:3], s[2:3], exec
	;; [unrolled: 1-line block ×3, first 2 shown]
	s_or_b64 s[54:55], s[12:13], s[0:1]
	s_or_b64 exec, exec, s[10:11]
	s_and_saveexec_b64 s[0:1], s[54:55]
	s_cbranch_execz .LBB21_1024
.LBB21_1110:
	s_or_b64 s[8:9], s[8:9], exec
	s_andn2_b64 s[6:7], s[6:7], exec
	s_trap 2
	s_or_b64 exec, exec, s[0:1]
	s_and_saveexec_b64 s[0:1], s[6:7]
	s_xor_b64 s[0:1], exec, s[0:1]
	s_cbranch_execnz .LBB21_1025
.LBB21_1111:
	s_or_b64 exec, exec, s[0:1]
	s_and_saveexec_b64 s[0:1], s[2:3]
	s_xor_b64 s[0:1], exec, s[0:1]
	s_cbranch_execz .LBB21_1149
.LBB21_1112:
	s_sext_i32_i16 s6, s16
	s_cmp_lt_i32 s6, 5
	s_mov_b64 s[2:3], -1
	s_cbranch_scc1 .LBB21_1133
; %bb.1113:
	s_cmp_lt_i32 s6, 8
	s_cbranch_scc1 .LBB21_1123
; %bb.1114:
	s_cmp_lt_i32 s6, 9
	s_cbranch_scc1 .LBB21_1120
; %bb.1115:
	s_cmp_gt_i32 s6, 9
	s_cbranch_scc0 .LBB21_1117
; %bb.1116:
	s_waitcnt vmcnt(0)
	v_cvt_f64_f32_e32 v[5:6], v1
	v_mov_b32_e32 v7, 0
	v_mov_b32_e32 v8, v7
	s_mov_b64 s[2:3], 0
	global_store_dwordx4 v[3:4], v[5:8], off
.LBB21_1117:
	s_andn2_b64 vcc, exec, s[2:3]
	s_cbranch_vccnz .LBB21_1119
; %bb.1118:
	v_mov_b32_e32 v2, 0
	s_waitcnt vmcnt(0)
	global_store_dwordx2 v[3:4], v[1:2], off
.LBB21_1119:
	s_mov_b64 s[2:3], 0
.LBB21_1120:
	s_andn2_b64 vcc, exec, s[2:3]
	s_cbranch_vccnz .LBB21_1122
; %bb.1121:
	v_cvt_f16_f32_e32 v0, v1
	s_waitcnt vmcnt(0)
	global_store_dword v[3:4], v0, off
.LBB21_1122:
	s_mov_b64 s[2:3], 0
.LBB21_1123:
	s_andn2_b64 vcc, exec, s[2:3]
	s_cbranch_vccnz .LBB21_1132
; %bb.1124:
	s_sext_i32_i16 s6, s16
	s_cmp_lt_i32 s6, 6
	s_mov_b64 s[2:3], -1
	s_cbranch_scc1 .LBB21_1130
; %bb.1125:
	s_cmp_gt_i32 s6, 6
	s_cbranch_scc0 .LBB21_1127
; %bb.1126:
	s_waitcnt vmcnt(0)
	v_cvt_f64_f32_e32 v[5:6], v1
	s_mov_b64 s[2:3], 0
	global_store_dwordx2 v[3:4], v[5:6], off
.LBB21_1127:
	s_andn2_b64 vcc, exec, s[2:3]
	s_cbranch_vccnz .LBB21_1129
; %bb.1128:
	s_waitcnt vmcnt(0)
	global_store_dword v[3:4], v1, off
.LBB21_1129:
	s_mov_b64 s[2:3], 0
.LBB21_1130:
	s_andn2_b64 vcc, exec, s[2:3]
	s_cbranch_vccnz .LBB21_1132
; %bb.1131:
	v_cvt_f16_f32_e32 v0, v1
	s_waitcnt vmcnt(0)
	global_store_short v[3:4], v0, off
.LBB21_1132:
	s_mov_b64 s[2:3], 0
.LBB21_1133:
	s_andn2_b64 vcc, exec, s[2:3]
	s_cbranch_vccnz .LBB21_1149
; %bb.1134:
	s_sext_i32_i16 s6, s16
	s_cmp_lt_i32 s6, 2
	s_mov_b64 s[2:3], -1
	s_cbranch_scc1 .LBB21_1144
; %bb.1135:
	s_cmp_lt_i32 s6, 3
	s_cbranch_scc1 .LBB21_1141
; %bb.1136:
	s_cmp_gt_i32 s6, 3
	s_cbranch_scc0 .LBB21_1138
; %bb.1137:
	v_trunc_f32_e32 v0, v1
	s_mov_b32 s2, 0x2f800000
	v_mul_f32_e64 v2, |v0|, s2
	v_floor_f32_e32 v2, v2
	s_mov_b32 s2, 0xcf800000
	s_waitcnt vmcnt(0)
	v_cvt_u32_f32_e32 v5, v2
	v_fma_f32 v2, v2, s2, |v0|
	v_cvt_u32_f32_e32 v2, v2
	v_ashrrev_i32_e32 v0, 31, v0
	v_xor_b32_e32 v6, v5, v0
	s_mov_b64 s[2:3], 0
	v_xor_b32_e32 v2, v2, v0
	v_sub_co_u32_e32 v5, vcc, v2, v0
	v_subb_co_u32_e32 v6, vcc, v6, v0, vcc
	global_store_dwordx2 v[3:4], v[5:6], off
.LBB21_1138:
	s_andn2_b64 vcc, exec, s[2:3]
	s_cbranch_vccnz .LBB21_1140
; %bb.1139:
	v_cvt_i32_f32_e32 v0, v1
	s_waitcnt vmcnt(0)
	global_store_dword v[3:4], v0, off
.LBB21_1140:
	s_mov_b64 s[2:3], 0
.LBB21_1141:
	s_andn2_b64 vcc, exec, s[2:3]
	s_cbranch_vccnz .LBB21_1143
; %bb.1142:
	v_cvt_i32_f32_e32 v0, v1
	s_waitcnt vmcnt(0)
	global_store_short v[3:4], v0, off
.LBB21_1143:
	s_mov_b64 s[2:3], 0
.LBB21_1144:
	s_andn2_b64 vcc, exec, s[2:3]
	s_cbranch_vccnz .LBB21_1149
; %bb.1145:
	s_sext_i32_i16 s2, s16
	s_cmp_gt_i32 s2, 0
	s_mov_b64 s[2:3], -1
	s_cbranch_scc0 .LBB21_1147
; %bb.1146:
	v_cvt_i32_f32_e32 v0, v1
	s_mov_b64 s[2:3], 0
	s_waitcnt vmcnt(0)
	global_store_byte v[3:4], v0, off
.LBB21_1147:
	s_andn2_b64 vcc, exec, s[2:3]
	s_cbranch_vccnz .LBB21_1149
; %bb.1148:
	v_trunc_f32_e32 v0, v1
	s_mov_b32 s2, 0x2f800000
	v_mul_f32_e64 v1, |v0|, s2
	v_floor_f32_e32 v1, v1
	s_mov_b32 s2, 0xcf800000
	v_fma_f32 v1, v1, s2, |v0|
	v_cvt_u32_f32_e32 v1, v1
	v_ashrrev_i32_e32 v0, 31, v0
	v_xor_b32_e32 v1, v1, v0
	v_sub_u32_e32 v0, v1, v0
	s_waitcnt vmcnt(0)
	global_store_byte v[3:4], v0, off
.LBB21_1149:
	s_or_b64 exec, exec, s[0:1]
	s_and_b64 s[6:7], s[8:9], exec
                                        ; implicit-def: $vgpr15
                                        ; implicit-def: $vgpr8
.LBB21_1150:
	s_waitcnt lgkmcnt(0)
	s_or_saveexec_b64 s[28:29], s[44:45]
	s_mov_b64 s[0:1], 0
                                        ; implicit-def: $vgpr0_vgpr1
                                        ; implicit-def: $sgpr16
                                        ; implicit-def: $vgpr7
	s_xor_b64 exec, exec, s[28:29]
	s_cbranch_execz .LBB21_1779
; %bb.1151:
	v_cndmask_b32_e64 v0, 0, 1, s[42:43]
	v_cmp_ne_u32_e64 s[0:1], 1, v0
	s_andn2_b64 vcc, exec, s[42:43]
	s_cbranch_vccnz .LBB21_1157
; %bb.1152:
	s_cmp_lg_u32 s33, 0
	s_mov_b32 s36, 0
	s_cbranch_scc0 .LBB21_1158
; %bb.1153:
	s_min_u32 s37, s72, 15
	s_add_i32 s37, s37, 1
	s_cmp_eq_u32 s72, 2
	s_cbranch_scc1 .LBB21_1159
; %bb.1154:
	s_and_b32 s36, s37, 28
	s_add_u32 s2, s34, 0xc4
	s_addc_u32 s3, s35, 0
	v_mov_b32_e32 v13, 0
	s_mov_b32 s38, 0
	s_mov_b64 s[30:31], s[34:35]
	v_mov_b32_e32 v6, 0
	v_mov_b32_e32 v0, v8
.LBB21_1155:                            ; =>This Inner Loop Header: Depth=1
	s_load_dwordx8 s[16:23], s[30:31], 0x4
	s_load_dwordx4 s[24:27], s[30:31], 0x24
	s_load_dwordx8 s[8:15], s[2:3], 0x0
	s_add_u32 s30, s30, 48
	s_addc_u32 s31, s31, 0
	s_waitcnt lgkmcnt(0)
	v_mul_hi_u32 v1, s17, v0
	s_add_i32 s38, s38, 4
	s_add_u32 s2, s2, 32
	s_addc_u32 s3, s3, 0
	v_add_u32_e32 v1, v0, v1
	v_lshrrev_b32_e32 v1, s18, v1
	v_mul_lo_u32 v2, v1, s16
	s_waitcnt vmcnt(0)
	v_mul_hi_u32 v3, s20, v1
	s_cmp_lg_u32 s36, s38
	v_sub_u32_e32 v0, v0, v2
	v_add_u32_e32 v2, v1, v3
	v_mul_lo_u32 v3, v0, s8
	v_mul_lo_u32 v4, v0, s9
	v_lshrrev_b32_e32 v0, s21, v2
	v_mul_lo_u32 v2, v0, s19
	v_mul_hi_u32 v5, s23, v0
	v_sub_u32_e32 v1, v1, v2
	v_add_u32_e32 v2, v0, v5
	v_lshrrev_b32_e32 v2, s24, v2
	v_mul_hi_u32 v7, s26, v2
	v_mul_lo_u32 v9, v2, s22
	v_mul_lo_u32 v5, v1, s10
	;; [unrolled: 1-line block ×3, first 2 shown]
	v_sub_u32_e32 v9, v0, v9
	v_add_u32_e32 v0, v2, v7
	v_lshrrev_b32_e32 v0, s27, v0
	v_mul_lo_u32 v7, v0, s25
	v_mul_lo_u32 v10, v9, s12
	;; [unrolled: 1-line block ×3, first 2 shown]
	v_add3_u32 v3, v3, v6, v5
	v_sub_u32_e32 v2, v2, v7
	v_mul_lo_u32 v7, v2, s14
	v_mul_lo_u32 v2, v2, s15
	v_add3_u32 v1, v4, v13, v1
	v_add3_u32 v6, v10, v3, v7
	;; [unrolled: 1-line block ×3, first 2 shown]
	s_cbranch_scc1 .LBB21_1155
; %bb.1156:
	s_and_b32 s10, s37, 3
	s_cmp_eq_u32 s10, 0
	s_cbranch_scc0 .LBB21_1160
	s_branch .LBB21_1162
.LBB21_1157:
                                        ; implicit-def: $vgpr6
                                        ; implicit-def: $vgpr13
	s_branch .LBB21_1163
.LBB21_1158:
	v_mov_b32_e32 v6, 0
	v_mov_b32_e32 v13, 0
	s_branch .LBB21_1162
.LBB21_1159:
	v_mov_b32_e32 v6, 0
	v_mov_b32_e32 v13, 0
	;; [unrolled: 1-line block ×3, first 2 shown]
	s_and_b32 s10, s37, 3
	s_cmp_eq_u32 s10, 0
	s_cbranch_scc1 .LBB21_1162
.LBB21_1160:
	s_lshl_b32 s2, s36, 3
	s_add_u32 s2, s34, s2
	s_addc_u32 s3, s35, 0
	s_add_u32 s2, s2, 0xc4
	s_addc_u32 s3, s3, 0
	s_mul_i32 s8, s36, 12
	s_add_u32 s8, s34, s8
	s_addc_u32 s9, s35, 0
.LBB21_1161:                            ; =>This Inner Loop Header: Depth=1
	s_load_dwordx2 s[12:13], s[8:9], 0x4
	s_load_dword s11, s[8:9], 0xc
	s_load_dwordx2 s[14:15], s[2:3], 0x0
	s_add_u32 s8, s8, 12
	s_addc_u32 s9, s9, 0
	s_waitcnt lgkmcnt(0)
	v_mul_hi_u32 v1, s13, v0
	s_add_u32 s2, s2, 8
	s_addc_u32 s3, s3, 0
	s_add_i32 s10, s10, -1
	v_add_u32_e32 v1, v0, v1
	v_lshrrev_b32_e32 v1, s11, v1
	v_mul_lo_u32 v2, v1, s12
	s_cmp_lg_u32 s10, 0
	v_sub_u32_e32 v0, v0, v2
	v_mad_u64_u32 v[6:7], s[12:13], v0, s14, v[6:7]
	v_mad_u64_u32 v[13:14], s[12:13], v0, s15, v[13:14]
	v_mov_b32_e32 v0, v1
	s_cbranch_scc1 .LBB21_1161
.LBB21_1162:
	s_cbranch_execnz .LBB21_1165
.LBB21_1163:
	s_load_dwordx4 s[8:11], s[34:35], 0x4
	s_load_dwordx2 s[2:3], s[34:35], 0xc4
	s_cmp_lt_u32 s33, 2
	s_waitcnt lgkmcnt(0)
	v_mul_hi_u32 v0, s9, v8
	v_add_u32_e32 v0, v8, v0
	v_lshrrev_b32_e32 v0, s10, v0
	v_mul_lo_u32 v1, v0, s8
	v_sub_u32_e32 v1, v8, v1
	v_mul_lo_u32 v6, v1, s2
	v_mul_lo_u32 v13, v1, s3
	s_cbranch_scc1 .LBB21_1165
; %bb.1164:
	s_load_dwordx4 s[8:11], s[34:35], 0x10
	s_load_dwordx2 s[2:3], s[34:35], 0xcc
	s_waitcnt lgkmcnt(0)
	v_mul_hi_u32 v1, s9, v0
	v_add_u32_e32 v1, v0, v1
	v_lshrrev_b32_e32 v1, s10, v1
	v_mul_lo_u32 v1, v1, s8
	v_sub_u32_e32 v0, v0, v1
	v_mad_u64_u32 v[6:7], s[8:9], v0, s2, v[6:7]
	v_mad_u64_u32 v[13:14], s[2:3], v0, s3, v[13:14]
.LBB21_1165:
	s_and_b64 vcc, exec, s[0:1]
	v_add_u32_e32 v0, 0x80, v8
	s_cbranch_vccnz .LBB21_1171
; %bb.1166:
	s_cmp_lg_u32 s33, 0
	s_mov_b32 s36, 0
	s_cbranch_scc0 .LBB21_1172
; %bb.1167:
	s_min_u32 s37, s72, 15
	s_add_i32 s37, s37, 1
	s_cmp_eq_u32 s72, 2
	s_cbranch_scc1 .LBB21_1173
; %bb.1168:
	s_and_b32 s36, s37, 28
	s_add_u32 s2, s34, 0xc4
	s_addc_u32 s3, s35, 0
	v_mov_b32_e32 v11, 0
	s_mov_b32 s38, 0
	s_mov_b64 s[30:31], s[34:35]
	v_mov_b32_e32 v4, 0
	v_mov_b32_e32 v1, v0
.LBB21_1169:                            ; =>This Inner Loop Header: Depth=1
	s_load_dwordx8 s[16:23], s[30:31], 0x4
	s_load_dwordx4 s[24:27], s[30:31], 0x24
	s_load_dwordx8 s[8:15], s[2:3], 0x0
	s_add_u32 s30, s30, 48
	s_addc_u32 s31, s31, 0
	s_waitcnt lgkmcnt(0)
	v_mul_hi_u32 v2, s17, v1
	s_add_i32 s38, s38, 4
	s_add_u32 s2, s2, 32
	s_addc_u32 s3, s3, 0
	v_add_u32_e32 v2, v1, v2
	v_lshrrev_b32_e32 v2, s18, v2
	s_waitcnt vmcnt(0)
	v_mul_lo_u32 v3, v2, s16
	v_mul_hi_u32 v5, s20, v2
	s_cmp_lg_u32 s36, s38
	v_sub_u32_e32 v1, v1, v3
	v_add_u32_e32 v3, v2, v5
	v_mul_lo_u32 v5, v1, s8
	v_mul_lo_u32 v7, v1, s9
	v_lshrrev_b32_e32 v1, s21, v3
	v_mul_lo_u32 v3, v1, s19
	v_mul_hi_u32 v9, s23, v1
	v_sub_u32_e32 v2, v2, v3
	v_add_u32_e32 v3, v1, v9
	v_lshrrev_b32_e32 v3, s24, v3
	v_mul_hi_u32 v10, s26, v3
	v_mul_lo_u32 v12, v3, s22
	v_mul_lo_u32 v9, v2, s10
	;; [unrolled: 1-line block ×3, first 2 shown]
	v_sub_u32_e32 v12, v1, v12
	v_add_u32_e32 v1, v3, v10
	v_lshrrev_b32_e32 v1, s27, v1
	v_mul_lo_u32 v10, v1, s25
	v_mul_lo_u32 v14, v12, s12
	;; [unrolled: 1-line block ×3, first 2 shown]
	v_add3_u32 v4, v5, v4, v9
	v_sub_u32_e32 v3, v3, v10
	v_mul_lo_u32 v10, v3, s14
	v_mul_lo_u32 v3, v3, s15
	v_add3_u32 v2, v7, v11, v2
	v_add3_u32 v4, v14, v4, v10
	;; [unrolled: 1-line block ×3, first 2 shown]
	s_cbranch_scc1 .LBB21_1169
; %bb.1170:
	s_and_b32 s10, s37, 3
	s_cmp_eq_u32 s10, 0
	s_cbranch_scc0 .LBB21_1174
	s_branch .LBB21_1176
.LBB21_1171:
                                        ; implicit-def: $vgpr4
                                        ; implicit-def: $vgpr11
	s_branch .LBB21_1177
.LBB21_1172:
	v_mov_b32_e32 v4, 0
	v_mov_b32_e32 v11, 0
	s_branch .LBB21_1176
.LBB21_1173:
	v_mov_b32_e32 v4, 0
	v_mov_b32_e32 v11, 0
	;; [unrolled: 1-line block ×3, first 2 shown]
	s_and_b32 s10, s37, 3
	s_cmp_eq_u32 s10, 0
	s_cbranch_scc1 .LBB21_1176
.LBB21_1174:
	s_lshl_b32 s2, s36, 3
	s_add_u32 s2, s34, s2
	s_addc_u32 s3, s35, 0
	s_add_u32 s2, s2, 0xc4
	s_addc_u32 s3, s3, 0
	s_mul_i32 s8, s36, 12
	s_add_u32 s8, s34, s8
	s_addc_u32 s9, s35, 0
.LBB21_1175:                            ; =>This Inner Loop Header: Depth=1
	s_load_dwordx2 s[12:13], s[8:9], 0x4
	s_load_dword s11, s[8:9], 0xc
	s_load_dwordx2 s[14:15], s[2:3], 0x0
	s_add_u32 s8, s8, 12
	s_addc_u32 s9, s9, 0
	s_waitcnt lgkmcnt(0)
	v_mul_hi_u32 v2, s13, v1
	s_add_u32 s2, s2, 8
	s_addc_u32 s3, s3, 0
	s_add_i32 s10, s10, -1
	v_add_u32_e32 v2, v1, v2
	v_lshrrev_b32_e32 v2, s11, v2
	s_waitcnt vmcnt(0)
	v_mul_lo_u32 v3, v2, s12
	s_cmp_lg_u32 s10, 0
	v_sub_u32_e32 v1, v1, v3
	v_mad_u64_u32 v[4:5], s[12:13], v1, s14, v[4:5]
	v_mad_u64_u32 v[11:12], s[12:13], v1, s15, v[11:12]
	v_mov_b32_e32 v1, v2
	s_cbranch_scc1 .LBB21_1175
.LBB21_1176:
	s_cbranch_execnz .LBB21_1179
.LBB21_1177:
	s_load_dwordx4 s[8:11], s[34:35], 0x4
	s_load_dwordx2 s[2:3], s[34:35], 0xc4
	s_cmp_lt_u32 s33, 2
	s_waitcnt lgkmcnt(0)
	v_mul_hi_u32 v1, s9, v0
	v_add_u32_e32 v1, v0, v1
	v_lshrrev_b32_e32 v1, s10, v1
	v_mul_lo_u32 v2, v1, s8
	v_sub_u32_e32 v0, v0, v2
	v_mul_lo_u32 v4, v0, s2
	v_mul_lo_u32 v11, v0, s3
	s_cbranch_scc1 .LBB21_1179
; %bb.1178:
	s_load_dwordx4 s[8:11], s[34:35], 0x10
	s_load_dwordx2 s[2:3], s[34:35], 0xcc
	s_waitcnt lgkmcnt(0)
	v_mul_hi_u32 v0, s9, v1
	v_add_u32_e32 v0, v1, v0
	v_lshrrev_b32_e32 v0, s10, v0
	v_mul_lo_u32 v0, v0, s8
	v_sub_u32_e32 v0, v1, v0
	s_waitcnt vmcnt(0)
	v_mad_u64_u32 v[4:5], s[8:9], v0, s2, v[4:5]
	v_mad_u64_u32 v[11:12], s[2:3], v0, s3, v[11:12]
.LBB21_1179:
	s_and_b64 vcc, exec, s[0:1]
	v_add_u32_e32 v0, 0x100, v8
	s_cbranch_vccnz .LBB21_1185
; %bb.1180:
	s_cmp_lg_u32 s33, 0
	s_mov_b32 s36, 0
	s_cbranch_scc0 .LBB21_1186
; %bb.1181:
	s_min_u32 s37, s72, 15
	s_add_i32 s37, s37, 1
	s_cmp_eq_u32 s72, 2
	s_cbranch_scc1 .LBB21_1187
; %bb.1182:
	s_and_b32 s36, s37, 28
	s_add_u32 s2, s34, 0xc4
	s_addc_u32 s3, s35, 0
	v_mov_b32_e32 v9, 0
	s_mov_b32 s38, 0
	s_mov_b64 s[30:31], s[34:35]
	v_mov_b32_e32 v2, 0
	v_mov_b32_e32 v1, v0
.LBB21_1183:                            ; =>This Inner Loop Header: Depth=1
	s_load_dwordx8 s[16:23], s[30:31], 0x4
	s_load_dwordx4 s[24:27], s[30:31], 0x24
	s_load_dwordx8 s[8:15], s[2:3], 0x0
	s_add_u32 s30, s30, 48
	s_addc_u32 s31, s31, 0
	s_waitcnt vmcnt(0) lgkmcnt(0)
	v_mul_hi_u32 v3, s17, v1
	s_add_i32 s38, s38, 4
	s_add_u32 s2, s2, 32
	s_addc_u32 s3, s3, 0
	v_add_u32_e32 v3, v1, v3
	v_lshrrev_b32_e32 v3, s18, v3
	v_mul_lo_u32 v5, v3, s16
	v_mul_hi_u32 v7, s20, v3
	s_cmp_lg_u32 s36, s38
	v_sub_u32_e32 v1, v1, v5
	v_add_u32_e32 v5, v3, v7
	v_mul_lo_u32 v7, v1, s8
	v_mul_lo_u32 v8, v1, s9
	v_lshrrev_b32_e32 v1, s21, v5
	v_mul_lo_u32 v5, v1, s19
	v_mul_hi_u32 v10, s23, v1
	v_sub_u32_e32 v3, v3, v5
	v_add_u32_e32 v5, v1, v10
	v_lshrrev_b32_e32 v5, s24, v5
	v_mul_hi_u32 v12, s26, v5
	v_mul_lo_u32 v14, v5, s22
	v_mul_lo_u32 v10, v3, s10
	;; [unrolled: 1-line block ×3, first 2 shown]
	v_sub_u32_e32 v14, v1, v14
	v_add_u32_e32 v1, v5, v12
	v_lshrrev_b32_e32 v1, s27, v1
	v_mul_lo_u32 v12, v1, s25
	v_mul_lo_u32 v16, v14, s12
	;; [unrolled: 1-line block ×3, first 2 shown]
	v_add3_u32 v2, v7, v2, v10
	v_sub_u32_e32 v5, v5, v12
	v_mul_lo_u32 v12, v5, s14
	v_mul_lo_u32 v5, v5, s15
	v_add3_u32 v3, v8, v9, v3
	v_add3_u32 v2, v16, v2, v12
	;; [unrolled: 1-line block ×3, first 2 shown]
	s_cbranch_scc1 .LBB21_1183
; %bb.1184:
	s_and_b32 s10, s37, 3
	s_cmp_eq_u32 s10, 0
	s_cbranch_scc0 .LBB21_1188
	s_branch .LBB21_1190
.LBB21_1185:
                                        ; implicit-def: $vgpr2
                                        ; implicit-def: $vgpr9
	s_branch .LBB21_1191
.LBB21_1186:
	v_mov_b32_e32 v2, 0
	v_mov_b32_e32 v9, 0
	s_branch .LBB21_1190
.LBB21_1187:
	v_mov_b32_e32 v2, 0
	v_mov_b32_e32 v9, 0
	v_mov_b32_e32 v1, v0
	s_and_b32 s10, s37, 3
	s_cmp_eq_u32 s10, 0
	s_cbranch_scc1 .LBB21_1190
.LBB21_1188:
	s_lshl_b32 s2, s36, 3
	s_add_u32 s2, s34, s2
	s_addc_u32 s3, s35, 0
	s_add_u32 s2, s2, 0xc4
	s_addc_u32 s3, s3, 0
	s_mul_i32 s8, s36, 12
	s_add_u32 s8, s34, s8
	s_addc_u32 s9, s35, 0
.LBB21_1189:                            ; =>This Inner Loop Header: Depth=1
	s_load_dwordx2 s[12:13], s[8:9], 0x4
	s_load_dword s11, s[8:9], 0xc
	s_load_dwordx2 s[14:15], s[2:3], 0x0
	s_add_u32 s8, s8, 12
	s_addc_u32 s9, s9, 0
	s_waitcnt vmcnt(0) lgkmcnt(0)
	v_mul_hi_u32 v3, s13, v1
	s_add_u32 s2, s2, 8
	s_addc_u32 s3, s3, 0
	s_add_i32 s10, s10, -1
	v_add_u32_e32 v3, v1, v3
	v_lshrrev_b32_e32 v5, s11, v3
	v_mul_lo_u32 v3, v5, s12
	s_cmp_lg_u32 s10, 0
	v_sub_u32_e32 v1, v1, v3
	v_mad_u64_u32 v[2:3], s[12:13], v1, s14, v[2:3]
	v_mad_u64_u32 v[9:10], s[12:13], v1, s15, v[9:10]
	v_mov_b32_e32 v1, v5
	s_cbranch_scc1 .LBB21_1189
.LBB21_1190:
	s_cbranch_execnz .LBB21_1193
.LBB21_1191:
	s_load_dwordx4 s[8:11], s[34:35], 0x4
	s_load_dwordx2 s[2:3], s[34:35], 0xc4
	s_cmp_lt_u32 s33, 2
	s_waitcnt lgkmcnt(0)
	v_mul_hi_u32 v1, s9, v0
	v_add_u32_e32 v1, v0, v1
	v_lshrrev_b32_e32 v1, s10, v1
	v_mul_lo_u32 v2, v1, s8
	v_sub_u32_e32 v0, v0, v2
	v_mul_lo_u32 v2, v0, s2
	v_mul_lo_u32 v9, v0, s3
	s_cbranch_scc1 .LBB21_1193
; %bb.1192:
	s_load_dwordx4 s[8:11], s[34:35], 0x10
	s_load_dwordx2 s[2:3], s[34:35], 0xcc
	s_waitcnt lgkmcnt(0)
	v_mul_hi_u32 v0, s9, v1
	v_add_u32_e32 v0, v1, v0
	v_lshrrev_b32_e32 v0, s10, v0
	v_mul_lo_u32 v0, v0, s8
	v_sub_u32_e32 v0, v1, v0
	s_waitcnt vmcnt(0)
	v_mad_u64_u32 v[2:3], s[8:9], v0, s2, v[2:3]
	v_mad_u64_u32 v[9:10], s[2:3], v0, s3, v[9:10]
.LBB21_1193:
	s_and_b64 vcc, exec, s[0:1]
	s_cbranch_vccnz .LBB21_1199
; %bb.1194:
	s_cmp_lg_u32 s33, 0
	s_mov_b32 s30, 0
	s_cbranch_scc0 .LBB21_1200
; %bb.1195:
	s_min_u32 s31, s72, 15
	s_add_i32 s31, s31, 1
	s_cmp_eq_u32 s72, 2
	s_cbranch_scc1 .LBB21_1201
; %bb.1196:
	s_and_b32 s30, s31, 28
	s_add_u32 s24, s34, 0xc4
	s_addc_u32 s25, s35, 0
	v_mov_b32_e32 v7, 0
	s_mov_b32 s36, 0
	s_mov_b64 s[26:27], s[34:35]
	v_mov_b32_e32 v0, 0
	v_mov_b32_e32 v1, v15
.LBB21_1197:                            ; =>This Inner Loop Header: Depth=1
	s_load_dwordx8 s[16:23], s[26:27], 0x4
	s_load_dwordx4 s[0:3], s[26:27], 0x24
	s_load_dwordx8 s[8:15], s[24:25], 0x0
	s_add_u32 s26, s26, 48
	s_addc_u32 s27, s27, 0
	s_waitcnt vmcnt(0) lgkmcnt(0)
	v_mul_hi_u32 v3, s17, v1
	s_add_i32 s36, s36, 4
	s_add_u32 s24, s24, 32
	s_addc_u32 s25, s25, 0
	v_add_u32_e32 v3, v1, v3
	v_lshrrev_b32_e32 v3, s18, v3
	v_mul_lo_u32 v5, v3, s16
	v_mul_hi_u32 v8, s20, v3
	s_cmp_lg_u32 s30, s36
	v_sub_u32_e32 v1, v1, v5
	v_add_u32_e32 v5, v3, v8
	v_mul_lo_u32 v8, v1, s8
	v_mul_lo_u32 v10, v1, s9
	v_lshrrev_b32_e32 v1, s21, v5
	v_mul_lo_u32 v5, v1, s19
	v_mul_hi_u32 v12, s23, v1
	v_sub_u32_e32 v3, v3, v5
	v_add_u32_e32 v5, v1, v12
	v_lshrrev_b32_e32 v5, s0, v5
	v_mul_hi_u32 v14, s2, v5
	v_mul_lo_u32 v16, v5, s22
	v_mul_lo_u32 v12, v3, s10
	;; [unrolled: 1-line block ×3, first 2 shown]
	v_sub_u32_e32 v16, v1, v16
	v_add_u32_e32 v1, v5, v14
	v_lshrrev_b32_e32 v1, s3, v1
	v_mul_lo_u32 v14, v1, s1
	v_mul_lo_u32 v17, v16, s12
	;; [unrolled: 1-line block ×3, first 2 shown]
	v_add3_u32 v0, v8, v0, v12
	v_sub_u32_e32 v5, v5, v14
	v_mul_lo_u32 v14, v5, s14
	v_mul_lo_u32 v5, v5, s15
	v_add3_u32 v3, v10, v7, v3
	v_add3_u32 v0, v17, v0, v14
	;; [unrolled: 1-line block ×3, first 2 shown]
	s_cbranch_scc1 .LBB21_1197
; %bb.1198:
	s_and_b32 s8, s31, 3
	s_cmp_eq_u32 s8, 0
	s_cbranch_scc0 .LBB21_1202
	s_branch .LBB21_1204
.LBB21_1199:
                                        ; implicit-def: $vgpr0
                                        ; implicit-def: $vgpr7
	s_branch .LBB21_1205
.LBB21_1200:
	v_mov_b32_e32 v0, 0
	v_mov_b32_e32 v7, 0
	s_branch .LBB21_1204
.LBB21_1201:
	v_mov_b32_e32 v0, 0
	v_mov_b32_e32 v7, 0
	;; [unrolled: 1-line block ×3, first 2 shown]
	s_and_b32 s8, s31, 3
	s_cmp_eq_u32 s8, 0
	s_cbranch_scc1 .LBB21_1204
.LBB21_1202:
	s_lshl_b32 s0, s30, 3
	s_add_u32 s0, s34, s0
	s_addc_u32 s1, s35, 0
	s_add_u32 s0, s0, 0xc4
	s_addc_u32 s1, s1, 0
	s_mul_i32 s2, s30, 12
	s_add_u32 s2, s34, s2
	s_addc_u32 s3, s35, 0
.LBB21_1203:                            ; =>This Inner Loop Header: Depth=1
	s_load_dwordx2 s[10:11], s[2:3], 0x4
	s_load_dword s9, s[2:3], 0xc
	s_load_dwordx2 s[12:13], s[0:1], 0x0
	s_add_u32 s2, s2, 12
	s_addc_u32 s3, s3, 0
	s_waitcnt vmcnt(0) lgkmcnt(0)
	v_mul_hi_u32 v3, s11, v1
	s_add_u32 s0, s0, 8
	s_addc_u32 s1, s1, 0
	s_add_i32 s8, s8, -1
	v_add_u32_e32 v3, v1, v3
	v_lshrrev_b32_e32 v3, s9, v3
	v_mul_lo_u32 v5, v3, s10
	s_cmp_lg_u32 s8, 0
	v_sub_u32_e32 v5, v1, v5
	v_mad_u64_u32 v[0:1], s[10:11], v5, s12, v[0:1]
	v_mad_u64_u32 v[7:8], s[10:11], v5, s13, v[7:8]
	v_mov_b32_e32 v1, v3
	s_cbranch_scc1 .LBB21_1203
.LBB21_1204:
	s_cbranch_execnz .LBB21_1207
.LBB21_1205:
	s_load_dwordx4 s[0:3], s[34:35], 0x4
	s_load_dwordx2 s[8:9], s[34:35], 0xc4
	s_cmp_lt_u32 s33, 2
	s_waitcnt lgkmcnt(0)
	v_mul_hi_u32 v0, s1, v15
	v_add_u32_e32 v0, v15, v0
	v_lshrrev_b32_e32 v1, s2, v0
	v_mul_lo_u32 v0, v1, s0
	s_waitcnt vmcnt(0)
	v_sub_u32_e32 v3, v15, v0
	v_mul_lo_u32 v0, v3, s8
	v_mul_lo_u32 v7, v3, s9
	s_cbranch_scc1 .LBB21_1207
; %bb.1206:
	s_load_dwordx4 s[0:3], s[34:35], 0x10
	s_load_dwordx2 s[8:9], s[34:35], 0xcc
	s_waitcnt lgkmcnt(0)
	v_mul_hi_u32 v3, s1, v1
	v_add_u32_e32 v3, v1, v3
	v_lshrrev_b32_e32 v3, s2, v3
	v_mul_lo_u32 v3, v3, s0
	v_sub_u32_e32 v3, v1, v3
	v_mad_u64_u32 v[0:1], s[0:1], v3, s8, v[0:1]
	v_mad_u64_u32 v[7:8], s[0:1], v3, s9, v[7:8]
.LBB21_1207:
	s_load_dwordx4 s[8:11], s[34:35], 0x148
	s_load_dword s20, s[4:5], 0x160
	s_waitcnt lgkmcnt(0)
	v_mov_b32_e32 v1, s11
	s_bfe_u32 s16, s20, 0x80010
	v_add_co_u32_e32 v12, vcc, s10, v13
	s_cmp_lt_i32 s16, 11
	v_addc_co_u32_e32 v13, vcc, 0, v1, vcc
	s_cbranch_scc1 .LBB21_1214
; %bb.1208:
	s_and_b32 s17, 0xffff, s16
	s_cmp_gt_i32 s17, 25
	s_mov_b64 s[2:3], 0
	s_cbranch_scc0 .LBB21_1216
; %bb.1209:
	s_cmp_gt_i32 s17, 28
	s_cbranch_scc0 .LBB21_1217
; %bb.1210:
	s_cmp_gt_i32 s17, 43
	;; [unrolled: 3-line block ×3, first 2 shown]
	s_cbranch_scc0 .LBB21_1219
; %bb.1212:
	s_cmp_eq_u32 s17, 46
	s_mov_b64 s[12:13], 0
	s_cbranch_scc0 .LBB21_1222
; %bb.1213:
	global_load_dword v1, v[12:13], off
	s_mov_b64 s[0:1], 0
	s_mov_b64 s[4:5], -1
	s_waitcnt vmcnt(0)
	v_lshlrev_b32_e32 v1, 16, v1
	s_branch .LBB21_1223
.LBB21_1214:
	s_mov_b64 s[4:5], 0
                                        ; implicit-def: $vgpr1
	s_mov_b64 s[12:13], s[6:7]
	s_cbranch_execnz .LBB21_1286
.LBB21_1215:
	s_andn2_b64 vcc, exec, s[4:5]
	s_cbranch_vccz .LBB21_1331
	s_branch .LBB21_1776
.LBB21_1216:
	s_mov_b64 s[4:5], 0
	s_mov_b64 s[0:1], 0
                                        ; implicit-def: $vgpr1
	s_cbranch_execnz .LBB21_1251
	s_branch .LBB21_1282
.LBB21_1217:
	s_mov_b64 s[12:13], -1
	s_mov_b64 s[4:5], 0
	s_mov_b64 s[0:1], 0
                                        ; implicit-def: $vgpr1
	s_branch .LBB21_1232
.LBB21_1218:
	s_mov_b64 s[4:5], 0
	s_mov_b64 s[0:1], 0
                                        ; implicit-def: $vgpr1
	s_cbranch_execnz .LBB21_1228
	s_branch .LBB21_1231
.LBB21_1219:
	s_mov_b64 s[12:13], -1
	s_mov_b64 s[4:5], 0
	s_mov_b64 s[0:1], 0
                                        ; implicit-def: $vgpr1
	s_branch .LBB21_1223
.LBB21_1220:
	s_andn2_saveexec_b64 s[12:13], s[12:13]
	s_cbranch_execz .LBB21_1063
.LBB21_1221:
	s_mov_b32 s14, 0x46000000
	v_add_f32_e64 v0, |v1|, s14
	v_and_b32_e32 v0, 0xff, v0
	v_cmp_ne_u32_e32 vcc, 0, v0
	s_andn2_b64 s[6:7], s[6:7], exec
	s_and_b64 s[14:15], vcc, exec
	s_or_b64 s[6:7], s[6:7], s[14:15]
	s_or_b64 exec, exec, s[12:13]
	v_mov_b32_e32 v2, 0
	s_and_saveexec_b64 s[12:13], s[6:7]
	s_cbranch_execnz .LBB21_1064
	s_branch .LBB21_1065
.LBB21_1222:
	s_mov_b64 s[0:1], -1
                                        ; implicit-def: $vgpr1
	s_mov_b64 s[4:5], 0
.LBB21_1223:
	s_and_b64 vcc, exec, s[12:13]
	s_cbranch_vccz .LBB21_1226
; %bb.1224:
	s_cmp_eq_u32 s17, 44
	s_cbranch_scc0 .LBB21_1227
; %bb.1225:
	global_load_ubyte v1, v[12:13], off
	s_movk_i32 s4, 0xff
	s_waitcnt vmcnt(1)
	v_mov_b32_e32 v3, 0x7f800001
	v_mov_b32_e32 v5, 0x400000
	s_mov_b64 s[0:1], 0
	s_waitcnt vmcnt(0)
	v_lshlrev_b32_e32 v8, 23, v1
	v_cmp_ne_u32_e32 vcc, s4, v1
	v_cndmask_b32_e32 v3, v3, v8, vcc
	v_cmp_ne_u32_e32 vcc, 0, v1
	v_cndmask_b32_e32 v1, v5, v3, vcc
	s_mov_b64 s[4:5], -1
.LBB21_1226:
	s_branch .LBB21_1231
.LBB21_1227:
	s_mov_b64 s[0:1], -1
                                        ; implicit-def: $vgpr1
	s_branch .LBB21_1231
.LBB21_1228:
	s_cmp_eq_u32 s17, 29
	s_cbranch_scc0 .LBB21_1230
; %bb.1229:
	global_load_dwordx2 v[14:15], v[12:13], off
	s_mov_b64 s[0:1], 0
	s_mov_b64 s[4:5], -1
	s_mov_b64 s[12:13], 0
	s_waitcnt vmcnt(0)
	v_ffbh_u32_e32 v1, v15
	v_min_u32_e32 v1, 32, v1
	v_lshlrev_b64 v[14:15], v1, v[14:15]
	v_sub_u32_e32 v1, 32, v1
	v_min_u32_e32 v3, 1, v14
	v_or_b32_e32 v3, v15, v3
	v_cvt_f32_u32_e32 v3, v3
	v_ldexp_f32 v1, v3, v1
	s_branch .LBB21_1232
.LBB21_1230:
	s_mov_b64 s[0:1], -1
                                        ; implicit-def: $vgpr1
.LBB21_1231:
	s_mov_b64 s[12:13], 0
.LBB21_1232:
	s_and_b64 vcc, exec, s[12:13]
	s_cbranch_vccz .LBB21_1250
; %bb.1233:
	s_cmp_lt_i32 s17, 27
	s_cbranch_scc1 .LBB21_1236
; %bb.1234:
	s_cmp_gt_i32 s17, 27
	s_cbranch_scc0 .LBB21_1237
; %bb.1235:
	global_load_dword v1, v[12:13], off
	s_mov_b64 s[4:5], 0
	s_waitcnt vmcnt(0)
	v_cvt_f32_u32_e32 v1, v1
	s_branch .LBB21_1238
.LBB21_1236:
	s_mov_b64 s[4:5], -1
                                        ; implicit-def: $vgpr1
	s_branch .LBB21_1241
.LBB21_1237:
	s_mov_b64 s[4:5], -1
                                        ; implicit-def: $vgpr1
.LBB21_1238:
	s_andn2_b64 vcc, exec, s[4:5]
	s_cbranch_vccnz .LBB21_1240
; %bb.1239:
	global_load_ushort v1, v[12:13], off
	s_waitcnt vmcnt(0)
	v_cvt_f32_u32_e32 v1, v1
.LBB21_1240:
	s_mov_b64 s[4:5], 0
.LBB21_1241:
	s_andn2_b64 vcc, exec, s[4:5]
	s_cbranch_vccnz .LBB21_1249
; %bb.1242:
	global_load_ubyte v3, v[12:13], off
	s_movk_i32 s4, 0x7f
	s_waitcnt vmcnt(0)
	v_cmp_lt_i16_e32 vcc, s4, v3
	s_mov_b64 s[4:5], 0
	s_and_saveexec_b64 s[12:13], vcc
	s_xor_b64 s[12:13], exec, s[12:13]
	s_cbranch_execz .LBB21_1262
; %bb.1243:
	s_movk_i32 s4, 0x80
	v_cmp_eq_u16_e32 vcc, s4, v3
	s_mov_b64 s[4:5], -1
	s_and_saveexec_b64 s[14:15], vcc
; %bb.1244:
	s_xor_b64 s[4:5], exec, -1
; %bb.1245:
	s_or_b64 exec, exec, s[14:15]
	s_and_b64 s[4:5], s[4:5], exec
	s_or_saveexec_b64 s[12:13], s[12:13]
	v_mov_b32_e32 v1, 0x7f800001
	s_xor_b64 exec, exec, s[12:13]
	s_cbranch_execnz .LBB21_1263
.LBB21_1246:
	s_or_b64 exec, exec, s[12:13]
	s_and_saveexec_b64 s[12:13], s[4:5]
	s_cbranch_execz .LBB21_1248
.LBB21_1247:
	v_lshlrev_b32_e32 v1, 24, v3
	v_and_b32_e32 v3, 0xffff, v3
	v_and_b32_e32 v5, 7, v3
	v_ffbh_u32_e32 v10, v5
	v_min_u32_e32 v10, 32, v10
	v_subrev_u32_e32 v14, 28, v10
	v_bfe_u32 v8, v3, 3, 4
	v_lshlrev_b32_e32 v3, v14, v3
	v_sub_u32_e32 v10, 29, v10
	v_and_b32_e32 v3, 7, v3
	v_cmp_eq_u32_e32 vcc, 0, v8
	v_cndmask_b32_e32 v8, v8, v10, vcc
	v_cndmask_b32_e32 v3, v5, v3, vcc
	v_mov_b32_e32 v5, 0x3b800000
	v_lshlrev_b32_e32 v3, 20, v3
	v_and_b32_e32 v1, 0x80000000, v1
	v_lshl_add_u32 v5, v8, 23, v5
	v_or3_b32 v1, v1, v5, v3
.LBB21_1248:
	s_or_b64 exec, exec, s[12:13]
.LBB21_1249:
	s_mov_b64 s[4:5], -1
.LBB21_1250:
	s_branch .LBB21_1282
.LBB21_1251:
	s_cmp_gt_i32 s17, 22
	s_cbranch_scc0 .LBB21_1261
; %bb.1252:
	s_cmp_lt_i32 s17, 24
	s_cbranch_scc1 .LBB21_1264
; %bb.1253:
	s_cmp_gt_i32 s17, 24
	s_cbranch_scc0 .LBB21_1265
; %bb.1254:
	global_load_ubyte v3, v[12:13], off
	s_movk_i32 s2, 0x7f
	s_waitcnt vmcnt(0)
	v_cmp_lt_i16_e32 vcc, s2, v3
	s_mov_b64 s[2:3], 0
	s_and_saveexec_b64 s[4:5], vcc
	s_xor_b64 s[4:5], exec, s[4:5]
	s_cbranch_execz .LBB21_1276
; %bb.1255:
	s_movk_i32 s2, 0x80
	v_cmp_eq_u16_e32 vcc, s2, v3
	s_mov_b64 s[2:3], -1
	s_and_saveexec_b64 s[12:13], vcc
; %bb.1256:
	s_xor_b64 s[2:3], exec, -1
; %bb.1257:
	s_or_b64 exec, exec, s[12:13]
	s_and_b64 s[2:3], s[2:3], exec
	s_or_saveexec_b64 s[4:5], s[4:5]
	v_mov_b32_e32 v1, 0x7f800001
	s_xor_b64 exec, exec, s[4:5]
	s_cbranch_execnz .LBB21_1277
.LBB21_1258:
	s_or_b64 exec, exec, s[4:5]
	s_and_saveexec_b64 s[4:5], s[2:3]
	s_cbranch_execz .LBB21_1260
.LBB21_1259:
	v_lshlrev_b32_e32 v1, 24, v3
	v_and_b32_e32 v3, 0xffff, v3
	v_and_b32_e32 v5, 3, v3
	v_ffbh_u32_e32 v10, v5
	v_min_u32_e32 v10, 32, v10
	v_subrev_u32_e32 v14, 29, v10
	v_bfe_u32 v8, v3, 2, 5
	v_lshlrev_b32_e32 v3, v14, v3
	v_sub_u32_e32 v10, 30, v10
	v_and_b32_e32 v3, 3, v3
	v_cmp_eq_u32_e32 vcc, 0, v8
	v_cndmask_b32_e32 v8, v8, v10, vcc
	v_cndmask_b32_e32 v3, v5, v3, vcc
	v_mov_b32_e32 v5, 0x37800000
	v_lshlrev_b32_e32 v3, 21, v3
	v_and_b32_e32 v1, 0x80000000, v1
	v_lshl_add_u32 v5, v8, 23, v5
	v_or3_b32 v1, v1, v5, v3
.LBB21_1260:
	s_or_b64 exec, exec, s[4:5]
	s_mov_b64 s[2:3], 0
	s_branch .LBB21_1266
.LBB21_1261:
                                        ; implicit-def: $vgpr1
	s_mov_b64 s[2:3], 0
	s_branch .LBB21_1272
.LBB21_1262:
	s_or_saveexec_b64 s[12:13], s[12:13]
	v_mov_b32_e32 v1, 0x7f800001
	s_xor_b64 exec, exec, s[12:13]
	s_cbranch_execz .LBB21_1246
.LBB21_1263:
	v_cmp_ne_u16_e32 vcc, 0, v3
	s_andn2_b64 s[4:5], s[4:5], exec
	s_and_b64 s[14:15], vcc, exec
	v_mov_b32_e32 v1, 0
	s_or_b64 s[4:5], s[4:5], s[14:15]
	s_or_b64 exec, exec, s[12:13]
	s_and_saveexec_b64 s[12:13], s[4:5]
	s_cbranch_execnz .LBB21_1247
	s_branch .LBB21_1248
.LBB21_1264:
	s_mov_b64 s[2:3], -1
                                        ; implicit-def: $vgpr1
	s_branch .LBB21_1269
.LBB21_1265:
	s_mov_b64 s[2:3], -1
                                        ; implicit-def: $vgpr1
.LBB21_1266:
	s_and_b64 vcc, exec, s[2:3]
	s_cbranch_vccz .LBB21_1268
; %bb.1267:
	global_load_ubyte v1, v[12:13], off
	s_mov_b32 s2, 0x7f800000
	s_waitcnt vmcnt(0)
	v_lshlrev_b32_e32 v1, 24, v1
	v_and_b32_e32 v3, 0x7f000000, v1
	v_ffbh_u32_e32 v5, v3
	v_min_u32_e32 v5, 32, v5
	v_sub_u32_e64 v5, v5, 4 clamp
	v_lshlrev_b32_e32 v10, v5, v3
	v_lshlrev_b32_e32 v5, 23, v5
	v_lshrrev_b32_e32 v10, 4, v10
	v_add_u32_e32 v8, 0x1000000, v3
	v_sub_u32_e32 v5, v10, v5
	v_ashrrev_i32_e32 v8, 8, v8
	v_add_u32_e32 v5, 0x3c000000, v5
	v_and_or_b32 v5, v8, s2, v5
	v_cmp_ne_u32_e32 vcc, 0, v3
	v_cndmask_b32_e32 v3, 0, v5, vcc
	s_brev_b32 s2, 1
	v_and_or_b32 v1, v1, s2, v3
.LBB21_1268:
	s_mov_b64 s[2:3], 0
.LBB21_1269:
	s_andn2_b64 vcc, exec, s[2:3]
	s_cbranch_vccnz .LBB21_1271
; %bb.1270:
	global_load_ubyte v1, v[12:13], off
	s_movk_i32 s2, 0x7f00
	s_brev_b32 s3, 16
	s_waitcnt vmcnt(0)
	v_lshlrev_b16_e32 v3, 8, v1
	v_lshlrev_b32_e32 v1, 25, v1
	v_lshrrev_b32_e32 v5, 4, v1
	v_and_or_b32 v8, v3, s2, 0.5
	v_or_b32_e32 v5, 0x70000000, v5
	v_add_f32_e32 v8, -0.5, v8
	v_mul_f32_e32 v5, 0x7800000, v5
	v_cmp_gt_u32_e32 vcc, s3, v1
	v_bfe_i32 v3, v3, 0, 16
	v_cndmask_b32_e32 v1, v5, v8, vcc
	s_brev_b32 s2, 1
	v_and_or_b32 v1, v3, s2, v1
.LBB21_1271:
	s_mov_b64 s[4:5], -1
	s_mov_b64 s[2:3], 0
	s_cbranch_execnz .LBB21_1282
.LBB21_1272:
	s_cmp_gt_i32 s17, 14
	s_cbranch_scc0 .LBB21_1275
; %bb.1273:
	s_cmp_eq_u32 s17, 15
	s_cbranch_scc0 .LBB21_1278
; %bb.1274:
	global_load_ushort v1, v[12:13], off
	s_mov_b64 s[0:1], 0
	s_mov_b64 s[4:5], -1
	s_waitcnt vmcnt(0)
	v_lshlrev_b32_e32 v1, 16, v1
	s_branch .LBB21_1279
.LBB21_1275:
	s_mov_b64 s[12:13], -1
                                        ; implicit-def: $vgpr1
	s_branch .LBB21_1280
.LBB21_1276:
	s_or_saveexec_b64 s[4:5], s[4:5]
	v_mov_b32_e32 v1, 0x7f800001
	s_xor_b64 exec, exec, s[4:5]
	s_cbranch_execz .LBB21_1258
.LBB21_1277:
	v_cmp_ne_u16_e32 vcc, 0, v3
	s_andn2_b64 s[2:3], s[2:3], exec
	s_and_b64 s[12:13], vcc, exec
	v_mov_b32_e32 v1, 0
	s_or_b64 s[2:3], s[2:3], s[12:13]
	s_or_b64 exec, exec, s[4:5]
	s_and_saveexec_b64 s[4:5], s[2:3]
	s_cbranch_execnz .LBB21_1259
	s_branch .LBB21_1260
.LBB21_1278:
	s_mov_b64 s[0:1], -1
                                        ; implicit-def: $vgpr1
.LBB21_1279:
	s_mov_b64 s[12:13], 0
.LBB21_1280:
	s_and_b64 vcc, exec, s[12:13]
	s_cbranch_vccz .LBB21_1282
; %bb.1281:
	s_cmp_lg_u32 s17, 11
	s_mov_b64 s[2:3], -1
	s_cselect_b64 s[0:1], -1, 0
.LBB21_1282:
	s_and_b64 vcc, exec, s[0:1]
	s_mov_b64 s[12:13], s[6:7]
	s_cbranch_vccnz .LBB21_1359
; %bb.1283:
	s_andn2_b64 vcc, exec, s[2:3]
	s_cbranch_vccnz .LBB21_1285
.LBB21_1284:
	global_load_ubyte v1, v[12:13], off
	s_mov_b64 s[4:5], -1
	s_waitcnt vmcnt(0)
	v_cmp_ne_u16_e32 vcc, 0, v1
	v_cndmask_b32_e64 v1, 0, 1.0, vcc
.LBB21_1285:
	s_branch .LBB21_1215
.LBB21_1286:
	s_and_b32 s2, 0xffff, s16
	s_cmp_lt_i32 s2, 5
	s_cbranch_scc1 .LBB21_1291
; %bb.1287:
	s_cmp_lt_i32 s2, 8
	s_cbranch_scc1 .LBB21_1292
; %bb.1288:
	;; [unrolled: 3-line block ×3, first 2 shown]
	s_cmp_gt_i32 s2, 9
	s_cbranch_scc0 .LBB21_1294
; %bb.1290:
	global_load_dwordx2 v[14:15], v[12:13], off
	s_mov_b64 s[0:1], 0
	s_waitcnt vmcnt(0)
	v_cvt_f32_f64_e32 v1, v[14:15]
	s_branch .LBB21_1295
.LBB21_1291:
                                        ; implicit-def: $vgpr1
	s_branch .LBB21_1312
.LBB21_1292:
                                        ; implicit-def: $vgpr1
	s_branch .LBB21_1301
.LBB21_1293:
	s_mov_b64 s[0:1], -1
                                        ; implicit-def: $vgpr1
	s_branch .LBB21_1298
.LBB21_1294:
	s_mov_b64 s[0:1], -1
                                        ; implicit-def: $vgpr1
.LBB21_1295:
	s_andn2_b64 vcc, exec, s[0:1]
	s_cbranch_vccnz .LBB21_1297
; %bb.1296:
	global_load_dword v1, v[12:13], off
.LBB21_1297:
	s_mov_b64 s[0:1], 0
.LBB21_1298:
	s_andn2_b64 vcc, exec, s[0:1]
	s_cbranch_vccnz .LBB21_1300
; %bb.1299:
	global_load_dword v1, v[12:13], off
	s_waitcnt vmcnt(0)
	v_cvt_f32_f16_e32 v1, v1
.LBB21_1300:
	s_cbranch_execnz .LBB21_1311
.LBB21_1301:
	s_cmp_lt_i32 s2, 6
	s_cbranch_scc1 .LBB21_1304
; %bb.1302:
	s_cmp_gt_i32 s2, 6
	s_cbranch_scc0 .LBB21_1305
; %bb.1303:
	global_load_dwordx2 v[14:15], v[12:13], off
	s_mov_b64 s[0:1], 0
	s_waitcnt vmcnt(0)
	v_cvt_f32_f64_e32 v1, v[14:15]
	s_branch .LBB21_1306
.LBB21_1304:
	s_mov_b64 s[0:1], -1
                                        ; implicit-def: $vgpr1
	s_branch .LBB21_1309
.LBB21_1305:
	s_mov_b64 s[0:1], -1
                                        ; implicit-def: $vgpr1
.LBB21_1306:
	s_andn2_b64 vcc, exec, s[0:1]
	s_cbranch_vccnz .LBB21_1308
; %bb.1307:
	global_load_dword v1, v[12:13], off
.LBB21_1308:
	s_mov_b64 s[0:1], 0
.LBB21_1309:
	s_andn2_b64 vcc, exec, s[0:1]
	s_cbranch_vccnz .LBB21_1311
; %bb.1310:
	global_load_ushort v1, v[12:13], off
	s_waitcnt vmcnt(0)
	v_cvt_f32_f16_e32 v1, v1
.LBB21_1311:
	s_cbranch_execnz .LBB21_1330
.LBB21_1312:
	s_cmp_lt_i32 s2, 2
	s_cbranch_scc1 .LBB21_1316
; %bb.1313:
	s_cmp_lt_i32 s2, 3
	s_cbranch_scc1 .LBB21_1317
; %bb.1314:
	s_cmp_gt_i32 s2, 3
	s_cbranch_scc0 .LBB21_1318
; %bb.1315:
	global_load_dwordx2 v[14:15], v[12:13], off
	s_mov_b64 s[0:1], 0
	s_waitcnt vmcnt(0)
	v_xor_b32_e32 v3, v14, v15
	v_ffbh_i32_e32 v1, v15
	v_ashrrev_i32_e32 v3, 31, v3
	v_add_u32_e32 v1, -1, v1
	v_add_u32_e32 v3, 32, v3
	v_min_u32_e32 v1, v1, v3
	v_lshlrev_b64 v[14:15], v1, v[14:15]
	v_sub_u32_e32 v1, 32, v1
	v_min_u32_e32 v3, 1, v14
	v_or_b32_e32 v3, v15, v3
	v_cvt_f32_i32_e32 v3, v3
	v_ldexp_f32 v1, v3, v1
	s_branch .LBB21_1319
.LBB21_1316:
                                        ; implicit-def: $vgpr1
	s_branch .LBB21_1325
.LBB21_1317:
	s_mov_b64 s[0:1], -1
                                        ; implicit-def: $vgpr1
	s_branch .LBB21_1322
.LBB21_1318:
	s_mov_b64 s[0:1], -1
                                        ; implicit-def: $vgpr1
.LBB21_1319:
	s_andn2_b64 vcc, exec, s[0:1]
	s_cbranch_vccnz .LBB21_1321
; %bb.1320:
	global_load_dword v1, v[12:13], off
	s_waitcnt vmcnt(0)
	v_cvt_f32_i32_e32 v1, v1
.LBB21_1321:
	s_mov_b64 s[0:1], 0
.LBB21_1322:
	s_andn2_b64 vcc, exec, s[0:1]
	s_cbranch_vccnz .LBB21_1324
; %bb.1323:
	global_load_sshort v1, v[12:13], off
	s_waitcnt vmcnt(0)
	v_cvt_f32_i32_e32 v1, v1
.LBB21_1324:
	s_cbranch_execnz .LBB21_1330
.LBB21_1325:
	s_cmp_gt_i32 s2, 0
	s_cbranch_scc0 .LBB21_1327
; %bb.1326:
	global_load_sbyte v1, v[12:13], off
	s_mov_b64 s[0:1], 0
	s_waitcnt vmcnt(0)
	v_cvt_f32_i32_e32 v1, v1
	s_branch .LBB21_1328
.LBB21_1327:
	s_mov_b64 s[0:1], -1
                                        ; implicit-def: $vgpr1
.LBB21_1328:
	s_andn2_b64 vcc, exec, s[0:1]
	s_cbranch_vccnz .LBB21_1330
; %bb.1329:
	global_load_ubyte v1, v[12:13], off
	s_waitcnt vmcnt(0)
	v_cvt_f32_ubyte0_e32 v1, v1
.LBB21_1330:
.LBB21_1331:
	s_waitcnt vmcnt(0)
	v_cmp_gt_f32_e32 vcc, 0, v1
	v_cndmask_b32_e64 v1, v1, -v1, vcc
	s_mov_b32 s0, 0x40a00000
	v_cmp_ge_f32_e32 vcc, s0, v1
	v_mul_f32_e32 v8, v1, v1
                                        ; implicit-def: $vgpr5
	s_and_saveexec_b64 s[0:1], vcc
	s_xor_b64 s[0:1], exec, s[0:1]
	s_cbranch_execz .LBB21_1337
; %bb.1332:
	s_mov_b32 s2, 0x3727c5ac
	v_cmp_ngt_f32_e32 vcc, s2, v1
                                        ; implicit-def: $vgpr5
	s_and_saveexec_b64 s[2:3], vcc
	s_xor_b64 s[2:3], exec, s[2:3]
	s_cbranch_execz .LBB21_1334
; %bb.1333:
	v_mov_b32_e32 v1, 0xcf8ee29d
	v_fmac_f32_e32 v1, 0, v8
	v_mov_b32_e32 v3, 0x53e3ba8e
	v_fmac_f32_e32 v3, v8, v1
	v_mov_b32_e32 v1, 0xd762b0a7
	v_fmac_f32_e32 v1, v8, v3
	v_mov_b32_e32 v3, 0x43f9c815
	v_fmac_f32_e32 v3, 0, v8
	v_mov_b32_e32 v5, 0x4829b65a
	v_fmac_f32_e32 v5, v8, v3
	v_mov_b32_e32 v3, 0x4c38c9a1
	v_fmac_f32_e32 v3, v8, v5
	v_mov_b32_e32 v5, 0x5026ad80
	v_fmac_f32_e32 v5, v8, v3
	v_mov_b32_e32 v3, 0x53f5f59c
	v_fmac_f32_e32 v3, v8, v5
	v_mov_b32_e32 v5, 0x578d3514
	v_fmac_f32_e32 v5, v8, v3
	v_mov_b32_e32 v3, 0x5ae20a0c
	v_fmac_f32_e32 v3, v8, v5
	v_mov_b32_e32 v5, 0x5dbdf1a6
	v_fmac_f32_e32 v5, v8, v3
	v_mov_b32_e32 v3, 0x5a09f7c3
	v_fmac_f32_e32 v3, v8, v1
	v_add_f32_e32 v1, 0xc0b90fdc, v8
	v_add_f32_e32 v8, 0xc1f3c525, v8
	v_mul_f32_e32 v1, v1, v8
	v_mul_f32_e32 v1, v1, v3
	v_div_scale_f32 v3, s[4:5], v5, v5, v1
	v_div_scale_f32 v8, vcc, v1, v5, v1
	v_rcp_f32_e32 v10, v3
	v_fma_f32 v12, -v3, v10, 1.0
	v_fmac_f32_e32 v10, v12, v10
	v_mul_f32_e32 v12, v8, v10
	v_fma_f32 v13, -v3, v12, v8
	v_fmac_f32_e32 v12, v13, v10
	v_fma_f32 v3, -v3, v12, v8
	v_div_fmas_f32 v3, v3, v10, v12
                                        ; implicit-def: $vgpr8
	v_div_fixup_f32 v5, v3, v5, v1
.LBB21_1334:
	s_andn2_saveexec_b64 s[2:3], s[2:3]
; %bb.1335:
	s_mov_b32 s4, 0xbe800000
	v_fma_f32 v5, v8, s4, 1.0
; %bb.1336:
	s_or_b64 exec, exec, s[2:3]
                                        ; implicit-def: $vgpr8
                                        ; implicit-def: $vgpr1
.LBB21_1337:
	s_andn2_saveexec_b64 s[14:15], s[0:1]
	s_cbranch_execz .LBB21_1347
; %bb.1338:
	v_add_f32_e32 v3, 0xbf490fdb, v1
	s_brev_b32 s0, 18
	v_and_b32_e32 v5, 0x7fffffff, v3
	v_cmp_nlt_f32_e64 s[16:17], |v3|, s0
                                        ; implicit-def: $vgpr10
                                        ; implicit-def: $vgpr12
	s_and_saveexec_b64 s[0:1], s[16:17]
	s_xor_b64 s[18:19], exec, s[0:1]
	s_cbranch_execz .LBB21_1340
; %bb.1339:
	v_and_b32_e32 v10, 0x7fffff, v5
	v_or_b32_e32 v10, 0x800000, v10
	s_mov_b32 s0, 0xfe5163ab
	v_mad_u64_u32 v[12:13], s[0:1], v10, s0, 0
	v_mov_b32_e32 v14, 0
	s_mov_b32 s0, 0x3c439041
	v_mad_u64_u32 v[15:16], s[0:1], v10, s0, v[13:14]
	s_mov_b32 s0, 0xdb629599
	v_not_b32_e32 v20, 63
	v_mov_b32_e32 v13, v16
	v_mad_u64_u32 v[16:17], s[0:1], v10, s0, v[13:14]
	s_mov_b32 s0, 0xf534ddc0
	v_not_b32_e32 v22, 31
	v_mov_b32_e32 v13, v17
	v_mad_u64_u32 v[17:18], s[0:1], v10, s0, v[13:14]
	v_lshrrev_b32_e32 v13, 23, v5
	v_add_u32_e32 v21, 0xffffff88, v13
	v_mov_b32_e32 v13, v18
	s_mov_b32 s0, 0xfc2757d1
	v_mad_u64_u32 v[18:19], s[0:1], v10, s0, v[13:14]
	v_cmp_lt_u32_e32 vcc, 63, v21
	v_cndmask_b32_e32 v13, 0, v20, vcc
	v_add_u32_e32 v21, v13, v21
	v_mov_b32_e32 v13, v19
	s_mov_b32 s0, 0x4e441529
	v_mad_u64_u32 v[19:20], s[0:1], v10, s0, v[13:14]
	v_cmp_lt_u32_e64 s[0:1], 31, v21
	v_cndmask_b32_e64 v13, 0, v22, s[0:1]
	v_add_u32_e32 v21, v13, v21
	v_mov_b32_e32 v13, v20
	s_mov_b32 s2, 0xa2f9836e
	v_mad_u64_u32 v[13:14], s[2:3], v10, s2, v[13:14]
	v_cmp_lt_u32_e64 s[2:3], 31, v21
	v_cndmask_b32_e64 v10, 0, v22, s[2:3]
	v_cndmask_b32_e32 v20, v19, v17, vcc
	v_cndmask_b32_e32 v13, v13, v18, vcc
	;; [unrolled: 1-line block ×3, first 2 shown]
	v_add_u32_e32 v10, v10, v21
	v_cndmask_b32_e64 v21, v13, v20, s[0:1]
	v_cndmask_b32_e64 v13, v14, v13, s[0:1]
	v_cndmask_b32_e32 v14, v18, v16, vcc
	v_cndmask_b32_e64 v18, v20, v14, s[0:1]
	v_cndmask_b32_e64 v13, v13, v21, s[2:3]
	v_cndmask_b32_e64 v19, v21, v18, s[2:3]
	v_sub_u32_e32 v20, 32, v10
	v_alignbit_b32 v21, v13, v19, v20
	v_cmp_eq_u32_e64 s[4:5], 0, v10
	v_cndmask_b32_e64 v10, v21, v13, s[4:5]
	v_cndmask_b32_e32 v13, v17, v15, vcc
	v_cndmask_b32_e64 v14, v14, v13, s[0:1]
	v_cndmask_b32_e64 v15, v18, v14, s[2:3]
	v_alignbit_b32 v17, v19, v15, v20
	v_cndmask_b32_e32 v12, v16, v12, vcc
	v_cndmask_b32_e64 v17, v17, v19, s[4:5]
	v_bfe_u32 v21, v10, 29, 1
	v_cndmask_b32_e64 v12, v13, v12, s[0:1]
	v_alignbit_b32 v18, v10, v17, 30
	v_sub_u32_e32 v22, 0, v21
	v_cndmask_b32_e64 v12, v14, v12, s[2:3]
	v_xor_b32_e32 v18, v18, v22
	v_alignbit_b32 v13, v15, v12, v20
	v_cndmask_b32_e64 v13, v13, v15, s[4:5]
	v_ffbh_u32_e32 v15, v18
	v_alignbit_b32 v14, v17, v13, 30
	v_min_u32_e32 v15, 32, v15
	v_alignbit_b32 v12, v13, v12, 30
	v_xor_b32_e32 v14, v14, v22
	v_sub_u32_e32 v16, 31, v15
	v_xor_b32_e32 v12, v12, v22
	v_alignbit_b32 v17, v18, v14, v16
	v_alignbit_b32 v12, v14, v12, v16
	;; [unrolled: 1-line block ×3, first 2 shown]
	v_ffbh_u32_e32 v14, v13
	v_min_u32_e32 v14, 32, v14
	v_lshrrev_b32_e32 v19, 29, v10
	v_not_b32_e32 v16, v14
	v_alignbit_b32 v12, v13, v12, v16
	v_lshlrev_b32_e32 v13, 31, v19
	v_or_b32_e32 v16, 0x33000000, v13
	v_add_lshl_u32 v14, v14, v15, 23
	v_lshrrev_b32_e32 v12, 9, v12
	v_sub_u32_e32 v14, v16, v14
	v_or_b32_e32 v13, 0.5, v13
	v_lshlrev_b32_e32 v15, 23, v15
	v_or_b32_e32 v12, v14, v12
	v_lshrrev_b32_e32 v14, 9, v17
	v_sub_u32_e32 v13, v13, v15
	v_or_b32_e32 v13, v14, v13
	s_mov_b32 s0, 0x3fc90fda
	v_mul_f32_e32 v14, 0x3fc90fda, v13
	v_fma_f32 v15, v13, s0, -v14
	v_fmac_f32_e32 v15, 0x33a22168, v13
	v_fmac_f32_e32 v15, 0x3fc90fda, v12
	v_lshrrev_b32_e32 v10, 30, v10
	v_add_f32_e32 v12, v14, v15
	v_add_u32_e32 v10, v21, v10
	s_andn2_saveexec_b64 s[0:1], s[18:19]
	s_cbranch_execz .LBB21_1342
	s_branch .LBB21_1341
.LBB21_1340:
	s_andn2_saveexec_b64 s[0:1], s[18:19]
	s_cbranch_execz .LBB21_1342
.LBB21_1341:
	s_mov_b32 s2, 0x3f22f983
	v_mul_f32_e64 v10, |v3|, s2
	v_rndne_f32_e32 v13, v10
	s_mov_b32 s2, 0xbfc90fda
	v_cvt_i32_f32_e32 v10, v13
	v_fma_f32 v12, v13, s2, |v3|
	v_fmac_f32_e32 v12, 0xb3a22168, v13
	v_fmac_f32_e32 v12, 0xa7c234c4, v13
.LBB21_1342:
	s_or_b64 exec, exec, s[0:1]
                                        ; implicit-def: $vgpr13
                                        ; implicit-def: $vgpr14
	s_and_saveexec_b64 s[0:1], s[16:17]
	s_xor_b64 s[16:17], exec, s[0:1]
	s_cbranch_execz .LBB21_1344
; %bb.1343:
	v_and_b32_e32 v13, 0x7fffff, v5
	v_or_b32_e32 v22, 0x800000, v13
	s_mov_b32 s0, 0xfe5163ab
	v_mad_u64_u32 v[13:14], s[0:1], v22, s0, 0
	v_mov_b32_e32 v15, 0
	s_mov_b32 s0, 0x3c439041
	v_mad_u64_u32 v[16:17], s[0:1], v22, s0, v[14:15]
	s_mov_b32 s0, 0xdb629599
	v_not_b32_e32 v21, 63
	v_mov_b32_e32 v14, v17
	v_mad_u64_u32 v[17:18], s[0:1], v22, s0, v[14:15]
	s_mov_b32 s0, 0xf534ddc0
	v_not_b32_e32 v24, 31
	v_mov_b32_e32 v14, v18
	v_mad_u64_u32 v[18:19], s[0:1], v22, s0, v[14:15]
	v_lshrrev_b32_e32 v14, 23, v5
	v_add_u32_e32 v23, 0xffffff88, v14
	v_mov_b32_e32 v14, v19
	s_mov_b32 s0, 0xfc2757d1
	v_mad_u64_u32 v[19:20], s[0:1], v22, s0, v[14:15]
	v_cmp_lt_u32_e32 vcc, 63, v23
	v_cndmask_b32_e32 v14, 0, v21, vcc
	v_add_u32_e32 v23, v14, v23
	v_mov_b32_e32 v14, v20
	s_mov_b32 s0, 0x4e441529
	v_mad_u64_u32 v[20:21], s[0:1], v22, s0, v[14:15]
	v_cmp_lt_u32_e64 s[0:1], 31, v23
	v_cndmask_b32_e64 v14, 0, v24, s[0:1]
	v_add_u32_e32 v23, v14, v23
	v_mov_b32_e32 v14, v21
	s_mov_b32 s2, 0xa2f9836e
	v_mad_u64_u32 v[14:15], s[2:3], v22, s2, v[14:15]
	v_cmp_lt_u32_e64 s[2:3], 31, v23
	v_cndmask_b32_e64 v21, 0, v24, s[2:3]
	v_cndmask_b32_e32 v22, v20, v18, vcc
	v_cndmask_b32_e32 v14, v14, v19, vcc
	;; [unrolled: 1-line block ×3, first 2 shown]
	v_add_u32_e32 v21, v21, v23
	v_cndmask_b32_e64 v23, v14, v22, s[0:1]
	v_cndmask_b32_e64 v14, v15, v14, s[0:1]
	v_cndmask_b32_e32 v15, v19, v17, vcc
	v_cndmask_b32_e64 v19, v22, v15, s[0:1]
	v_cndmask_b32_e64 v14, v14, v23, s[2:3]
	v_cndmask_b32_e64 v20, v23, v19, s[2:3]
	v_sub_u32_e32 v22, 32, v21
	v_alignbit_b32 v23, v14, v20, v22
	v_cmp_eq_u32_e64 s[4:5], 0, v21
	v_cndmask_b32_e64 v21, v23, v14, s[4:5]
	v_cndmask_b32_e32 v14, v18, v16, vcc
	v_cndmask_b32_e64 v15, v15, v14, s[0:1]
	v_cndmask_b32_e64 v16, v19, v15, s[2:3]
	v_alignbit_b32 v18, v20, v16, v22
	v_cndmask_b32_e32 v13, v17, v13, vcc
	v_cndmask_b32_e64 v18, v18, v20, s[4:5]
	v_bfe_u32 v23, v21, 29, 1
	v_cndmask_b32_e64 v13, v14, v13, s[0:1]
	v_alignbit_b32 v19, v21, v18, 30
	v_sub_u32_e32 v24, 0, v23
	v_cndmask_b32_e64 v13, v15, v13, s[2:3]
	v_xor_b32_e32 v19, v19, v24
	v_alignbit_b32 v14, v16, v13, v22
	v_cndmask_b32_e64 v14, v14, v16, s[4:5]
	v_ffbh_u32_e32 v16, v19
	v_alignbit_b32 v15, v18, v14, 30
	v_min_u32_e32 v16, 32, v16
	v_alignbit_b32 v13, v14, v13, 30
	v_xor_b32_e32 v15, v15, v24
	v_sub_u32_e32 v17, 31, v16
	v_xor_b32_e32 v13, v13, v24
	v_alignbit_b32 v18, v19, v15, v17
	v_alignbit_b32 v13, v15, v13, v17
	;; [unrolled: 1-line block ×3, first 2 shown]
	v_ffbh_u32_e32 v15, v14
	v_min_u32_e32 v15, 32, v15
	v_lshrrev_b32_e32 v20, 29, v21
	v_not_b32_e32 v17, v15
	v_alignbit_b32 v13, v14, v13, v17
	v_lshlrev_b32_e32 v14, 31, v20
	v_or_b32_e32 v17, 0x33000000, v14
	v_add_lshl_u32 v15, v15, v16, 23
	v_lshrrev_b32_e32 v13, 9, v13
	v_sub_u32_e32 v15, v17, v15
	v_or_b32_e32 v14, 0.5, v14
	v_lshlrev_b32_e32 v16, 23, v16
	v_or_b32_e32 v13, v15, v13
	v_lshrrev_b32_e32 v15, 9, v18
	v_sub_u32_e32 v14, v14, v16
	v_or_b32_e32 v14, v15, v14
	s_mov_b32 s0, 0x3fc90fda
	v_mul_f32_e32 v15, 0x3fc90fda, v14
	v_fma_f32 v16, v14, s0, -v15
	v_fmac_f32_e32 v16, 0x33a22168, v14
	v_fmac_f32_e32 v16, 0x3fc90fda, v13
	v_lshrrev_b32_e32 v13, 30, v21
	v_add_f32_e32 v14, v15, v16
	v_add_u32_e32 v13, v23, v13
	s_andn2_saveexec_b64 s[0:1], s[16:17]
	s_cbranch_execnz .LBB21_1345
	s_branch .LBB21_1346
.LBB21_1344:
	s_andn2_saveexec_b64 s[0:1], s[16:17]
	s_cbranch_execz .LBB21_1346
.LBB21_1345:
	s_mov_b32 s2, 0x3f22f983
	v_mul_f32_e64 v13, |v3|, s2
	v_rndne_f32_e32 v15, v13
	s_mov_b32 s2, 0xbfc90fda
	v_cvt_i32_f32_e32 v13, v15
	v_fma_f32 v14, v15, s2, |v3|
	v_fmac_f32_e32 v14, 0xb3a22168, v15
	v_fmac_f32_e32 v14, 0xa7c234c4, v15
.LBB21_1346:
	s_or_b64 exec, exec, s[0:1]
	s_mov_b32 s2, 0x41c80000
	v_div_scale_f32 v15, s[0:1], v8, v8, s2
	v_div_scale_f32 v16, vcc, s2, v8, s2
	v_mov_b32_e32 v17, 0x3a50e985
	v_mov_b32_e32 v19, 0x3da9a586
	;; [unrolled: 1-line block ×9, first 2 shown]
	s_mov_b32 s4, 0xc0a00000
	v_mov_b32_e32 v29, 0xbfa429da
	v_div_scale_f32 v38, s[0:1], v1, v1, s4
	v_rcp_f32_e32 v18, v15
	v_mov_b32_e32 v30, 0xc19c6e80
	v_mov_b32_e32 v31, 0xc2ba697b
	;; [unrolled: 1-line block ×3, first 2 shown]
	v_fma_f32 v22, -v15, v18, 1.0
	v_fmac_f32_e32 v18, v22, v18
	v_mul_f32_e32 v22, v16, v18
	v_fma_f32 v23, -v15, v22, v16
	v_fmac_f32_e32 v22, v23, v18
	v_fma_f32 v15, -v15, v22, v16
	v_div_fmas_f32 v15, v15, v18, v22
	v_mov_b32_e32 v22, 0x3a725406
	v_mov_b32_e32 v23, 0x3daf5e2d
	;; [unrolled: 1-line block ×8, first 2 shown]
	v_div_fixup_f32 v15, v15, v8, s2
	v_fmac_f32_e32 v17, 0, v15
	v_fmac_f32_e32 v22, 0, v15
	;; [unrolled: 1-line block ×12, first 2 shown]
	v_fma_f32 v16, v15, v27, 1.0
	v_fma_f32 v17, v15, v18, 1.0
	v_div_scale_f32 v18, s[0:1], v16, v16, v17
	v_div_scale_f32 v23, vcc, v17, v16, v17
	v_mov_b32_e32 v19, 0x4280a2ba
	v_fmac_f32_e32 v28, 0, v15
	v_mov_b32_e32 v20, 0x44561b86
	v_fmac_f32_e32 v19, 0, v15
	v_fmac_f32_e32 v29, v15, v28
	v_mov_b32_e32 v21, 0x4572a66e
	v_fmac_f32_e32 v20, v15, v19
	;; [unrolled: 3-line block ×3, first 2 shown]
	v_fmac_f32_e32 v31, v15, v30
	v_mov_b32_e32 v24, 0x45b955d1
	v_rcp_f32_e32 v37, v18
	v_fmac_f32_e32 v22, v15, v21
	v_fmac_f32_e32 v32, v15, v31
	v_mov_b32_e32 v25, 0x4500e17e
	v_fma_f32 v40, -v18, v37, 1.0
	v_fmac_f32_e32 v37, v40, v37
	v_mul_f32_e32 v40, v23, v37
	v_fma_f32 v41, -v18, v40, v23
	v_fmac_f32_e32 v40, v41, v37
	v_fma_f32 v18, -v18, v40, v23
	v_div_fmas_f32 v18, v18, v37, v40
	v_fmac_f32_e32 v24, v15, v22
	v_fmac_f32_e32 v33, v15, v32
	v_mov_b32_e32 v8, 0xc0c19ac7
	v_mov_b32_e32 v26, 0x43720178
	v_div_scale_f32 v39, s[0:1], s4, v1, s4
	v_fmac_f32_e32 v25, v15, v24
	v_fmac_f32_e32 v34, v15, v33
	;; [unrolled: 1-line block ×4, first 2 shown]
	v_rcp_f32_e32 v20, v38
	s_mov_b64 vcc, s[0:1]
	v_mul_f32_e32 v27, v12, v12
	v_fmac_f32_e32 v36, 0xb94c1982, v27
	v_fma_f32 v23, -v38, v20, 1.0
	v_div_fixup_f32 v15, v18, v16, v17
	v_div_scale_f32 v17, s[2:3], v26, v26, v8
	v_div_scale_f32 v19, s[2:3], v8, v26, v8
	v_fmac_f32_e32 v20, v23, v20
	v_mul_f32_e32 v23, v39, v20
	v_fma_f32 v24, -v38, v23, v39
	v_fmac_f32_e32 v23, v24, v20
	v_fma_f32 v25, -v38, v23, v39
	v_div_fmas_f32 v20, v25, v20, v23
	s_mov_b64 vcc, s[2:3]
	v_mov_b32_e32 v16, 0xbe2aaa9d
	v_fma_f32 v18, v27, v36, v16
	v_mul_f32_e32 v18, v27, v18
	v_fmac_f32_e32 v12, v12, v18
	v_mov_b32_e32 v18, 0xbab64f3b
	v_rcp_f32_e32 v24, v17
	v_mov_b32_e32 v21, 0xbab64f3b
	v_fmac_f32_e32 v21, 0x37d75334, v27
	v_mov_b32_e32 v22, 0x3d2aabf7
	v_fma_f32 v23, -v17, v24, 1.0
	v_fmac_f32_e32 v24, v23, v24
	v_mul_f32_e32 v23, v19, v24
	v_fma_f32 v25, -v17, v23, v19
	v_fmac_f32_e32 v23, v25, v24
	v_fma_f32 v17, -v17, v23, v19
	v_div_fmas_f32 v17, v17, v24, v23
	v_fma_f32 v19, v27, v21, v22
	v_mov_b32_e32 v21, 0xbf000004
	v_fma_f32 v19, v27, v19, v21
	v_and_b32_e32 v23, 1, v10
	v_fma_f32 v19, v27, v19, 1.0
	v_cmp_eq_u32_e32 vcc, 0, v23
	s_movk_i32 s0, 0x1f8
	v_cndmask_b32_e64 v12, -v12, v19, vcc
	v_lshlrev_b32_e32 v10, 30, v10
	v_cmp_class_f32_e64 vcc, v3, s0
	v_xor_b32_e32 v3, v5, v3
	v_and_b32_e32 v10, 0x80000000, v10
	v_xor_b32_e32 v10, v10, v12
	v_mov_b32_e32 v12, 0x7fc00000
	v_cndmask_b32_e32 v10, v12, v10, vcc
	v_div_fixup_f32 v8, v17, v26, v8
	v_mul_f32_e32 v17, v14, v14
	v_fmac_f32_e32 v35, 0xb94c1982, v17
	v_fmac_f32_e32 v18, 0x37d75334, v17
	;; [unrolled: 1-line block ×4, first 2 shown]
	v_mul_f32_e32 v16, v17, v16
	v_fmac_f32_e32 v21, v17, v22
	v_fmac_f32_e32 v14, v14, v16
	v_fma_f32 v16, v17, v21, 1.0
	v_and_b32_e32 v17, 1, v13
	v_lshlrev_b32_e32 v13, 30, v13
	v_cmp_eq_u32_e64 s[0:1], 0, v17
	v_and_b32_e32 v13, 0x80000000, v13
	v_cndmask_b32_e64 v14, v16, v14, s[0:1]
	v_xor_b32_e32 v3, v3, v13
	v_xor_b32_e32 v3, v3, v14
	s_mov_b32 s0, 0xf800000
	v_cndmask_b32_e32 v3, v12, v3, vcc
	v_mul_f32_e32 v5, 0x4f800000, v1
	v_cmp_gt_f32_e32 vcc, s0, v1
	v_div_fixup_f32 v19, v20, v1, s4
	v_cndmask_b32_e32 v1, v1, v5, vcc
	v_sqrt_f32_e32 v5, v1
	v_mul_f32_e32 v8, v19, v8
	v_mul_f32_e32 v3, v8, v3
	v_fmac_f32_e32 v3, v15, v10
	v_add_u32_e32 v8, -1, v5
	v_fma_f32 v10, -v8, v5, v1
	v_cmp_ge_f32_e64 s[0:1], 0, v10
	v_add_u32_e32 v10, 1, v5
	v_cndmask_b32_e64 v8, v5, v8, s[0:1]
	v_fma_f32 v5, -v10, v5, v1
	v_cmp_lt_f32_e64 s[0:1], 0, v5
	v_cndmask_b32_e64 v5, v8, v10, s[0:1]
	v_mul_f32_e32 v8, 0x37800000, v5
	v_cndmask_b32_e32 v5, v5, v8, vcc
	v_mov_b32_e32 v8, 0x260
	v_cmp_class_f32_e32 vcc, v1, v8
	v_mul_f32_e32 v3, 0x3f4c422a, v3
	v_cndmask_b32_e32 v1, v5, v1, vcc
	v_div_scale_f32 v5, s[0:1], v1, v1, v3
	v_div_scale_f32 v8, vcc, v3, v1, v3
	v_rcp_f32_e32 v10, v5
	v_fma_f32 v12, -v5, v10, 1.0
	v_fmac_f32_e32 v10, v12, v10
	v_mul_f32_e32 v12, v8, v10
	v_fma_f32 v13, -v5, v12, v8
	v_fmac_f32_e32 v12, v13, v10
	v_fma_f32 v5, -v5, v12, v8
	v_div_fmas_f32 v5, v5, v10, v12
	v_div_fixup_f32 v5, v5, v1, v3
.LBB21_1347:
	s_or_b64 exec, exec, s[14:15]
	s_lshr_b32 s0, s20, 16
	v_mov_b32_e32 v1, s11
	s_and_b32 s21, s0, 0xff
	v_add_co_u32_e32 v10, vcc, s10, v11
	s_cmp_lt_i32 s21, 11
	v_addc_co_u32_e32 v11, vcc, 0, v1, vcc
	s_cbranch_scc1 .LBB21_1354
; %bb.1348:
	s_and_b32 s18, 0xffff, s21
	s_cmp_gt_i32 s18, 25
	s_mov_b64 s[2:3], 0
	s_cbranch_scc0 .LBB21_1356
; %bb.1349:
	s_cmp_gt_i32 s18, 28
	s_cbranch_scc0 .LBB21_1357
; %bb.1350:
	s_cmp_gt_i32 s18, 43
	;; [unrolled: 3-line block ×3, first 2 shown]
	s_cbranch_scc0 .LBB21_1360
; %bb.1352:
	s_cmp_eq_u32 s18, 46
	s_mov_b64 s[14:15], 0
	s_cbranch_scc0 .LBB21_1363
; %bb.1353:
	global_load_dword v1, v[10:11], off
	s_mov_b64 s[0:1], 0
	s_mov_b64 s[4:5], -1
	s_waitcnt vmcnt(0)
	v_lshlrev_b32_e32 v1, 16, v1
	s_branch .LBB21_1364
.LBB21_1354:
	s_mov_b64 s[4:5], 0
                                        ; implicit-def: $vgpr1
	s_cbranch_execnz .LBB21_1429
.LBB21_1355:
	s_andn2_b64 vcc, exec, s[4:5]
	s_cbranch_vccnz .LBB21_1776
	s_branch .LBB21_1476
.LBB21_1356:
	s_mov_b64 s[4:5], 0
	s_mov_b64 s[0:1], 0
                                        ; implicit-def: $vgpr1
	s_cbranch_execnz .LBB21_1393
	s_branch .LBB21_1425
.LBB21_1357:
	s_mov_b64 s[14:15], -1
	s_mov_b64 s[4:5], 0
	s_mov_b64 s[0:1], 0
                                        ; implicit-def: $vgpr1
	s_branch .LBB21_1374
.LBB21_1358:
	s_mov_b64 s[14:15], -1
	s_mov_b64 s[4:5], 0
	s_mov_b64 s[0:1], 0
                                        ; implicit-def: $vgpr1
	s_branch .LBB21_1369
.LBB21_1359:
	s_or_b64 s[12:13], s[6:7], exec
	s_trap 2
	s_cbranch_execz .LBB21_1284
	s_branch .LBB21_1285
.LBB21_1360:
	s_mov_b64 s[14:15], -1
	s_mov_b64 s[4:5], 0
	s_mov_b64 s[0:1], 0
                                        ; implicit-def: $vgpr1
	s_branch .LBB21_1364
.LBB21_1361:
	s_andn2_saveexec_b64 s[14:15], s[14:15]
	s_cbranch_execz .LBB21_1075
.LBB21_1362:
	s_mov_b32 s18, 0x42800000
	v_add_f32_e64 v0, |v1|, s18
	v_and_b32_e32 v0, 0xff, v0
	v_cmp_ne_u32_e32 vcc, 0, v0
	s_andn2_b64 s[12:13], s[12:13], exec
	s_and_b64 s[18:19], vcc, exec
	s_or_b64 s[12:13], s[12:13], s[18:19]
	s_or_b64 exec, exec, s[14:15]
	v_mov_b32_e32 v2, 0
	s_and_saveexec_b64 s[14:15], s[12:13]
	s_cbranch_execnz .LBB21_1076
	s_branch .LBB21_1077
.LBB21_1363:
	s_mov_b64 s[0:1], -1
                                        ; implicit-def: $vgpr1
	s_mov_b64 s[4:5], 0
.LBB21_1364:
	s_and_b64 vcc, exec, s[14:15]
	s_cbranch_vccz .LBB21_1368
; %bb.1365:
	s_cmp_eq_u32 s18, 44
	s_cbranch_scc0 .LBB21_1367
; %bb.1366:
	global_load_ubyte v1, v[10:11], off
	s_movk_i32 s4, 0xff
	v_mov_b32_e32 v3, 0x7f800001
	v_mov_b32_e32 v8, 0x400000
	s_mov_b64 s[0:1], 0
	s_waitcnt vmcnt(0)
	v_lshlrev_b32_e32 v12, 23, v1
	v_cmp_ne_u32_e32 vcc, s4, v1
	v_cndmask_b32_e32 v3, v3, v12, vcc
	v_cmp_ne_u32_e32 vcc, 0, v1
	v_cndmask_b32_e32 v1, v8, v3, vcc
	s_mov_b64 s[4:5], -1
	s_branch .LBB21_1368
.LBB21_1367:
	s_mov_b64 s[0:1], -1
                                        ; implicit-def: $vgpr1
.LBB21_1368:
	s_mov_b64 s[14:15], 0
.LBB21_1369:
	s_and_b64 vcc, exec, s[14:15]
	s_cbranch_vccz .LBB21_1373
; %bb.1370:
	s_cmp_eq_u32 s18, 29
	s_cbranch_scc0 .LBB21_1372
; %bb.1371:
	global_load_dwordx2 v[12:13], v[10:11], off
	s_mov_b64 s[0:1], 0
	s_mov_b64 s[4:5], -1
	s_mov_b64 s[14:15], 0
	s_waitcnt vmcnt(0)
	v_ffbh_u32_e32 v1, v13
	v_min_u32_e32 v1, 32, v1
	v_lshlrev_b64 v[12:13], v1, v[12:13]
	v_sub_u32_e32 v1, 32, v1
	v_min_u32_e32 v3, 1, v12
	v_or_b32_e32 v3, v13, v3
	v_cvt_f32_u32_e32 v3, v3
	v_ldexp_f32 v1, v3, v1
	s_branch .LBB21_1374
.LBB21_1372:
	s_mov_b64 s[0:1], -1
                                        ; implicit-def: $vgpr1
.LBB21_1373:
	s_mov_b64 s[14:15], 0
.LBB21_1374:
	s_and_b64 vcc, exec, s[14:15]
	s_cbranch_vccz .LBB21_1392
; %bb.1375:
	s_cmp_lt_i32 s18, 27
	s_cbranch_scc1 .LBB21_1378
; %bb.1376:
	s_cmp_gt_i32 s18, 27
	s_cbranch_scc0 .LBB21_1379
; %bb.1377:
	global_load_dword v1, v[10:11], off
	s_mov_b64 s[4:5], 0
	s_waitcnt vmcnt(0)
	v_cvt_f32_u32_e32 v1, v1
	s_branch .LBB21_1380
.LBB21_1378:
	s_mov_b64 s[4:5], -1
                                        ; implicit-def: $vgpr1
	s_branch .LBB21_1383
.LBB21_1379:
	s_mov_b64 s[4:5], -1
                                        ; implicit-def: $vgpr1
.LBB21_1380:
	s_andn2_b64 vcc, exec, s[4:5]
	s_cbranch_vccnz .LBB21_1382
; %bb.1381:
	global_load_ushort v1, v[10:11], off
	s_waitcnt vmcnt(0)
	v_cvt_f32_u32_e32 v1, v1
.LBB21_1382:
	s_mov_b64 s[4:5], 0
.LBB21_1383:
	s_andn2_b64 vcc, exec, s[4:5]
	s_cbranch_vccnz .LBB21_1391
; %bb.1384:
	global_load_ubyte v3, v[10:11], off
	s_movk_i32 s4, 0x7f
	s_waitcnt vmcnt(0)
	v_cmp_lt_i16_e32 vcc, s4, v3
	s_mov_b64 s[4:5], 0
	s_and_saveexec_b64 s[14:15], vcc
	s_xor_b64 s[14:15], exec, s[14:15]
	s_cbranch_execz .LBB21_1404
; %bb.1385:
	s_movk_i32 s4, 0x80
	v_cmp_eq_u16_e32 vcc, s4, v3
	s_mov_b64 s[4:5], -1
	s_and_saveexec_b64 s[16:17], vcc
; %bb.1386:
	s_xor_b64 s[4:5], exec, -1
; %bb.1387:
	s_or_b64 exec, exec, s[16:17]
	s_and_b64 s[4:5], s[4:5], exec
	s_or_saveexec_b64 s[14:15], s[14:15]
	v_mov_b32_e32 v1, 0x7f800001
	s_xor_b64 exec, exec, s[14:15]
	s_cbranch_execnz .LBB21_1405
.LBB21_1388:
	s_or_b64 exec, exec, s[14:15]
	s_and_saveexec_b64 s[14:15], s[4:5]
	s_cbranch_execz .LBB21_1390
.LBB21_1389:
	v_lshlrev_b32_e32 v1, 24, v3
	v_and_b32_e32 v3, 0xffff, v3
	v_and_b32_e32 v8, 7, v3
	v_ffbh_u32_e32 v13, v8
	v_min_u32_e32 v13, 32, v13
	v_subrev_u32_e32 v14, 28, v13
	v_bfe_u32 v12, v3, 3, 4
	v_lshlrev_b32_e32 v3, v14, v3
	v_sub_u32_e32 v13, 29, v13
	v_and_b32_e32 v3, 7, v3
	v_cmp_eq_u32_e32 vcc, 0, v12
	v_cndmask_b32_e32 v12, v12, v13, vcc
	v_cndmask_b32_e32 v3, v8, v3, vcc
	v_mov_b32_e32 v8, 0x3b800000
	v_lshlrev_b32_e32 v3, 20, v3
	v_and_b32_e32 v1, 0x80000000, v1
	v_lshl_add_u32 v8, v12, 23, v8
	v_or3_b32 v1, v1, v8, v3
.LBB21_1390:
	s_or_b64 exec, exec, s[14:15]
.LBB21_1391:
	s_mov_b64 s[4:5], -1
.LBB21_1392:
	s_branch .LBB21_1425
.LBB21_1393:
	s_cmp_gt_i32 s18, 22
	s_cbranch_scc0 .LBB21_1403
; %bb.1394:
	s_cmp_lt_i32 s18, 24
	s_cbranch_scc1 .LBB21_1406
; %bb.1395:
	s_cmp_gt_i32 s18, 24
	s_cbranch_scc0 .LBB21_1407
; %bb.1396:
	global_load_ubyte v3, v[10:11], off
	s_movk_i32 s2, 0x7f
	s_waitcnt vmcnt(0)
	v_cmp_lt_i16_e32 vcc, s2, v3
	s_mov_b64 s[2:3], 0
	s_and_saveexec_b64 s[4:5], vcc
	s_xor_b64 s[4:5], exec, s[4:5]
	s_cbranch_execz .LBB21_1419
; %bb.1397:
	s_movk_i32 s2, 0x80
	v_cmp_eq_u16_e32 vcc, s2, v3
	s_mov_b64 s[2:3], -1
	s_and_saveexec_b64 s[14:15], vcc
; %bb.1398:
	s_xor_b64 s[2:3], exec, -1
; %bb.1399:
	s_or_b64 exec, exec, s[14:15]
	s_and_b64 s[2:3], s[2:3], exec
	s_or_saveexec_b64 s[4:5], s[4:5]
	v_mov_b32_e32 v1, 0x7f800001
	s_xor_b64 exec, exec, s[4:5]
	s_cbranch_execnz .LBB21_1420
.LBB21_1400:
	s_or_b64 exec, exec, s[4:5]
	s_and_saveexec_b64 s[4:5], s[2:3]
	s_cbranch_execz .LBB21_1402
.LBB21_1401:
	v_lshlrev_b32_e32 v1, 24, v3
	v_and_b32_e32 v3, 0xffff, v3
	v_and_b32_e32 v8, 3, v3
	v_ffbh_u32_e32 v13, v8
	v_min_u32_e32 v13, 32, v13
	v_subrev_u32_e32 v14, 29, v13
	v_bfe_u32 v12, v3, 2, 5
	v_lshlrev_b32_e32 v3, v14, v3
	v_sub_u32_e32 v13, 30, v13
	v_and_b32_e32 v3, 3, v3
	v_cmp_eq_u32_e32 vcc, 0, v12
	v_cndmask_b32_e32 v12, v12, v13, vcc
	v_cndmask_b32_e32 v3, v8, v3, vcc
	v_mov_b32_e32 v8, 0x37800000
	v_lshlrev_b32_e32 v3, 21, v3
	v_and_b32_e32 v1, 0x80000000, v1
	v_lshl_add_u32 v8, v12, 23, v8
	v_or3_b32 v1, v1, v8, v3
.LBB21_1402:
	s_or_b64 exec, exec, s[4:5]
	s_mov_b64 s[2:3], 0
	s_branch .LBB21_1408
.LBB21_1403:
	s_mov_b64 s[2:3], -1
                                        ; implicit-def: $vgpr1
	s_branch .LBB21_1414
.LBB21_1404:
	s_or_saveexec_b64 s[14:15], s[14:15]
	v_mov_b32_e32 v1, 0x7f800001
	s_xor_b64 exec, exec, s[14:15]
	s_cbranch_execz .LBB21_1388
.LBB21_1405:
	v_cmp_ne_u16_e32 vcc, 0, v3
	s_andn2_b64 s[4:5], s[4:5], exec
	s_and_b64 s[16:17], vcc, exec
	v_mov_b32_e32 v1, 0
	s_or_b64 s[4:5], s[4:5], s[16:17]
	s_or_b64 exec, exec, s[14:15]
	s_and_saveexec_b64 s[14:15], s[4:5]
	s_cbranch_execnz .LBB21_1389
	s_branch .LBB21_1390
.LBB21_1406:
	s_mov_b64 s[2:3], -1
                                        ; implicit-def: $vgpr1
	s_branch .LBB21_1411
.LBB21_1407:
	s_mov_b64 s[2:3], -1
                                        ; implicit-def: $vgpr1
.LBB21_1408:
	s_and_b64 vcc, exec, s[2:3]
	s_cbranch_vccz .LBB21_1410
; %bb.1409:
	global_load_ubyte v1, v[10:11], off
	s_mov_b32 s2, 0x7f800000
	s_waitcnt vmcnt(0)
	v_lshlrev_b32_e32 v1, 24, v1
	v_and_b32_e32 v3, 0x7f000000, v1
	v_ffbh_u32_e32 v8, v3
	v_min_u32_e32 v8, 32, v8
	v_sub_u32_e64 v8, v8, 4 clamp
	v_lshlrev_b32_e32 v13, v8, v3
	v_lshlrev_b32_e32 v8, 23, v8
	v_lshrrev_b32_e32 v13, 4, v13
	v_add_u32_e32 v12, 0x1000000, v3
	v_sub_u32_e32 v8, v13, v8
	v_ashrrev_i32_e32 v12, 8, v12
	v_add_u32_e32 v8, 0x3c000000, v8
	v_and_or_b32 v8, v12, s2, v8
	v_cmp_ne_u32_e32 vcc, 0, v3
	v_cndmask_b32_e32 v3, 0, v8, vcc
	s_brev_b32 s2, 1
	v_and_or_b32 v1, v1, s2, v3
.LBB21_1410:
	s_mov_b64 s[2:3], 0
.LBB21_1411:
	s_andn2_b64 vcc, exec, s[2:3]
	s_cbranch_vccnz .LBB21_1413
; %bb.1412:
	global_load_ubyte v1, v[10:11], off
	s_movk_i32 s2, 0x7f00
	s_brev_b32 s3, 16
	s_waitcnt vmcnt(0)
	v_lshlrev_b16_e32 v3, 8, v1
	v_lshlrev_b32_e32 v1, 25, v1
	v_lshrrev_b32_e32 v8, 4, v1
	v_and_or_b32 v12, v3, s2, 0.5
	v_or_b32_e32 v8, 0x70000000, v8
	v_add_f32_e32 v12, -0.5, v12
	v_mul_f32_e32 v8, 0x7800000, v8
	v_cmp_gt_u32_e32 vcc, s3, v1
	v_bfe_i32 v3, v3, 0, 16
	v_cndmask_b32_e32 v1, v8, v12, vcc
	s_brev_b32 s2, 1
	v_and_or_b32 v1, v3, s2, v1
.LBB21_1413:
	s_mov_b64 s[2:3], 0
	s_mov_b64 s[4:5], -1
.LBB21_1414:
	s_andn2_b64 vcc, exec, s[2:3]
	s_mov_b64 s[2:3], 0
	s_cbranch_vccnz .LBB21_1425
; %bb.1415:
	s_cmp_gt_i32 s18, 14
	s_cbranch_scc0 .LBB21_1418
; %bb.1416:
	s_cmp_eq_u32 s18, 15
	s_cbranch_scc0 .LBB21_1421
; %bb.1417:
	global_load_ushort v1, v[10:11], off
	s_mov_b64 s[0:1], 0
	s_mov_b64 s[4:5], -1
	s_waitcnt vmcnt(0)
	v_lshlrev_b32_e32 v1, 16, v1
	s_branch .LBB21_1422
.LBB21_1418:
	s_mov_b64 s[14:15], -1
                                        ; implicit-def: $vgpr1
	s_branch .LBB21_1423
.LBB21_1419:
	s_or_saveexec_b64 s[4:5], s[4:5]
	v_mov_b32_e32 v1, 0x7f800001
	s_xor_b64 exec, exec, s[4:5]
	s_cbranch_execz .LBB21_1400
.LBB21_1420:
	v_cmp_ne_u16_e32 vcc, 0, v3
	s_andn2_b64 s[2:3], s[2:3], exec
	s_and_b64 s[14:15], vcc, exec
	v_mov_b32_e32 v1, 0
	s_or_b64 s[2:3], s[2:3], s[14:15]
	s_or_b64 exec, exec, s[4:5]
	s_and_saveexec_b64 s[4:5], s[2:3]
	s_cbranch_execnz .LBB21_1401
	s_branch .LBB21_1402
.LBB21_1421:
	s_mov_b64 s[0:1], -1
                                        ; implicit-def: $vgpr1
.LBB21_1422:
	s_mov_b64 s[14:15], 0
.LBB21_1423:
	s_and_b64 vcc, exec, s[14:15]
	s_cbranch_vccz .LBB21_1425
; %bb.1424:
	s_cmp_lg_u32 s18, 11
	s_mov_b64 s[2:3], -1
	s_cselect_b64 s[0:1], -1, 0
.LBB21_1425:
	s_and_b64 vcc, exec, s[0:1]
	s_cbranch_vccnz .LBB21_1504
; %bb.1426:
	s_andn2_b64 vcc, exec, s[2:3]
	s_cbranch_vccnz .LBB21_1428
.LBB21_1427:
	global_load_ubyte v1, v[10:11], off
	s_mov_b64 s[4:5], -1
	s_waitcnt vmcnt(0)
	v_cmp_ne_u16_e32 vcc, 0, v1
	v_cndmask_b32_e64 v1, 0, 1.0, vcc
.LBB21_1428:
	s_branch .LBB21_1355
.LBB21_1429:
	s_and_b32 s2, 0xffff, s21
	s_cmp_lt_i32 s2, 5
	s_cbranch_scc1 .LBB21_1434
; %bb.1430:
	s_cmp_lt_i32 s2, 8
	s_cbranch_scc1 .LBB21_1435
; %bb.1431:
	;; [unrolled: 3-line block ×3, first 2 shown]
	s_cmp_gt_i32 s2, 9
	s_cbranch_scc0 .LBB21_1437
; %bb.1433:
	global_load_dwordx2 v[12:13], v[10:11], off
	s_mov_b64 s[0:1], 0
	s_waitcnt vmcnt(0)
	v_cvt_f32_f64_e32 v1, v[12:13]
	s_branch .LBB21_1438
.LBB21_1434:
                                        ; implicit-def: $vgpr1
	s_branch .LBB21_1456
.LBB21_1435:
	s_mov_b64 s[0:1], -1
                                        ; implicit-def: $vgpr1
	s_branch .LBB21_1444
.LBB21_1436:
	s_mov_b64 s[0:1], -1
                                        ; implicit-def: $vgpr1
	s_branch .LBB21_1441
.LBB21_1437:
	s_mov_b64 s[0:1], -1
                                        ; implicit-def: $vgpr1
.LBB21_1438:
	s_andn2_b64 vcc, exec, s[0:1]
	s_cbranch_vccnz .LBB21_1440
; %bb.1439:
	global_load_dword v1, v[10:11], off
.LBB21_1440:
	s_mov_b64 s[0:1], 0
.LBB21_1441:
	s_andn2_b64 vcc, exec, s[0:1]
	s_cbranch_vccnz .LBB21_1443
; %bb.1442:
	global_load_dword v1, v[10:11], off
	s_waitcnt vmcnt(0)
	v_cvt_f32_f16_e32 v1, v1
.LBB21_1443:
	s_mov_b64 s[0:1], 0
.LBB21_1444:
	s_andn2_b64 vcc, exec, s[0:1]
	s_cbranch_vccnz .LBB21_1455
; %bb.1445:
	s_cmp_lt_i32 s2, 6
	s_cbranch_scc1 .LBB21_1448
; %bb.1446:
	s_cmp_gt_i32 s2, 6
	s_cbranch_scc0 .LBB21_1449
; %bb.1447:
	global_load_dwordx2 v[12:13], v[10:11], off
	s_mov_b64 s[0:1], 0
	s_waitcnt vmcnt(0)
	v_cvt_f32_f64_e32 v1, v[12:13]
	s_branch .LBB21_1450
.LBB21_1448:
	s_mov_b64 s[0:1], -1
                                        ; implicit-def: $vgpr1
	s_branch .LBB21_1453
.LBB21_1449:
	s_mov_b64 s[0:1], -1
                                        ; implicit-def: $vgpr1
.LBB21_1450:
	s_andn2_b64 vcc, exec, s[0:1]
	s_cbranch_vccnz .LBB21_1452
; %bb.1451:
	global_load_dword v1, v[10:11], off
.LBB21_1452:
	s_mov_b64 s[0:1], 0
.LBB21_1453:
	s_andn2_b64 vcc, exec, s[0:1]
	s_cbranch_vccnz .LBB21_1455
; %bb.1454:
	global_load_ushort v1, v[10:11], off
	s_waitcnt vmcnt(0)
	v_cvt_f32_f16_e32 v1, v1
.LBB21_1455:
	s_cbranch_execnz .LBB21_1475
.LBB21_1456:
	s_cmp_lt_i32 s2, 2
	s_cbranch_scc1 .LBB21_1460
; %bb.1457:
	s_cmp_lt_i32 s2, 3
	s_cbranch_scc1 .LBB21_1461
; %bb.1458:
	s_cmp_gt_i32 s2, 3
	s_cbranch_scc0 .LBB21_1462
; %bb.1459:
	global_load_dwordx2 v[12:13], v[10:11], off
	s_mov_b64 s[0:1], 0
	s_waitcnt vmcnt(0)
	v_xor_b32_e32 v3, v12, v13
	v_ffbh_i32_e32 v1, v13
	v_ashrrev_i32_e32 v3, 31, v3
	v_add_u32_e32 v1, -1, v1
	v_add_u32_e32 v3, 32, v3
	v_min_u32_e32 v1, v1, v3
	v_lshlrev_b64 v[12:13], v1, v[12:13]
	v_sub_u32_e32 v1, 32, v1
	v_min_u32_e32 v3, 1, v12
	v_or_b32_e32 v3, v13, v3
	v_cvt_f32_i32_e32 v3, v3
	v_ldexp_f32 v1, v3, v1
	s_branch .LBB21_1463
.LBB21_1460:
	s_mov_b64 s[0:1], -1
                                        ; implicit-def: $vgpr1
	s_branch .LBB21_1469
.LBB21_1461:
	s_mov_b64 s[0:1], -1
                                        ; implicit-def: $vgpr1
	s_branch .LBB21_1466
.LBB21_1462:
	s_mov_b64 s[0:1], -1
                                        ; implicit-def: $vgpr1
.LBB21_1463:
	s_andn2_b64 vcc, exec, s[0:1]
	s_cbranch_vccnz .LBB21_1465
; %bb.1464:
	global_load_dword v1, v[10:11], off
	s_waitcnt vmcnt(0)
	v_cvt_f32_i32_e32 v1, v1
.LBB21_1465:
	s_mov_b64 s[0:1], 0
.LBB21_1466:
	s_andn2_b64 vcc, exec, s[0:1]
	s_cbranch_vccnz .LBB21_1468
; %bb.1467:
	global_load_sshort v1, v[10:11], off
	s_waitcnt vmcnt(0)
	v_cvt_f32_i32_e32 v1, v1
.LBB21_1468:
	s_mov_b64 s[0:1], 0
.LBB21_1469:
	s_andn2_b64 vcc, exec, s[0:1]
	s_cbranch_vccnz .LBB21_1475
; %bb.1470:
	s_cmp_gt_i32 s2, 0
	s_cbranch_scc0 .LBB21_1472
; %bb.1471:
	global_load_sbyte v1, v[10:11], off
	s_mov_b64 s[0:1], 0
	s_waitcnt vmcnt(0)
	v_cvt_f32_i32_e32 v1, v1
	s_branch .LBB21_1473
.LBB21_1472:
	s_mov_b64 s[0:1], -1
                                        ; implicit-def: $vgpr1
.LBB21_1473:
	s_andn2_b64 vcc, exec, s[0:1]
	s_cbranch_vccnz .LBB21_1475
; %bb.1474:
	global_load_ubyte v1, v[10:11], off
	s_waitcnt vmcnt(0)
	v_cvt_f32_ubyte0_e32 v1, v1
.LBB21_1475:
.LBB21_1476:
	s_waitcnt vmcnt(0)
	v_cmp_gt_f32_e32 vcc, 0, v1
	v_cndmask_b32_e64 v1, v1, -v1, vcc
	s_mov_b32 s0, 0x40a00000
	v_cmp_ge_f32_e32 vcc, s0, v1
                                        ; implicit-def: $vgpr3
	s_and_saveexec_b64 s[0:1], vcc
	s_xor_b64 s[0:1], exec, s[0:1]
	s_cbranch_execz .LBB21_1482
; %bb.1477:
	s_mov_b32 s2, 0x3727c5ac
	v_cmp_ngt_f32_e32 vcc, s2, v1
	v_mul_f32_e32 v1, v1, v1
                                        ; implicit-def: $vgpr3
	s_and_saveexec_b64 s[2:3], vcc
	s_xor_b64 s[2:3], exec, s[2:3]
	s_cbranch_execz .LBB21_1479
; %bb.1478:
	v_mov_b32_e32 v3, 0xcf8ee29d
	v_fmac_f32_e32 v3, 0, v1
	v_mov_b32_e32 v8, 0x53e3ba8e
	v_fmac_f32_e32 v8, v1, v3
	;; [unrolled: 2-line block ×12, first 2 shown]
	v_add_f32_e32 v3, 0xc0b90fdc, v1
	v_add_f32_e32 v1, 0xc1f3c525, v1
	v_mul_f32_e32 v1, v3, v1
	v_mul_f32_e32 v1, v1, v8
	v_div_scale_f32 v3, s[4:5], v10, v10, v1
	v_div_scale_f32 v8, vcc, v1, v10, v1
	v_rcp_f32_e32 v11, v3
	v_fma_f32 v12, -v3, v11, 1.0
	v_fmac_f32_e32 v11, v12, v11
	v_mul_f32_e32 v12, v8, v11
	v_fma_f32 v13, -v3, v12, v8
	v_fmac_f32_e32 v12, v13, v11
	v_fma_f32 v3, -v3, v12, v8
	v_div_fmas_f32 v3, v3, v11, v12
	v_div_fixup_f32 v3, v3, v10, v1
                                        ; implicit-def: $vgpr1
.LBB21_1479:
	s_andn2_saveexec_b64 s[2:3], s[2:3]
; %bb.1480:
	s_mov_b32 s4, 0xbe800000
	v_fma_f32 v3, v1, s4, 1.0
; %bb.1481:
	s_or_b64 exec, exec, s[2:3]
                                        ; implicit-def: $vgpr1
.LBB21_1482:
	s_andn2_saveexec_b64 s[14:15], s[0:1]
	s_cbranch_execz .LBB21_1492
; %bb.1483:
	v_add_f32_e32 v3, 0xbf490fdb, v1
	s_brev_b32 s0, 18
	v_and_b32_e32 v8, 0x7fffffff, v3
	v_cmp_nlt_f32_e64 s[16:17], |v3|, s0
                                        ; implicit-def: $vgpr10
                                        ; implicit-def: $vgpr11
	s_and_saveexec_b64 s[0:1], s[16:17]
	s_xor_b64 s[18:19], exec, s[0:1]
	s_cbranch_execz .LBB21_1485
; %bb.1484:
	v_and_b32_e32 v10, 0x7fffff, v8
	v_or_b32_e32 v19, 0x800000, v10
	s_mov_b32 s0, 0xfe5163ab
	v_mad_u64_u32 v[10:11], s[0:1], v19, s0, 0
	v_mov_b32_e32 v12, 0
	s_mov_b32 s0, 0x3c439041
	v_mad_u64_u32 v[13:14], s[0:1], v19, s0, v[11:12]
	s_mov_b32 s0, 0xdb629599
	v_not_b32_e32 v18, 63
	v_mov_b32_e32 v11, v14
	v_mad_u64_u32 v[14:15], s[0:1], v19, s0, v[11:12]
	s_mov_b32 s0, 0xf534ddc0
	v_not_b32_e32 v21, 31
	v_mov_b32_e32 v11, v15
	v_mad_u64_u32 v[15:16], s[0:1], v19, s0, v[11:12]
	v_lshrrev_b32_e32 v11, 23, v8
	v_add_u32_e32 v20, 0xffffff88, v11
	v_mov_b32_e32 v11, v16
	s_mov_b32 s0, 0xfc2757d1
	v_mad_u64_u32 v[16:17], s[0:1], v19, s0, v[11:12]
	v_cmp_lt_u32_e32 vcc, 63, v20
	v_cndmask_b32_e32 v11, 0, v18, vcc
	v_add_u32_e32 v20, v11, v20
	v_mov_b32_e32 v11, v17
	s_mov_b32 s0, 0x4e441529
	v_mad_u64_u32 v[17:18], s[0:1], v19, s0, v[11:12]
	v_cmp_lt_u32_e64 s[0:1], 31, v20
	v_cndmask_b32_e64 v11, 0, v21, s[0:1]
	v_add_u32_e32 v20, v11, v20
	v_mov_b32_e32 v11, v18
	s_mov_b32 s2, 0xa2f9836e
	v_mad_u64_u32 v[11:12], s[2:3], v19, s2, v[11:12]
	v_cmp_lt_u32_e64 s[2:3], 31, v20
	v_cndmask_b32_e64 v18, 0, v21, s[2:3]
	v_cndmask_b32_e32 v19, v17, v15, vcc
	v_cndmask_b32_e32 v11, v11, v16, vcc
	;; [unrolled: 1-line block ×3, first 2 shown]
	v_add_u32_e32 v18, v18, v20
	v_cndmask_b32_e64 v20, v11, v19, s[0:1]
	v_cndmask_b32_e64 v11, v12, v11, s[0:1]
	v_cndmask_b32_e32 v12, v16, v14, vcc
	v_cndmask_b32_e64 v16, v19, v12, s[0:1]
	v_cndmask_b32_e64 v11, v11, v20, s[2:3]
	;; [unrolled: 1-line block ×3, first 2 shown]
	v_sub_u32_e32 v19, 32, v18
	v_alignbit_b32 v20, v11, v17, v19
	v_cmp_eq_u32_e64 s[4:5], 0, v18
	v_cndmask_b32_e64 v18, v20, v11, s[4:5]
	v_cndmask_b32_e32 v11, v15, v13, vcc
	v_cndmask_b32_e64 v12, v12, v11, s[0:1]
	v_cndmask_b32_e64 v13, v16, v12, s[2:3]
	v_alignbit_b32 v15, v17, v13, v19
	v_cndmask_b32_e32 v10, v14, v10, vcc
	v_cndmask_b32_e64 v15, v15, v17, s[4:5]
	v_bfe_u32 v20, v18, 29, 1
	v_cndmask_b32_e64 v10, v11, v10, s[0:1]
	v_alignbit_b32 v16, v18, v15, 30
	v_sub_u32_e32 v21, 0, v20
	v_cndmask_b32_e64 v10, v12, v10, s[2:3]
	v_xor_b32_e32 v16, v16, v21
	v_alignbit_b32 v11, v13, v10, v19
	v_cndmask_b32_e64 v11, v11, v13, s[4:5]
	v_ffbh_u32_e32 v13, v16
	v_alignbit_b32 v12, v15, v11, 30
	v_min_u32_e32 v13, 32, v13
	v_alignbit_b32 v10, v11, v10, 30
	v_xor_b32_e32 v12, v12, v21
	v_sub_u32_e32 v14, 31, v13
	v_xor_b32_e32 v10, v10, v21
	v_alignbit_b32 v15, v16, v12, v14
	v_alignbit_b32 v10, v12, v10, v14
	;; [unrolled: 1-line block ×3, first 2 shown]
	v_ffbh_u32_e32 v12, v11
	v_min_u32_e32 v12, 32, v12
	v_lshrrev_b32_e32 v17, 29, v18
	v_not_b32_e32 v14, v12
	v_alignbit_b32 v10, v11, v10, v14
	v_lshlrev_b32_e32 v11, 31, v17
	v_or_b32_e32 v14, 0x33000000, v11
	v_add_lshl_u32 v12, v12, v13, 23
	v_lshrrev_b32_e32 v10, 9, v10
	v_sub_u32_e32 v12, v14, v12
	v_or_b32_e32 v11, 0.5, v11
	v_lshlrev_b32_e32 v13, 23, v13
	v_or_b32_e32 v10, v12, v10
	v_lshrrev_b32_e32 v12, 9, v15
	v_sub_u32_e32 v11, v11, v13
	v_or_b32_e32 v11, v12, v11
	s_mov_b32 s0, 0x3fc90fda
	v_mul_f32_e32 v12, 0x3fc90fda, v11
	v_fma_f32 v13, v11, s0, -v12
	v_fmac_f32_e32 v13, 0x33a22168, v11
	v_fmac_f32_e32 v13, 0x3fc90fda, v10
	v_lshrrev_b32_e32 v10, 30, v18
	v_add_f32_e32 v11, v12, v13
	v_add_u32_e32 v10, v20, v10
	s_andn2_saveexec_b64 s[0:1], s[18:19]
	s_cbranch_execz .LBB21_1487
	s_branch .LBB21_1486
.LBB21_1485:
	s_andn2_saveexec_b64 s[0:1], s[18:19]
	s_cbranch_execz .LBB21_1487
.LBB21_1486:
	s_mov_b32 s2, 0x3f22f983
	v_mul_f32_e64 v10, |v3|, s2
	v_rndne_f32_e32 v12, v10
	s_mov_b32 s2, 0xbfc90fda
	v_cvt_i32_f32_e32 v10, v12
	v_fma_f32 v11, v12, s2, |v3|
	v_fmac_f32_e32 v11, 0xb3a22168, v12
	v_fmac_f32_e32 v11, 0xa7c234c4, v12
.LBB21_1487:
	s_or_b64 exec, exec, s[0:1]
                                        ; implicit-def: $vgpr12
                                        ; implicit-def: $vgpr13
	s_and_saveexec_b64 s[0:1], s[16:17]
	s_xor_b64 s[16:17], exec, s[0:1]
	s_cbranch_execz .LBB21_1489
; %bb.1488:
	v_and_b32_e32 v12, 0x7fffff, v8
	v_or_b32_e32 v21, 0x800000, v12
	s_mov_b32 s0, 0xfe5163ab
	v_mad_u64_u32 v[12:13], s[0:1], v21, s0, 0
	v_mov_b32_e32 v14, 0
	s_mov_b32 s0, 0x3c439041
	v_mad_u64_u32 v[15:16], s[0:1], v21, s0, v[13:14]
	s_mov_b32 s0, 0xdb629599
	v_not_b32_e32 v20, 63
	v_mov_b32_e32 v13, v16
	v_mad_u64_u32 v[16:17], s[0:1], v21, s0, v[13:14]
	s_mov_b32 s0, 0xf534ddc0
	v_not_b32_e32 v23, 31
	v_mov_b32_e32 v13, v17
	v_mad_u64_u32 v[17:18], s[0:1], v21, s0, v[13:14]
	v_lshrrev_b32_e32 v13, 23, v8
	v_add_u32_e32 v22, 0xffffff88, v13
	v_mov_b32_e32 v13, v18
	s_mov_b32 s0, 0xfc2757d1
	v_mad_u64_u32 v[18:19], s[0:1], v21, s0, v[13:14]
	v_cmp_lt_u32_e32 vcc, 63, v22
	v_cndmask_b32_e32 v13, 0, v20, vcc
	v_add_u32_e32 v22, v13, v22
	v_mov_b32_e32 v13, v19
	s_mov_b32 s0, 0x4e441529
	v_mad_u64_u32 v[19:20], s[0:1], v21, s0, v[13:14]
	v_cmp_lt_u32_e64 s[0:1], 31, v22
	v_cndmask_b32_e64 v13, 0, v23, s[0:1]
	v_add_u32_e32 v22, v13, v22
	v_mov_b32_e32 v13, v20
	s_mov_b32 s2, 0xa2f9836e
	v_mad_u64_u32 v[13:14], s[2:3], v21, s2, v[13:14]
	v_cmp_lt_u32_e64 s[2:3], 31, v22
	v_cndmask_b32_e64 v20, 0, v23, s[2:3]
	v_cndmask_b32_e32 v21, v19, v17, vcc
	v_cndmask_b32_e32 v13, v13, v18, vcc
	;; [unrolled: 1-line block ×3, first 2 shown]
	v_add_u32_e32 v20, v20, v22
	v_cndmask_b32_e64 v22, v13, v21, s[0:1]
	v_cndmask_b32_e64 v13, v14, v13, s[0:1]
	v_cndmask_b32_e32 v14, v18, v16, vcc
	v_cndmask_b32_e64 v18, v21, v14, s[0:1]
	v_cndmask_b32_e64 v13, v13, v22, s[2:3]
	;; [unrolled: 1-line block ×3, first 2 shown]
	v_sub_u32_e32 v21, 32, v20
	v_alignbit_b32 v22, v13, v19, v21
	v_cmp_eq_u32_e64 s[4:5], 0, v20
	v_cndmask_b32_e64 v20, v22, v13, s[4:5]
	v_cndmask_b32_e32 v13, v17, v15, vcc
	v_cndmask_b32_e64 v14, v14, v13, s[0:1]
	v_cndmask_b32_e64 v15, v18, v14, s[2:3]
	v_alignbit_b32 v17, v19, v15, v21
	v_cndmask_b32_e32 v12, v16, v12, vcc
	v_cndmask_b32_e64 v17, v17, v19, s[4:5]
	v_bfe_u32 v22, v20, 29, 1
	v_cndmask_b32_e64 v12, v13, v12, s[0:1]
	v_alignbit_b32 v18, v20, v17, 30
	v_sub_u32_e32 v23, 0, v22
	v_cndmask_b32_e64 v12, v14, v12, s[2:3]
	v_xor_b32_e32 v18, v18, v23
	v_alignbit_b32 v13, v15, v12, v21
	v_cndmask_b32_e64 v13, v13, v15, s[4:5]
	v_ffbh_u32_e32 v15, v18
	v_alignbit_b32 v14, v17, v13, 30
	v_min_u32_e32 v15, 32, v15
	v_alignbit_b32 v12, v13, v12, 30
	v_xor_b32_e32 v14, v14, v23
	v_sub_u32_e32 v16, 31, v15
	v_xor_b32_e32 v12, v12, v23
	v_alignbit_b32 v17, v18, v14, v16
	v_alignbit_b32 v12, v14, v12, v16
	;; [unrolled: 1-line block ×3, first 2 shown]
	v_ffbh_u32_e32 v14, v13
	v_min_u32_e32 v14, 32, v14
	v_lshrrev_b32_e32 v19, 29, v20
	v_not_b32_e32 v16, v14
	v_alignbit_b32 v12, v13, v12, v16
	v_lshlrev_b32_e32 v13, 31, v19
	v_or_b32_e32 v16, 0x33000000, v13
	v_add_lshl_u32 v14, v14, v15, 23
	v_lshrrev_b32_e32 v12, 9, v12
	v_sub_u32_e32 v14, v16, v14
	v_or_b32_e32 v13, 0.5, v13
	v_lshlrev_b32_e32 v15, 23, v15
	v_or_b32_e32 v12, v14, v12
	v_lshrrev_b32_e32 v14, 9, v17
	v_sub_u32_e32 v13, v13, v15
	v_or_b32_e32 v13, v14, v13
	s_mov_b32 s0, 0x3fc90fda
	v_mul_f32_e32 v14, 0x3fc90fda, v13
	v_fma_f32 v15, v13, s0, -v14
	v_fmac_f32_e32 v15, 0x33a22168, v13
	v_fmac_f32_e32 v15, 0x3fc90fda, v12
	v_lshrrev_b32_e32 v12, 30, v20
	v_add_f32_e32 v13, v14, v15
	v_add_u32_e32 v12, v22, v12
	s_andn2_saveexec_b64 s[0:1], s[16:17]
	s_cbranch_execnz .LBB21_1490
	s_branch .LBB21_1491
.LBB21_1489:
	s_andn2_saveexec_b64 s[0:1], s[16:17]
	s_cbranch_execz .LBB21_1491
.LBB21_1490:
	s_mov_b32 s2, 0x3f22f983
	v_mul_f32_e64 v12, |v3|, s2
	v_rndne_f32_e32 v14, v12
	s_mov_b32 s2, 0xbfc90fda
	v_cvt_i32_f32_e32 v12, v14
	v_fma_f32 v13, v14, s2, |v3|
	v_fmac_f32_e32 v13, 0xb3a22168, v14
	v_fmac_f32_e32 v13, 0xa7c234c4, v14
.LBB21_1491:
	s_or_b64 exec, exec, s[0:1]
	v_mul_f32_e32 v14, v1, v1
	s_mov_b32 s2, 0x41c80000
	v_div_scale_f32 v15, s[0:1], v14, v14, s2
	v_div_scale_f32 v16, vcc, s2, v14, s2
	v_mov_b32_e32 v18, 0x3a50e985
	v_mov_b32_e32 v19, 0x3da9a586
	v_mov_b32_e32 v23, 0x3daf5e2d
	v_mov_b32_e32 v20, 0x3f9ea90a
	v_mov_b32_e32 v24, 0x3fa07396
	v_mov_b32_e32 v25, 0x40af123f
	v_mov_b32_e32 v26, 0x410c30c7
	v_mov_b32_e32 v27, 0x40a9cb2f
	v_mov_b32_e32 v28, 0xbc3a3a12
	v_mov_b32_e32 v29, 0xbfa429da
	v_mov_b32_e32 v30, 0xc19c6e80
	v_mov_b32_e32 v31, 0xc2ba697b
	v_rcp_f32_e32 v17, v15
	v_mov_b32_e32 v32, 0xc331ae61
	v_mov_b32_e32 v33, 0xc31313d7
	v_mul_f32_e32 v34, v11, v11
	v_fma_f32 v21, -v15, v17, 1.0
	v_fmac_f32_e32 v17, v21, v17
	v_mul_f32_e32 v21, v16, v17
	v_fma_f32 v22, -v15, v21, v16
	v_fmac_f32_e32 v21, v22, v17
	v_fma_f32 v15, -v15, v21, v16
	v_div_fmas_f32 v15, v15, v17, v21
	v_mov_b32_e32 v22, 0x3a725406
	v_mov_b32_e32 v16, 0x40ae4fdf
	;; [unrolled: 1-line block ×5, first 2 shown]
	v_fmac_f32_e32 v36, 0xb94c1982, v34
	v_mov_b32_e32 v35, 0x3c0881c4
	v_div_fixup_f32 v15, v15, v14, s2
	v_fmac_f32_e32 v18, 0, v15
	v_fmac_f32_e32 v22, 0, v15
	;; [unrolled: 1-line block ×12, first 2 shown]
	v_fma_f32 v16, v15, v27, 1.0
	v_fma_f32 v17, v15, v21, 1.0
	v_div_scale_f32 v18, s[0:1], v16, v16, v17
	v_div_scale_f32 v22, vcc, v17, v16, v17
	v_mov_b32_e32 v20, 0x4280a2ba
	s_mov_b32 s2, 0xc0a00000
	v_fmac_f32_e32 v28, 0, v15
	v_mov_b32_e32 v21, 0x44561b86
	v_div_scale_f32 v38, s[0:1], v1, v1, s2
	v_fmac_f32_e32 v20, 0, v15
	v_fmac_f32_e32 v29, v15, v28
	v_mov_b32_e32 v23, 0x4572a66e
	v_fmac_f32_e32 v21, v15, v20
	v_fmac_f32_e32 v30, v15, v29
	v_mov_b32_e32 v24, 0x45e243be
	v_rcp_f32_e32 v37, v18
	v_fmac_f32_e32 v23, v15, v21
	v_fmac_f32_e32 v31, v15, v30
	v_mov_b32_e32 v25, 0x45b955d1
	v_fma_f32 v39, -v18, v37, 1.0
	v_fmac_f32_e32 v37, v39, v37
	v_mul_f32_e32 v39, v22, v37
	v_fma_f32 v40, -v18, v39, v22
	v_fmac_f32_e32 v39, v40, v37
	v_fma_f32 v18, -v18, v39, v22
	v_div_fmas_f32 v18, v18, v37, v39
	v_fmac_f32_e32 v24, v15, v23
	v_fmac_f32_e32 v32, v15, v31
	v_mov_b32_e32 v19, 0xc24da463
	v_mov_b32_e32 v26, 0x4500e17e
	v_fmac_f32_e32 v25, v15, v24
	v_fmac_f32_e32 v33, v15, v32
	v_mov_b32_e32 v14, 0xc0c19ac7
	v_mov_b32_e32 v27, 0x43720178
	v_fmac_f32_e32 v26, v15, v25
	v_fmac_f32_e32 v19, v15, v33
	;; [unrolled: 1-line block ×4, first 2 shown]
	v_rcp_f32_e32 v21, v38
	v_mov_b32_e32 v22, 0xbab64f3b
	v_fmac_f32_e32 v22, 0x37d75334, v34
	v_div_fixup_f32 v15, v18, v16, v17
	v_div_scale_f32 v16, vcc, s2, v1, s2
	v_div_scale_f32 v18, s[0:1], v27, v27, v14
	v_div_scale_f32 v20, s[0:1], v14, v27, v14
	v_fma_f32 v24, -v38, v21, 1.0
	v_fmac_f32_e32 v21, v24, v21
	v_mov_b32_e32 v17, 0xbe2aaa9d
	v_fma_f32 v19, v34, v36, v17
	v_mul_f32_e32 v19, v34, v19
	v_fmac_f32_e32 v11, v11, v19
	v_mov_b32_e32 v19, 0xbab64f3b
	v_mov_b32_e32 v23, 0x3d2aabf7
	v_mul_f32_e32 v24, v16, v21
	v_fma_f32 v25, -v38, v24, v16
	v_fmac_f32_e32 v24, v25, v21
	v_rcp_f32_e32 v25, v18
	v_fma_f32 v16, -v38, v24, v16
	v_div_fmas_f32 v16, v16, v21, v24
	s_mov_b64 vcc, s[0:1]
	v_fma_f32 v21, -v18, v25, 1.0
	v_fmac_f32_e32 v25, v21, v25
	v_mul_f32_e32 v21, v20, v25
	v_fma_f32 v24, -v18, v21, v20
	v_fmac_f32_e32 v21, v24, v25
	v_fma_f32 v18, -v18, v21, v20
	v_div_fmas_f32 v18, v18, v25, v21
	v_fma_f32 v20, v34, v22, v23
	v_mov_b32_e32 v21, 0xbf000004
	v_fma_f32 v20, v34, v20, v21
	v_and_b32_e32 v22, 1, v10
	v_fma_f32 v20, v34, v20, 1.0
	v_cmp_eq_u32_e32 vcc, 0, v22
	s_movk_i32 s0, 0x1f8
	v_div_fixup_f32 v16, v16, v1, s2
	v_cndmask_b32_e64 v11, -v11, v20, vcc
	v_lshlrev_b32_e32 v10, 30, v10
	v_cmp_class_f32_e64 vcc, v3, s0
	v_xor_b32_e32 v3, v8, v3
	v_and_b32_e32 v10, 0x80000000, v10
	v_xor_b32_e32 v10, v10, v11
	v_mov_b32_e32 v11, 0x7fc00000
	v_div_fixup_f32 v14, v18, v27, v14
	v_mul_f32_e32 v14, v16, v14
	v_mul_f32_e32 v16, v13, v13
	v_fmac_f32_e32 v35, 0xb94c1982, v16
	v_fmac_f32_e32 v17, v16, v35
	v_fmac_f32_e32 v19, 0x37d75334, v16
	v_mul_f32_e32 v17, v16, v17
	v_fmac_f32_e32 v23, v16, v19
	v_fmac_f32_e32 v13, v13, v17
	v_fmac_f32_e32 v21, v16, v23
	v_and_b32_e32 v17, 1, v12
	v_lshlrev_b32_e32 v12, 30, v12
	v_fma_f32 v16, v16, v21, 1.0
	v_cmp_eq_u32_e64 s[0:1], 0, v17
	v_and_b32_e32 v12, 0x80000000, v12
	v_cndmask_b32_e64 v13, v16, v13, s[0:1]
	v_xor_b32_e32 v3, v3, v12
	v_xor_b32_e32 v3, v3, v13
	s_mov_b32 s0, 0xf800000
	v_cndmask_b32_e32 v10, v11, v10, vcc
	v_cndmask_b32_e32 v3, v11, v3, vcc
	v_mul_f32_e32 v8, 0x4f800000, v1
	v_cmp_gt_f32_e32 vcc, s0, v1
	v_cndmask_b32_e32 v1, v1, v8, vcc
	v_sqrt_f32_e32 v8, v1
	v_mul_f32_e32 v3, v14, v3
	v_fmac_f32_e32 v3, v15, v10
	v_mul_f32_e32 v3, 0x3f4c422a, v3
	v_add_u32_e32 v10, -1, v8
	v_fma_f32 v11, -v10, v8, v1
	v_cmp_ge_f32_e64 s[0:1], 0, v11
	v_add_u32_e32 v11, 1, v8
	v_cndmask_b32_e64 v10, v8, v10, s[0:1]
	v_fma_f32 v8, -v11, v8, v1
	v_cmp_lt_f32_e64 s[0:1], 0, v8
	v_cndmask_b32_e64 v8, v10, v11, s[0:1]
	v_mul_f32_e32 v10, 0x37800000, v8
	v_cndmask_b32_e32 v8, v8, v10, vcc
	v_mov_b32_e32 v10, 0x260
	v_cmp_class_f32_e32 vcc, v1, v10
	v_cndmask_b32_e32 v1, v8, v1, vcc
	v_div_scale_f32 v8, s[0:1], v1, v1, v3
	v_div_scale_f32 v10, vcc, v3, v1, v3
	v_rcp_f32_e32 v11, v8
	v_fma_f32 v12, -v8, v11, 1.0
	v_fmac_f32_e32 v11, v12, v11
	v_mul_f32_e32 v12, v10, v11
	v_fma_f32 v13, -v8, v12, v10
	v_fmac_f32_e32 v12, v13, v11
	v_fma_f32 v8, -v8, v12, v10
	v_div_fmas_f32 v8, v8, v11, v12
	v_div_fixup_f32 v3, v8, v1, v3
.LBB21_1492:
	s_or_b64 exec, exec, s[14:15]
	v_mov_b32_e32 v1, s11
	v_add_co_u32_e32 v8, vcc, s10, v9
	s_cmp_lt_i32 s21, 11
	v_addc_co_u32_e32 v9, vcc, 0, v1, vcc
	s_cbranch_scc1 .LBB21_1499
; %bb.1493:
	s_and_b32 s18, 0xffff, s21
	s_cmp_gt_i32 s18, 25
	s_mov_b64 s[2:3], 0
	s_cbranch_scc0 .LBB21_1501
; %bb.1494:
	s_cmp_gt_i32 s18, 28
	s_cbranch_scc0 .LBB21_1502
; %bb.1495:
	s_cmp_gt_i32 s18, 43
	s_cbranch_scc0 .LBB21_1503
; %bb.1496:
	s_cmp_gt_i32 s18, 45
	s_cbranch_scc0 .LBB21_1505
; %bb.1497:
	s_cmp_eq_u32 s18, 46
	s_mov_b64 s[14:15], 0
	s_cbranch_scc0 .LBB21_1506
; %bb.1498:
	global_load_dword v1, v[8:9], off
	s_mov_b64 s[0:1], 0
	s_mov_b64 s[4:5], -1
	s_waitcnt vmcnt(0)
	v_lshlrev_b32_e32 v1, 16, v1
	s_branch .LBB21_1507
.LBB21_1499:
	s_mov_b64 s[4:5], 0
                                        ; implicit-def: $vgpr1
	s_cbranch_execnz .LBB21_1573
.LBB21_1500:
	s_andn2_b64 vcc, exec, s[4:5]
	s_cbranch_vccnz .LBB21_1776
	s_branch .LBB21_1621
.LBB21_1501:
	s_mov_b64 s[14:15], -1
	s_mov_b64 s[4:5], 0
	s_mov_b64 s[0:1], 0
                                        ; implicit-def: $vgpr1
	s_branch .LBB21_1536
.LBB21_1502:
	s_mov_b64 s[14:15], -1
	s_mov_b64 s[4:5], 0
	s_mov_b64 s[0:1], 0
                                        ; implicit-def: $vgpr1
	s_branch .LBB21_1517
.LBB21_1503:
	s_mov_b64 s[14:15], -1
	s_mov_b64 s[4:5], 0
	s_mov_b64 s[0:1], 0
                                        ; implicit-def: $vgpr1
	s_branch .LBB21_1512
.LBB21_1504:
	s_trap 2
	s_or_b64 s[12:13], s[12:13], exec
	s_cbranch_execz .LBB21_1427
	s_branch .LBB21_1428
.LBB21_1505:
	s_mov_b64 s[14:15], -1
	s_mov_b64 s[4:5], 0
	s_mov_b64 s[0:1], 0
                                        ; implicit-def: $vgpr1
	s_branch .LBB21_1507
.LBB21_1506:
	s_mov_b64 s[0:1], -1
                                        ; implicit-def: $vgpr1
	s_mov_b64 s[4:5], 0
.LBB21_1507:
	s_and_b64 vcc, exec, s[14:15]
	s_cbranch_vccz .LBB21_1511
; %bb.1508:
	s_cmp_eq_u32 s18, 44
	s_cbranch_scc0 .LBB21_1510
; %bb.1509:
	global_load_ubyte v1, v[8:9], off
	s_movk_i32 s4, 0xff
	v_mov_b32_e32 v10, 0x7f800001
	v_mov_b32_e32 v11, 0x400000
	s_mov_b64 s[0:1], 0
	s_waitcnt vmcnt(0)
	v_lshlrev_b32_e32 v12, 23, v1
	v_cmp_ne_u32_e32 vcc, s4, v1
	v_cndmask_b32_e32 v10, v10, v12, vcc
	v_cmp_ne_u32_e32 vcc, 0, v1
	v_cndmask_b32_e32 v1, v11, v10, vcc
	s_mov_b64 s[4:5], -1
	s_branch .LBB21_1511
.LBB21_1510:
	s_mov_b64 s[0:1], -1
                                        ; implicit-def: $vgpr1
.LBB21_1511:
	s_mov_b64 s[14:15], 0
.LBB21_1512:
	s_and_b64 vcc, exec, s[14:15]
	s_cbranch_vccz .LBB21_1516
; %bb.1513:
	s_cmp_eq_u32 s18, 29
	s_cbranch_scc0 .LBB21_1515
; %bb.1514:
	global_load_dwordx2 v[10:11], v[8:9], off
	s_mov_b64 s[0:1], 0
	s_mov_b64 s[4:5], -1
	s_mov_b64 s[14:15], 0
	s_waitcnt vmcnt(0)
	v_ffbh_u32_e32 v1, v11
	v_min_u32_e32 v1, 32, v1
	v_lshlrev_b64 v[10:11], v1, v[10:11]
	v_sub_u32_e32 v1, 32, v1
	v_min_u32_e32 v10, 1, v10
	v_or_b32_e32 v10, v11, v10
	v_cvt_f32_u32_e32 v10, v10
	v_ldexp_f32 v1, v10, v1
	s_branch .LBB21_1517
.LBB21_1515:
	s_mov_b64 s[0:1], -1
                                        ; implicit-def: $vgpr1
.LBB21_1516:
	s_mov_b64 s[14:15], 0
.LBB21_1517:
	s_and_b64 vcc, exec, s[14:15]
	s_cbranch_vccz .LBB21_1535
; %bb.1518:
	s_cmp_lt_i32 s18, 27
	s_cbranch_scc1 .LBB21_1521
; %bb.1519:
	s_cmp_gt_i32 s18, 27
	s_cbranch_scc0 .LBB21_1522
; %bb.1520:
	global_load_dword v1, v[8:9], off
	s_mov_b64 s[4:5], 0
	s_waitcnt vmcnt(0)
	v_cvt_f32_u32_e32 v1, v1
	s_branch .LBB21_1523
.LBB21_1521:
	s_mov_b64 s[4:5], -1
                                        ; implicit-def: $vgpr1
	s_branch .LBB21_1526
.LBB21_1522:
	s_mov_b64 s[4:5], -1
                                        ; implicit-def: $vgpr1
.LBB21_1523:
	s_andn2_b64 vcc, exec, s[4:5]
	s_cbranch_vccnz .LBB21_1525
; %bb.1524:
	global_load_ushort v1, v[8:9], off
	s_waitcnt vmcnt(0)
	v_cvt_f32_u32_e32 v1, v1
.LBB21_1525:
	s_mov_b64 s[4:5], 0
.LBB21_1526:
	s_andn2_b64 vcc, exec, s[4:5]
	s_cbranch_vccnz .LBB21_1534
; %bb.1527:
	global_load_ubyte v10, v[8:9], off
	s_movk_i32 s4, 0x7f
	s_waitcnt vmcnt(0)
	v_cmp_lt_i16_e32 vcc, s4, v10
	s_mov_b64 s[4:5], 0
	s_and_saveexec_b64 s[14:15], vcc
	s_xor_b64 s[14:15], exec, s[14:15]
	s_cbranch_execz .LBB21_1548
; %bb.1528:
	s_movk_i32 s4, 0x80
	v_cmp_eq_u16_e32 vcc, s4, v10
	s_mov_b64 s[4:5], -1
	s_and_saveexec_b64 s[16:17], vcc
; %bb.1529:
	s_xor_b64 s[4:5], exec, -1
; %bb.1530:
	s_or_b64 exec, exec, s[16:17]
	s_and_b64 s[4:5], s[4:5], exec
	s_or_saveexec_b64 s[14:15], s[14:15]
	v_mov_b32_e32 v1, 0x7f800001
	s_xor_b64 exec, exec, s[14:15]
	s_cbranch_execnz .LBB21_1549
.LBB21_1531:
	s_or_b64 exec, exec, s[14:15]
	s_and_saveexec_b64 s[14:15], s[4:5]
	s_cbranch_execz .LBB21_1533
.LBB21_1532:
	v_lshlrev_b32_e32 v1, 24, v10
	v_and_b32_e32 v10, 0xffff, v10
	v_and_b32_e32 v11, 7, v10
	v_ffbh_u32_e32 v13, v11
	v_min_u32_e32 v13, 32, v13
	v_subrev_u32_e32 v14, 28, v13
	v_bfe_u32 v12, v10, 3, 4
	v_lshlrev_b32_e32 v10, v14, v10
	v_sub_u32_e32 v13, 29, v13
	v_and_b32_e32 v10, 7, v10
	v_cmp_eq_u32_e32 vcc, 0, v12
	v_cndmask_b32_e32 v12, v12, v13, vcc
	v_cndmask_b32_e32 v10, v11, v10, vcc
	v_mov_b32_e32 v11, 0x3b800000
	v_lshlrev_b32_e32 v10, 20, v10
	v_and_b32_e32 v1, 0x80000000, v1
	v_lshl_add_u32 v11, v12, 23, v11
	v_or3_b32 v1, v1, v11, v10
.LBB21_1533:
	s_or_b64 exec, exec, s[14:15]
.LBB21_1534:
	s_mov_b64 s[4:5], -1
.LBB21_1535:
	s_mov_b64 s[14:15], 0
.LBB21_1536:
	s_and_b64 vcc, exec, s[14:15]
	s_cbranch_vccz .LBB21_1569
; %bb.1537:
	s_cmp_gt_i32 s18, 22
	s_cbranch_scc0 .LBB21_1547
; %bb.1538:
	s_cmp_lt_i32 s18, 24
	s_cbranch_scc1 .LBB21_1550
; %bb.1539:
	s_cmp_gt_i32 s18, 24
	s_cbranch_scc0 .LBB21_1551
; %bb.1540:
	global_load_ubyte v10, v[8:9], off
	s_movk_i32 s2, 0x7f
	s_waitcnt vmcnt(0)
	v_cmp_lt_i16_e32 vcc, s2, v10
	s_mov_b64 s[2:3], 0
	s_and_saveexec_b64 s[4:5], vcc
	s_xor_b64 s[4:5], exec, s[4:5]
	s_cbranch_execz .LBB21_1563
; %bb.1541:
	s_movk_i32 s2, 0x80
	v_cmp_eq_u16_e32 vcc, s2, v10
	s_mov_b64 s[2:3], -1
	s_and_saveexec_b64 s[14:15], vcc
; %bb.1542:
	s_xor_b64 s[2:3], exec, -1
; %bb.1543:
	s_or_b64 exec, exec, s[14:15]
	s_and_b64 s[2:3], s[2:3], exec
	s_or_saveexec_b64 s[4:5], s[4:5]
	v_mov_b32_e32 v1, 0x7f800001
	s_xor_b64 exec, exec, s[4:5]
	s_cbranch_execnz .LBB21_1564
.LBB21_1544:
	s_or_b64 exec, exec, s[4:5]
	s_and_saveexec_b64 s[4:5], s[2:3]
	s_cbranch_execz .LBB21_1546
.LBB21_1545:
	v_lshlrev_b32_e32 v1, 24, v10
	v_and_b32_e32 v10, 0xffff, v10
	v_and_b32_e32 v11, 3, v10
	v_ffbh_u32_e32 v13, v11
	v_min_u32_e32 v13, 32, v13
	v_subrev_u32_e32 v14, 29, v13
	v_bfe_u32 v12, v10, 2, 5
	v_lshlrev_b32_e32 v10, v14, v10
	v_sub_u32_e32 v13, 30, v13
	v_and_b32_e32 v10, 3, v10
	v_cmp_eq_u32_e32 vcc, 0, v12
	v_cndmask_b32_e32 v12, v12, v13, vcc
	v_cndmask_b32_e32 v10, v11, v10, vcc
	v_mov_b32_e32 v11, 0x37800000
	v_lshlrev_b32_e32 v10, 21, v10
	v_and_b32_e32 v1, 0x80000000, v1
	v_lshl_add_u32 v11, v12, 23, v11
	v_or3_b32 v1, v1, v11, v10
.LBB21_1546:
	s_or_b64 exec, exec, s[4:5]
	s_mov_b64 s[2:3], 0
	s_branch .LBB21_1552
.LBB21_1547:
	s_mov_b64 s[2:3], -1
                                        ; implicit-def: $vgpr1
	s_branch .LBB21_1558
.LBB21_1548:
	s_or_saveexec_b64 s[14:15], s[14:15]
	v_mov_b32_e32 v1, 0x7f800001
	s_xor_b64 exec, exec, s[14:15]
	s_cbranch_execz .LBB21_1531
.LBB21_1549:
	v_cmp_ne_u16_e32 vcc, 0, v10
	s_andn2_b64 s[4:5], s[4:5], exec
	s_and_b64 s[16:17], vcc, exec
	v_mov_b32_e32 v1, 0
	s_or_b64 s[4:5], s[4:5], s[16:17]
	s_or_b64 exec, exec, s[14:15]
	s_and_saveexec_b64 s[14:15], s[4:5]
	s_cbranch_execnz .LBB21_1532
	s_branch .LBB21_1533
.LBB21_1550:
	s_mov_b64 s[2:3], -1
                                        ; implicit-def: $vgpr1
	s_branch .LBB21_1555
.LBB21_1551:
	s_mov_b64 s[2:3], -1
                                        ; implicit-def: $vgpr1
.LBB21_1552:
	s_and_b64 vcc, exec, s[2:3]
	s_cbranch_vccz .LBB21_1554
; %bb.1553:
	global_load_ubyte v1, v[8:9], off
	s_mov_b32 s2, 0x7f800000
	s_waitcnt vmcnt(0)
	v_lshlrev_b32_e32 v1, 24, v1
	v_and_b32_e32 v10, 0x7f000000, v1
	v_ffbh_u32_e32 v11, v10
	v_min_u32_e32 v11, 32, v11
	v_sub_u32_e64 v11, v11, 4 clamp
	v_lshlrev_b32_e32 v13, v11, v10
	v_lshlrev_b32_e32 v11, 23, v11
	v_lshrrev_b32_e32 v13, 4, v13
	v_add_u32_e32 v12, 0x1000000, v10
	v_sub_u32_e32 v11, v13, v11
	v_ashrrev_i32_e32 v12, 8, v12
	v_add_u32_e32 v11, 0x3c000000, v11
	v_and_or_b32 v11, v12, s2, v11
	v_cmp_ne_u32_e32 vcc, 0, v10
	v_cndmask_b32_e32 v10, 0, v11, vcc
	s_brev_b32 s2, 1
	v_and_or_b32 v1, v1, s2, v10
.LBB21_1554:
	s_mov_b64 s[2:3], 0
.LBB21_1555:
	s_andn2_b64 vcc, exec, s[2:3]
	s_cbranch_vccnz .LBB21_1557
; %bb.1556:
	global_load_ubyte v1, v[8:9], off
	s_movk_i32 s2, 0x7f00
	s_brev_b32 s3, 16
	s_waitcnt vmcnt(0)
	v_lshlrev_b16_e32 v10, 8, v1
	v_lshlrev_b32_e32 v1, 25, v1
	v_lshrrev_b32_e32 v11, 4, v1
	v_and_or_b32 v12, v10, s2, 0.5
	v_or_b32_e32 v11, 0x70000000, v11
	v_add_f32_e32 v12, -0.5, v12
	v_mul_f32_e32 v11, 0x7800000, v11
	v_cmp_gt_u32_e32 vcc, s3, v1
	v_bfe_i32 v10, v10, 0, 16
	v_cndmask_b32_e32 v1, v11, v12, vcc
	s_brev_b32 s2, 1
	v_and_or_b32 v1, v10, s2, v1
.LBB21_1557:
	s_mov_b64 s[2:3], 0
	s_mov_b64 s[4:5], -1
.LBB21_1558:
	s_andn2_b64 vcc, exec, s[2:3]
	s_mov_b64 s[2:3], 0
	s_cbranch_vccnz .LBB21_1569
; %bb.1559:
	s_cmp_gt_i32 s18, 14
	s_cbranch_scc0 .LBB21_1562
; %bb.1560:
	s_cmp_eq_u32 s18, 15
	s_cbranch_scc0 .LBB21_1565
; %bb.1561:
	global_load_ushort v1, v[8:9], off
	s_mov_b64 s[0:1], 0
	s_mov_b64 s[4:5], -1
	s_waitcnt vmcnt(0)
	v_lshlrev_b32_e32 v1, 16, v1
	s_branch .LBB21_1566
.LBB21_1562:
	s_mov_b64 s[14:15], -1
                                        ; implicit-def: $vgpr1
	s_branch .LBB21_1567
.LBB21_1563:
	s_or_saveexec_b64 s[4:5], s[4:5]
	v_mov_b32_e32 v1, 0x7f800001
	s_xor_b64 exec, exec, s[4:5]
	s_cbranch_execz .LBB21_1544
.LBB21_1564:
	v_cmp_ne_u16_e32 vcc, 0, v10
	s_andn2_b64 s[2:3], s[2:3], exec
	s_and_b64 s[14:15], vcc, exec
	v_mov_b32_e32 v1, 0
	s_or_b64 s[2:3], s[2:3], s[14:15]
	s_or_b64 exec, exec, s[4:5]
	s_and_saveexec_b64 s[4:5], s[2:3]
	s_cbranch_execnz .LBB21_1545
	s_branch .LBB21_1546
.LBB21_1565:
	s_mov_b64 s[0:1], -1
                                        ; implicit-def: $vgpr1
.LBB21_1566:
	s_mov_b64 s[14:15], 0
.LBB21_1567:
	s_and_b64 vcc, exec, s[14:15]
	s_cbranch_vccz .LBB21_1569
; %bb.1568:
	s_cmp_lg_u32 s18, 11
	s_mov_b64 s[2:3], -1
	s_cselect_b64 s[0:1], -1, 0
.LBB21_1569:
	s_and_b64 vcc, exec, s[0:1]
	s_cbranch_vccnz .LBB21_1648
; %bb.1570:
	s_andn2_b64 vcc, exec, s[2:3]
	s_cbranch_vccnz .LBB21_1572
.LBB21_1571:
	global_load_ubyte v1, v[8:9], off
	s_mov_b64 s[4:5], -1
	s_waitcnt vmcnt(0)
	v_cmp_ne_u16_e32 vcc, 0, v1
	v_cndmask_b32_e64 v1, 0, 1.0, vcc
.LBB21_1572:
	s_branch .LBB21_1500
.LBB21_1573:
	s_and_b32 s2, 0xffff, s21
	s_cmp_lt_i32 s2, 5
	s_cbranch_scc1 .LBB21_1578
; %bb.1574:
	s_cmp_lt_i32 s2, 8
	s_cbranch_scc1 .LBB21_1579
; %bb.1575:
	;; [unrolled: 3-line block ×3, first 2 shown]
	s_cmp_gt_i32 s2, 9
	s_cbranch_scc0 .LBB21_1581
; %bb.1577:
	global_load_dwordx2 v[10:11], v[8:9], off
	s_mov_b64 s[0:1], 0
	s_waitcnt vmcnt(0)
	v_cvt_f32_f64_e32 v1, v[10:11]
	s_branch .LBB21_1582
.LBB21_1578:
	s_mov_b64 s[0:1], -1
                                        ; implicit-def: $vgpr1
	s_branch .LBB21_1600
.LBB21_1579:
	s_mov_b64 s[0:1], -1
                                        ; implicit-def: $vgpr1
	s_branch .LBB21_1588
.LBB21_1580:
	s_mov_b64 s[0:1], -1
                                        ; implicit-def: $vgpr1
	s_branch .LBB21_1585
.LBB21_1581:
	s_mov_b64 s[0:1], -1
                                        ; implicit-def: $vgpr1
.LBB21_1582:
	s_andn2_b64 vcc, exec, s[0:1]
	s_cbranch_vccnz .LBB21_1584
; %bb.1583:
	global_load_dword v1, v[8:9], off
.LBB21_1584:
	s_mov_b64 s[0:1], 0
.LBB21_1585:
	s_andn2_b64 vcc, exec, s[0:1]
	s_cbranch_vccnz .LBB21_1587
; %bb.1586:
	global_load_dword v1, v[8:9], off
	s_waitcnt vmcnt(0)
	v_cvt_f32_f16_e32 v1, v1
.LBB21_1587:
	s_mov_b64 s[0:1], 0
.LBB21_1588:
	s_andn2_b64 vcc, exec, s[0:1]
	s_cbranch_vccnz .LBB21_1599
; %bb.1589:
	s_cmp_lt_i32 s2, 6
	s_cbranch_scc1 .LBB21_1592
; %bb.1590:
	s_cmp_gt_i32 s2, 6
	s_cbranch_scc0 .LBB21_1593
; %bb.1591:
	global_load_dwordx2 v[10:11], v[8:9], off
	s_mov_b64 s[0:1], 0
	s_waitcnt vmcnt(0)
	v_cvt_f32_f64_e32 v1, v[10:11]
	s_branch .LBB21_1594
.LBB21_1592:
	s_mov_b64 s[0:1], -1
                                        ; implicit-def: $vgpr1
	s_branch .LBB21_1597
.LBB21_1593:
	s_mov_b64 s[0:1], -1
                                        ; implicit-def: $vgpr1
.LBB21_1594:
	s_andn2_b64 vcc, exec, s[0:1]
	s_cbranch_vccnz .LBB21_1596
; %bb.1595:
	global_load_dword v1, v[8:9], off
.LBB21_1596:
	s_mov_b64 s[0:1], 0
.LBB21_1597:
	s_andn2_b64 vcc, exec, s[0:1]
	s_cbranch_vccnz .LBB21_1599
; %bb.1598:
	global_load_ushort v1, v[8:9], off
	s_waitcnt vmcnt(0)
	v_cvt_f32_f16_e32 v1, v1
.LBB21_1599:
	s_mov_b64 s[0:1], 0
.LBB21_1600:
	s_andn2_b64 vcc, exec, s[0:1]
	s_cbranch_vccnz .LBB21_1620
; %bb.1601:
	s_cmp_lt_i32 s2, 2
	s_cbranch_scc1 .LBB21_1605
; %bb.1602:
	s_cmp_lt_i32 s2, 3
	s_cbranch_scc1 .LBB21_1606
; %bb.1603:
	s_cmp_gt_i32 s2, 3
	s_cbranch_scc0 .LBB21_1607
; %bb.1604:
	global_load_dwordx2 v[10:11], v[8:9], off
	s_mov_b64 s[0:1], 0
	s_waitcnt vmcnt(0)
	v_xor_b32_e32 v12, v10, v11
	v_ffbh_i32_e32 v1, v11
	v_ashrrev_i32_e32 v12, 31, v12
	v_add_u32_e32 v1, -1, v1
	v_add_u32_e32 v12, 32, v12
	v_min_u32_e32 v1, v1, v12
	v_lshlrev_b64 v[10:11], v1, v[10:11]
	v_sub_u32_e32 v1, 32, v1
	v_min_u32_e32 v10, 1, v10
	v_or_b32_e32 v10, v11, v10
	v_cvt_f32_i32_e32 v10, v10
	v_ldexp_f32 v1, v10, v1
	s_branch .LBB21_1608
.LBB21_1605:
	s_mov_b64 s[0:1], -1
                                        ; implicit-def: $vgpr1
	s_branch .LBB21_1614
.LBB21_1606:
	s_mov_b64 s[0:1], -1
                                        ; implicit-def: $vgpr1
	s_branch .LBB21_1611
.LBB21_1607:
	s_mov_b64 s[0:1], -1
                                        ; implicit-def: $vgpr1
.LBB21_1608:
	s_andn2_b64 vcc, exec, s[0:1]
	s_cbranch_vccnz .LBB21_1610
; %bb.1609:
	global_load_dword v1, v[8:9], off
	s_waitcnt vmcnt(0)
	v_cvt_f32_i32_e32 v1, v1
.LBB21_1610:
	s_mov_b64 s[0:1], 0
.LBB21_1611:
	s_andn2_b64 vcc, exec, s[0:1]
	s_cbranch_vccnz .LBB21_1613
; %bb.1612:
	global_load_sshort v1, v[8:9], off
	s_waitcnt vmcnt(0)
	v_cvt_f32_i32_e32 v1, v1
.LBB21_1613:
	s_mov_b64 s[0:1], 0
.LBB21_1614:
	s_andn2_b64 vcc, exec, s[0:1]
	s_cbranch_vccnz .LBB21_1620
; %bb.1615:
	s_cmp_gt_i32 s2, 0
	s_cbranch_scc0 .LBB21_1617
; %bb.1616:
	global_load_sbyte v1, v[8:9], off
	s_mov_b64 s[0:1], 0
	s_waitcnt vmcnt(0)
	v_cvt_f32_i32_e32 v1, v1
	s_branch .LBB21_1618
.LBB21_1617:
	s_mov_b64 s[0:1], -1
                                        ; implicit-def: $vgpr1
.LBB21_1618:
	s_andn2_b64 vcc, exec, s[0:1]
	s_cbranch_vccnz .LBB21_1620
; %bb.1619:
	global_load_ubyte v1, v[8:9], off
	s_waitcnt vmcnt(0)
	v_cvt_f32_ubyte0_e32 v1, v1
.LBB21_1620:
.LBB21_1621:
	s_waitcnt vmcnt(0)
	v_cmp_gt_f32_e32 vcc, 0, v1
	v_cndmask_b32_e64 v8, v1, -v1, vcc
	s_mov_b32 s0, 0x40a00000
	v_cmp_ge_f32_e32 vcc, s0, v8
                                        ; implicit-def: $vgpr1
	s_and_saveexec_b64 s[0:1], vcc
	s_xor_b64 s[0:1], exec, s[0:1]
	s_cbranch_execz .LBB21_1627
; %bb.1622:
	s_mov_b32 s2, 0x3727c5ac
	v_cmp_ngt_f32_e32 vcc, s2, v8
	v_mul_f32_e32 v8, v8, v8
                                        ; implicit-def: $vgpr1
	s_and_saveexec_b64 s[2:3], vcc
	s_xor_b64 s[2:3], exec, s[2:3]
	s_cbranch_execz .LBB21_1624
; %bb.1623:
	v_mov_b32_e32 v1, 0xcf8ee29d
	v_fmac_f32_e32 v1, 0, v8
	v_mov_b32_e32 v9, 0x53e3ba8e
	v_fmac_f32_e32 v9, v8, v1
	;; [unrolled: 2-line block ×12, first 2 shown]
	v_add_f32_e32 v1, 0xc0b90fdc, v8
	v_add_f32_e32 v8, 0xc1f3c525, v8
	v_mul_f32_e32 v1, v1, v8
	v_mul_f32_e32 v1, v1, v9
	v_div_scale_f32 v8, s[4:5], v10, v10, v1
	v_div_scale_f32 v9, vcc, v1, v10, v1
	v_rcp_f32_e32 v11, v8
	v_fma_f32 v12, -v8, v11, 1.0
	v_fmac_f32_e32 v11, v12, v11
	v_mul_f32_e32 v12, v9, v11
	v_fma_f32 v13, -v8, v12, v9
	v_fmac_f32_e32 v12, v13, v11
	v_fma_f32 v8, -v8, v12, v9
	v_div_fmas_f32 v8, v8, v11, v12
	v_div_fixup_f32 v1, v8, v10, v1
                                        ; implicit-def: $vgpr8
.LBB21_1624:
	s_andn2_saveexec_b64 s[2:3], s[2:3]
; %bb.1625:
	s_mov_b32 s4, 0xbe800000
	v_fma_f32 v1, v8, s4, 1.0
; %bb.1626:
	s_or_b64 exec, exec, s[2:3]
                                        ; implicit-def: $vgpr8
.LBB21_1627:
	s_andn2_saveexec_b64 s[14:15], s[0:1]
	s_cbranch_execz .LBB21_1637
; %bb.1628:
	v_add_f32_e32 v1, 0xbf490fdb, v8
	s_brev_b32 s0, 18
	v_and_b32_e32 v9, 0x7fffffff, v1
	v_cmp_nlt_f32_e64 s[16:17], |v1|, s0
                                        ; implicit-def: $vgpr10
                                        ; implicit-def: $vgpr11
	s_and_saveexec_b64 s[0:1], s[16:17]
	s_xor_b64 s[18:19], exec, s[0:1]
	s_cbranch_execz .LBB21_1630
; %bb.1629:
	v_and_b32_e32 v10, 0x7fffff, v9
	v_or_b32_e32 v19, 0x800000, v10
	s_mov_b32 s0, 0xfe5163ab
	v_mad_u64_u32 v[10:11], s[0:1], v19, s0, 0
	v_mov_b32_e32 v12, 0
	s_mov_b32 s0, 0x3c439041
	v_mad_u64_u32 v[13:14], s[0:1], v19, s0, v[11:12]
	s_mov_b32 s0, 0xdb629599
	v_not_b32_e32 v18, 63
	v_mov_b32_e32 v11, v14
	v_mad_u64_u32 v[14:15], s[0:1], v19, s0, v[11:12]
	s_mov_b32 s0, 0xf534ddc0
	v_not_b32_e32 v21, 31
	v_mov_b32_e32 v11, v15
	v_mad_u64_u32 v[15:16], s[0:1], v19, s0, v[11:12]
	v_lshrrev_b32_e32 v11, 23, v9
	v_add_u32_e32 v20, 0xffffff88, v11
	v_mov_b32_e32 v11, v16
	s_mov_b32 s0, 0xfc2757d1
	v_mad_u64_u32 v[16:17], s[0:1], v19, s0, v[11:12]
	v_cmp_lt_u32_e32 vcc, 63, v20
	v_cndmask_b32_e32 v11, 0, v18, vcc
	v_add_u32_e32 v20, v11, v20
	v_mov_b32_e32 v11, v17
	s_mov_b32 s0, 0x4e441529
	v_mad_u64_u32 v[17:18], s[0:1], v19, s0, v[11:12]
	v_cmp_lt_u32_e64 s[0:1], 31, v20
	v_cndmask_b32_e64 v11, 0, v21, s[0:1]
	v_add_u32_e32 v20, v11, v20
	v_mov_b32_e32 v11, v18
	s_mov_b32 s2, 0xa2f9836e
	v_mad_u64_u32 v[11:12], s[2:3], v19, s2, v[11:12]
	v_cmp_lt_u32_e64 s[2:3], 31, v20
	v_cndmask_b32_e64 v18, 0, v21, s[2:3]
	v_cndmask_b32_e32 v19, v17, v15, vcc
	v_cndmask_b32_e32 v11, v11, v16, vcc
	;; [unrolled: 1-line block ×3, first 2 shown]
	v_add_u32_e32 v18, v18, v20
	v_cndmask_b32_e64 v20, v11, v19, s[0:1]
	v_cndmask_b32_e64 v11, v12, v11, s[0:1]
	v_cndmask_b32_e32 v12, v16, v14, vcc
	v_cndmask_b32_e64 v16, v19, v12, s[0:1]
	v_cndmask_b32_e64 v11, v11, v20, s[2:3]
	;; [unrolled: 1-line block ×3, first 2 shown]
	v_sub_u32_e32 v19, 32, v18
	v_alignbit_b32 v20, v11, v17, v19
	v_cmp_eq_u32_e64 s[4:5], 0, v18
	v_cndmask_b32_e64 v18, v20, v11, s[4:5]
	v_cndmask_b32_e32 v11, v15, v13, vcc
	v_cndmask_b32_e64 v12, v12, v11, s[0:1]
	v_cndmask_b32_e64 v13, v16, v12, s[2:3]
	v_alignbit_b32 v15, v17, v13, v19
	v_cndmask_b32_e32 v10, v14, v10, vcc
	v_cndmask_b32_e64 v15, v15, v17, s[4:5]
	v_bfe_u32 v20, v18, 29, 1
	v_cndmask_b32_e64 v10, v11, v10, s[0:1]
	v_alignbit_b32 v16, v18, v15, 30
	v_sub_u32_e32 v21, 0, v20
	v_cndmask_b32_e64 v10, v12, v10, s[2:3]
	v_xor_b32_e32 v16, v16, v21
	v_alignbit_b32 v11, v13, v10, v19
	v_cndmask_b32_e64 v11, v11, v13, s[4:5]
	v_ffbh_u32_e32 v13, v16
	v_alignbit_b32 v12, v15, v11, 30
	v_min_u32_e32 v13, 32, v13
	v_alignbit_b32 v10, v11, v10, 30
	v_xor_b32_e32 v12, v12, v21
	v_sub_u32_e32 v14, 31, v13
	v_xor_b32_e32 v10, v10, v21
	v_alignbit_b32 v15, v16, v12, v14
	v_alignbit_b32 v10, v12, v10, v14
	;; [unrolled: 1-line block ×3, first 2 shown]
	v_ffbh_u32_e32 v12, v11
	v_min_u32_e32 v12, 32, v12
	v_lshrrev_b32_e32 v17, 29, v18
	v_not_b32_e32 v14, v12
	v_alignbit_b32 v10, v11, v10, v14
	v_lshlrev_b32_e32 v11, 31, v17
	v_or_b32_e32 v14, 0x33000000, v11
	v_add_lshl_u32 v12, v12, v13, 23
	v_lshrrev_b32_e32 v10, 9, v10
	v_sub_u32_e32 v12, v14, v12
	v_or_b32_e32 v11, 0.5, v11
	v_lshlrev_b32_e32 v13, 23, v13
	v_or_b32_e32 v10, v12, v10
	v_lshrrev_b32_e32 v12, 9, v15
	v_sub_u32_e32 v11, v11, v13
	v_or_b32_e32 v11, v12, v11
	s_mov_b32 s0, 0x3fc90fda
	v_mul_f32_e32 v12, 0x3fc90fda, v11
	v_fma_f32 v13, v11, s0, -v12
	v_fmac_f32_e32 v13, 0x33a22168, v11
	v_fmac_f32_e32 v13, 0x3fc90fda, v10
	v_lshrrev_b32_e32 v10, 30, v18
	v_add_f32_e32 v11, v12, v13
	v_add_u32_e32 v10, v20, v10
	s_andn2_saveexec_b64 s[0:1], s[18:19]
	s_cbranch_execz .LBB21_1632
	s_branch .LBB21_1631
.LBB21_1630:
	s_andn2_saveexec_b64 s[0:1], s[18:19]
	s_cbranch_execz .LBB21_1632
.LBB21_1631:
	s_mov_b32 s2, 0x3f22f983
	v_mul_f32_e64 v10, |v1|, s2
	v_rndne_f32_e32 v12, v10
	s_mov_b32 s2, 0xbfc90fda
	v_cvt_i32_f32_e32 v10, v12
	v_fma_f32 v11, v12, s2, |v1|
	v_fmac_f32_e32 v11, 0xb3a22168, v12
	v_fmac_f32_e32 v11, 0xa7c234c4, v12
.LBB21_1632:
	s_or_b64 exec, exec, s[0:1]
                                        ; implicit-def: $vgpr12
                                        ; implicit-def: $vgpr13
	s_and_saveexec_b64 s[0:1], s[16:17]
	s_xor_b64 s[16:17], exec, s[0:1]
	s_cbranch_execz .LBB21_1634
; %bb.1633:
	v_and_b32_e32 v12, 0x7fffff, v9
	v_or_b32_e32 v21, 0x800000, v12
	s_mov_b32 s0, 0xfe5163ab
	v_mad_u64_u32 v[12:13], s[0:1], v21, s0, 0
	v_mov_b32_e32 v14, 0
	s_mov_b32 s0, 0x3c439041
	v_mad_u64_u32 v[15:16], s[0:1], v21, s0, v[13:14]
	s_mov_b32 s0, 0xdb629599
	v_not_b32_e32 v20, 63
	v_mov_b32_e32 v13, v16
	v_mad_u64_u32 v[16:17], s[0:1], v21, s0, v[13:14]
	s_mov_b32 s0, 0xf534ddc0
	v_not_b32_e32 v23, 31
	v_mov_b32_e32 v13, v17
	v_mad_u64_u32 v[17:18], s[0:1], v21, s0, v[13:14]
	v_lshrrev_b32_e32 v13, 23, v9
	v_add_u32_e32 v22, 0xffffff88, v13
	v_mov_b32_e32 v13, v18
	s_mov_b32 s0, 0xfc2757d1
	v_mad_u64_u32 v[18:19], s[0:1], v21, s0, v[13:14]
	v_cmp_lt_u32_e32 vcc, 63, v22
	v_cndmask_b32_e32 v13, 0, v20, vcc
	v_add_u32_e32 v22, v13, v22
	v_mov_b32_e32 v13, v19
	s_mov_b32 s0, 0x4e441529
	v_mad_u64_u32 v[19:20], s[0:1], v21, s0, v[13:14]
	v_cmp_lt_u32_e64 s[0:1], 31, v22
	v_cndmask_b32_e64 v13, 0, v23, s[0:1]
	v_add_u32_e32 v22, v13, v22
	v_mov_b32_e32 v13, v20
	s_mov_b32 s2, 0xa2f9836e
	v_mad_u64_u32 v[13:14], s[2:3], v21, s2, v[13:14]
	v_cmp_lt_u32_e64 s[2:3], 31, v22
	v_cndmask_b32_e64 v20, 0, v23, s[2:3]
	v_cndmask_b32_e32 v21, v19, v17, vcc
	v_cndmask_b32_e32 v13, v13, v18, vcc
	v_cndmask_b32_e32 v14, v14, v19, vcc
	v_add_u32_e32 v20, v20, v22
	v_cndmask_b32_e64 v22, v13, v21, s[0:1]
	v_cndmask_b32_e64 v13, v14, v13, s[0:1]
	v_cndmask_b32_e32 v14, v18, v16, vcc
	v_cndmask_b32_e64 v18, v21, v14, s[0:1]
	v_cndmask_b32_e64 v13, v13, v22, s[2:3]
	;; [unrolled: 1-line block ×3, first 2 shown]
	v_sub_u32_e32 v21, 32, v20
	v_alignbit_b32 v22, v13, v19, v21
	v_cmp_eq_u32_e64 s[4:5], 0, v20
	v_cndmask_b32_e64 v20, v22, v13, s[4:5]
	v_cndmask_b32_e32 v13, v17, v15, vcc
	v_cndmask_b32_e64 v14, v14, v13, s[0:1]
	v_cndmask_b32_e64 v15, v18, v14, s[2:3]
	v_alignbit_b32 v17, v19, v15, v21
	v_cndmask_b32_e32 v12, v16, v12, vcc
	v_cndmask_b32_e64 v17, v17, v19, s[4:5]
	v_bfe_u32 v22, v20, 29, 1
	v_cndmask_b32_e64 v12, v13, v12, s[0:1]
	v_alignbit_b32 v18, v20, v17, 30
	v_sub_u32_e32 v23, 0, v22
	v_cndmask_b32_e64 v12, v14, v12, s[2:3]
	v_xor_b32_e32 v18, v18, v23
	v_alignbit_b32 v13, v15, v12, v21
	v_cndmask_b32_e64 v13, v13, v15, s[4:5]
	v_ffbh_u32_e32 v15, v18
	v_alignbit_b32 v14, v17, v13, 30
	v_min_u32_e32 v15, 32, v15
	v_alignbit_b32 v12, v13, v12, 30
	v_xor_b32_e32 v14, v14, v23
	v_sub_u32_e32 v16, 31, v15
	v_xor_b32_e32 v12, v12, v23
	v_alignbit_b32 v17, v18, v14, v16
	v_alignbit_b32 v12, v14, v12, v16
	;; [unrolled: 1-line block ×3, first 2 shown]
	v_ffbh_u32_e32 v14, v13
	v_min_u32_e32 v14, 32, v14
	v_lshrrev_b32_e32 v19, 29, v20
	v_not_b32_e32 v16, v14
	v_alignbit_b32 v12, v13, v12, v16
	v_lshlrev_b32_e32 v13, 31, v19
	v_or_b32_e32 v16, 0x33000000, v13
	v_add_lshl_u32 v14, v14, v15, 23
	v_lshrrev_b32_e32 v12, 9, v12
	v_sub_u32_e32 v14, v16, v14
	v_or_b32_e32 v13, 0.5, v13
	v_lshlrev_b32_e32 v15, 23, v15
	v_or_b32_e32 v12, v14, v12
	v_lshrrev_b32_e32 v14, 9, v17
	v_sub_u32_e32 v13, v13, v15
	v_or_b32_e32 v13, v14, v13
	s_mov_b32 s0, 0x3fc90fda
	v_mul_f32_e32 v14, 0x3fc90fda, v13
	v_fma_f32 v15, v13, s0, -v14
	v_fmac_f32_e32 v15, 0x33a22168, v13
	v_fmac_f32_e32 v15, 0x3fc90fda, v12
	v_lshrrev_b32_e32 v12, 30, v20
	v_add_f32_e32 v13, v14, v15
	v_add_u32_e32 v12, v22, v12
	s_andn2_saveexec_b64 s[0:1], s[16:17]
	s_cbranch_execnz .LBB21_1635
	s_branch .LBB21_1636
.LBB21_1634:
	s_andn2_saveexec_b64 s[0:1], s[16:17]
	s_cbranch_execz .LBB21_1636
.LBB21_1635:
	s_mov_b32 s2, 0x3f22f983
	v_mul_f32_e64 v12, |v1|, s2
	v_rndne_f32_e32 v14, v12
	s_mov_b32 s2, 0xbfc90fda
	v_cvt_i32_f32_e32 v12, v14
	v_fma_f32 v13, v14, s2, |v1|
	v_fmac_f32_e32 v13, 0xb3a22168, v14
	v_fmac_f32_e32 v13, 0xa7c234c4, v14
.LBB21_1636:
	s_or_b64 exec, exec, s[0:1]
	v_mul_f32_e32 v15, v8, v8
	s_mov_b32 s2, 0x41c80000
	v_div_scale_f32 v14, s[0:1], v15, v15, s2
	v_div_scale_f32 v16, vcc, s2, v15, s2
	v_mov_b32_e32 v18, 0x3a50e985
	v_mov_b32_e32 v23, 0x3a725406
	;; [unrolled: 1-line block ×12, first 2 shown]
	v_rcp_f32_e32 v17, v14
	v_mov_b32_e32 v32, 0xc331ae61
	v_mov_b32_e32 v33, 0xc31313d7
	;; [unrolled: 1-line block ×3, first 2 shown]
	v_fma_f32 v21, -v14, v17, 1.0
	v_fmac_f32_e32 v17, v21, v17
	v_mul_f32_e32 v21, v16, v17
	v_fma_f32 v22, -v14, v21, v16
	v_fmac_f32_e32 v21, v22, v17
	v_fma_f32 v14, -v14, v21, v16
	v_div_fmas_f32 v16, v14, v17, v21
	v_mov_b32_e32 v17, 0x40ae4fdf
	v_mov_b32_e32 v21, 0x410bf463
	;; [unrolled: 1-line block ×5, first 2 shown]
	v_div_fixup_f32 v34, v16, v15, s2
	v_fmac_f32_e32 v18, 0, v34
	v_fmac_f32_e32 v23, 0, v34
	;; [unrolled: 1-line block ×12, first 2 shown]
	v_fma_f32 v17, v34, v28, 1.0
	v_fma_f32 v18, v34, v22, 1.0
	v_div_scale_f32 v19, s[0:1], v17, v17, v18
	v_div_scale_f32 v23, vcc, v18, v17, v18
	s_mov_b32 s2, 0xc0a00000
	v_mov_b32_e32 v21, 0x4280a2ba
	v_div_scale_f32 v38, s[0:1], v8, v8, s2
	v_fmac_f32_e32 v14, 0, v34
	v_mov_b32_e32 v22, 0x44561b86
	v_fmac_f32_e32 v21, 0, v34
	v_fmac_f32_e32 v29, v34, v14
	v_mov_b32_e32 v24, 0x4572a66e
	v_fmac_f32_e32 v22, v34, v21
	v_fmac_f32_e32 v30, v34, v29
	v_mov_b32_e32 v25, 0x45e243be
	v_rcp_f32_e32 v37, v19
	v_fmac_f32_e32 v24, v34, v22
	v_fmac_f32_e32 v31, v34, v30
	v_mov_b32_e32 v26, 0x45b955d1
	v_fma_f32 v39, -v19, v37, 1.0
	v_fmac_f32_e32 v37, v39, v37
	v_mul_f32_e32 v39, v23, v37
	v_fma_f32 v40, -v19, v39, v23
	v_fmac_f32_e32 v39, v40, v37
	v_fma_f32 v19, -v19, v39, v23
	v_div_fmas_f32 v19, v19, v37, v39
	v_fmac_f32_e32 v25, v34, v24
	v_fmac_f32_e32 v32, v34, v31
	v_mov_b32_e32 v20, 0xc24da463
	v_mov_b32_e32 v27, 0x4500e17e
	v_fmac_f32_e32 v26, v34, v25
	v_fmac_f32_e32 v33, v34, v32
	v_mov_b32_e32 v15, 0xc0c19ac7
	v_mov_b32_e32 v16, 0x43720178
	v_fmac_f32_e32 v27, v34, v26
	v_fmac_f32_e32 v20, v34, v33
	;; [unrolled: 1-line block ×4, first 2 shown]
	v_rcp_f32_e32 v22, v38
	v_mul_f32_e32 v28, v11, v11
	v_fmac_f32_e32 v36, 0xb94c1982, v28
	v_div_fixup_f32 v14, v19, v17, v18
	v_div_scale_f32 v17, vcc, s2, v8, s2
	v_div_scale_f32 v19, s[0:1], v16, v16, v15
	v_div_scale_f32 v21, s[0:1], v15, v16, v15
	v_fma_f32 v25, -v38, v22, 1.0
	v_fmac_f32_e32 v22, v25, v22
	v_mov_b32_e32 v18, 0xbe2aaa9d
	v_fma_f32 v20, v28, v36, v18
	v_mul_f32_e32 v20, v28, v20
	v_mov_b32_e32 v23, 0xbab64f3b
	v_fmac_f32_e32 v11, v11, v20
	v_mov_b32_e32 v20, 0xbab64f3b
	v_fmac_f32_e32 v23, 0x37d75334, v28
	v_mov_b32_e32 v24, 0x3d2aabf7
	v_mul_f32_e32 v25, v17, v22
	v_fma_f32 v26, -v38, v25, v17
	v_fmac_f32_e32 v25, v26, v22
	v_rcp_f32_e32 v26, v19
	v_fma_f32 v17, -v38, v25, v17
	v_div_fmas_f32 v17, v17, v22, v25
	s_mov_b64 vcc, s[0:1]
	v_fma_f32 v22, -v19, v26, 1.0
	v_fmac_f32_e32 v26, v22, v26
	v_mul_f32_e32 v22, v21, v26
	v_fma_f32 v25, -v19, v22, v21
	v_fmac_f32_e32 v22, v25, v26
	v_fma_f32 v19, -v19, v22, v21
	v_div_fmas_f32 v19, v19, v26, v22
	v_fma_f32 v21, v28, v23, v24
	v_mov_b32_e32 v22, 0xbf000004
	v_fma_f32 v21, v28, v21, v22
	v_and_b32_e32 v23, 1, v10
	v_fma_f32 v21, v28, v21, 1.0
	v_cmp_eq_u32_e32 vcc, 0, v23
	s_movk_i32 s0, 0x1f8
	v_div_fixup_f32 v17, v17, v8, s2
	v_cndmask_b32_e64 v11, -v11, v21, vcc
	v_lshlrev_b32_e32 v10, 30, v10
	v_cmp_class_f32_e64 vcc, v1, s0
	v_xor_b32_e32 v1, v9, v1
	v_and_b32_e32 v10, 0x80000000, v10
	v_xor_b32_e32 v10, v10, v11
	v_mov_b32_e32 v11, 0x7fc00000
	v_div_fixup_f32 v15, v19, v16, v15
	v_mul_f32_e32 v16, v13, v13
	v_fmac_f32_e32 v35, 0xb94c1982, v16
	v_fmac_f32_e32 v18, v16, v35
	;; [unrolled: 1-line block ×3, first 2 shown]
	v_mul_f32_e32 v15, v17, v15
	v_mul_f32_e32 v17, v16, v18
	v_fmac_f32_e32 v24, v16, v20
	v_fmac_f32_e32 v13, v13, v17
	;; [unrolled: 1-line block ×3, first 2 shown]
	v_and_b32_e32 v17, 1, v12
	v_lshlrev_b32_e32 v12, 30, v12
	v_fma_f32 v16, v16, v22, 1.0
	v_cmp_eq_u32_e64 s[0:1], 0, v17
	v_and_b32_e32 v12, 0x80000000, v12
	v_cndmask_b32_e64 v13, v16, v13, s[0:1]
	v_xor_b32_e32 v1, v1, v12
	v_xor_b32_e32 v1, v1, v13
	s_mov_b32 s0, 0xf800000
	v_cndmask_b32_e32 v10, v11, v10, vcc
	v_cndmask_b32_e32 v1, v11, v1, vcc
	v_mul_f32_e32 v9, 0x4f800000, v8
	v_cmp_gt_f32_e32 vcc, s0, v8
	v_cndmask_b32_e32 v8, v8, v9, vcc
	v_sqrt_f32_e32 v9, v8
	v_mul_f32_e32 v1, v15, v1
	v_fmac_f32_e32 v1, v14, v10
	v_mul_f32_e32 v1, 0x3f4c422a, v1
	v_add_u32_e32 v10, -1, v9
	v_fma_f32 v11, -v10, v9, v8
	v_cmp_ge_f32_e64 s[0:1], 0, v11
	v_add_u32_e32 v11, 1, v9
	v_cndmask_b32_e64 v10, v9, v10, s[0:1]
	v_fma_f32 v9, -v11, v9, v8
	v_cmp_lt_f32_e64 s[0:1], 0, v9
	v_cndmask_b32_e64 v9, v10, v11, s[0:1]
	v_mul_f32_e32 v10, 0x37800000, v9
	v_cndmask_b32_e32 v9, v9, v10, vcc
	v_mov_b32_e32 v10, 0x260
	v_cmp_class_f32_e32 vcc, v8, v10
	v_cndmask_b32_e32 v8, v9, v8, vcc
	v_div_scale_f32 v9, s[0:1], v8, v8, v1
	v_div_scale_f32 v10, vcc, v1, v8, v1
	v_rcp_f32_e32 v11, v9
	v_fma_f32 v12, -v9, v11, 1.0
	v_fmac_f32_e32 v11, v12, v11
	v_mul_f32_e32 v12, v10, v11
	v_fma_f32 v13, -v9, v12, v10
	v_fmac_f32_e32 v12, v13, v11
	v_fma_f32 v9, -v9, v12, v10
	v_div_fmas_f32 v9, v9, v11, v12
	v_div_fixup_f32 v1, v9, v8, v1
.LBB21_1637:
	s_or_b64 exec, exec, s[14:15]
	v_mov_b32_e32 v8, s11
	v_add_co_u32_e32 v7, vcc, s10, v7
	s_cmp_lt_i32 s21, 11
	v_addc_co_u32_e32 v8, vcc, 0, v8, vcc
	s_cbranch_scc1 .LBB21_1644
; %bb.1638:
	s_and_b32 s16, 0xffff, s21
	s_cmp_gt_i32 s16, 25
	s_mov_b64 s[2:3], 0
	s_cbranch_scc0 .LBB21_1645
; %bb.1639:
	s_cmp_gt_i32 s16, 28
	s_cbranch_scc0 .LBB21_1646
; %bb.1640:
	s_cmp_gt_i32 s16, 43
	;; [unrolled: 3-line block ×3, first 2 shown]
	s_cbranch_scc0 .LBB21_1649
; %bb.1642:
	s_cmp_eq_u32 s16, 46
	s_mov_b64 s[10:11], 0
	s_cbranch_scc0 .LBB21_1650
; %bb.1643:
	global_load_dword v9, v[7:8], off
	s_mov_b64 s[0:1], 0
	s_mov_b64 s[4:5], -1
	s_waitcnt vmcnt(0)
	v_lshlrev_b32_e32 v9, 16, v9
	s_branch .LBB21_1651
.LBB21_1644:
	s_mov_b64 s[0:1], -1
	s_mov_b64 s[4:5], 0
                                        ; implicit-def: $vgpr9
	s_branch .LBB21_1717
.LBB21_1645:
	s_mov_b64 s[10:11], -1
	s_mov_b64 s[4:5], 0
	s_mov_b64 s[0:1], 0
                                        ; implicit-def: $vgpr9
	s_branch .LBB21_1680
.LBB21_1646:
	s_mov_b64 s[10:11], -1
	s_mov_b64 s[4:5], 0
	s_mov_b64 s[0:1], 0
                                        ; implicit-def: $vgpr9
	s_branch .LBB21_1661
.LBB21_1647:
	s_mov_b64 s[10:11], -1
	s_mov_b64 s[4:5], 0
	s_mov_b64 s[0:1], 0
                                        ; implicit-def: $vgpr9
	s_branch .LBB21_1656
.LBB21_1648:
	s_trap 2
	s_or_b64 s[12:13], s[12:13], exec
	s_cbranch_execz .LBB21_1571
	s_branch .LBB21_1572
.LBB21_1649:
	s_mov_b64 s[10:11], -1
	s_mov_b64 s[4:5], 0
	s_mov_b64 s[0:1], 0
                                        ; implicit-def: $vgpr9
	s_branch .LBB21_1651
.LBB21_1650:
	s_mov_b64 s[0:1], -1
                                        ; implicit-def: $vgpr9
	s_mov_b64 s[4:5], 0
.LBB21_1651:
	s_and_b64 vcc, exec, s[10:11]
	s_cbranch_vccz .LBB21_1655
; %bb.1652:
	s_cmp_eq_u32 s16, 44
	s_cbranch_scc0 .LBB21_1654
; %bb.1653:
	global_load_ubyte v9, v[7:8], off
	s_movk_i32 s4, 0xff
	v_mov_b32_e32 v10, 0x7f800001
	v_mov_b32_e32 v11, 0x400000
	s_mov_b64 s[0:1], 0
	s_waitcnt vmcnt(0)
	v_lshlrev_b32_e32 v12, 23, v9
	v_cmp_ne_u32_e32 vcc, s4, v9
	v_cndmask_b32_e32 v10, v10, v12, vcc
	v_cmp_ne_u32_e32 vcc, 0, v9
	v_cndmask_b32_e32 v9, v11, v10, vcc
	s_mov_b64 s[4:5], -1
	s_branch .LBB21_1655
.LBB21_1654:
	s_mov_b64 s[0:1], -1
                                        ; implicit-def: $vgpr9
.LBB21_1655:
	s_mov_b64 s[10:11], 0
.LBB21_1656:
	s_and_b64 vcc, exec, s[10:11]
	s_cbranch_vccz .LBB21_1660
; %bb.1657:
	s_cmp_eq_u32 s16, 29
	s_cbranch_scc0 .LBB21_1659
; %bb.1658:
	global_load_dwordx2 v[9:10], v[7:8], off
	s_mov_b64 s[0:1], 0
	s_mov_b64 s[4:5], -1
	s_mov_b64 s[10:11], 0
	s_waitcnt vmcnt(0)
	v_ffbh_u32_e32 v11, v10
	v_min_u32_e32 v11, 32, v11
	v_lshlrev_b64 v[9:10], v11, v[9:10]
	v_min_u32_e32 v9, 1, v9
	v_or_b32_e32 v9, v10, v9
	v_cvt_f32_u32_e32 v9, v9
	v_sub_u32_e32 v10, 32, v11
	v_ldexp_f32 v9, v9, v10
	s_branch .LBB21_1661
.LBB21_1659:
	s_mov_b64 s[0:1], -1
                                        ; implicit-def: $vgpr9
.LBB21_1660:
	s_mov_b64 s[10:11], 0
.LBB21_1661:
	s_and_b64 vcc, exec, s[10:11]
	s_cbranch_vccz .LBB21_1679
; %bb.1662:
	s_cmp_lt_i32 s16, 27
	s_cbranch_scc1 .LBB21_1665
; %bb.1663:
	s_cmp_gt_i32 s16, 27
	s_cbranch_scc0 .LBB21_1666
; %bb.1664:
	global_load_dword v9, v[7:8], off
	s_mov_b64 s[4:5], 0
	s_waitcnt vmcnt(0)
	v_cvt_f32_u32_e32 v9, v9
	s_branch .LBB21_1667
.LBB21_1665:
	s_mov_b64 s[4:5], -1
                                        ; implicit-def: $vgpr9
	s_branch .LBB21_1670
.LBB21_1666:
	s_mov_b64 s[4:5], -1
                                        ; implicit-def: $vgpr9
.LBB21_1667:
	s_andn2_b64 vcc, exec, s[4:5]
	s_cbranch_vccnz .LBB21_1669
; %bb.1668:
	global_load_ushort v9, v[7:8], off
	s_waitcnt vmcnt(0)
	v_cvt_f32_u32_e32 v9, v9
.LBB21_1669:
	s_mov_b64 s[4:5], 0
.LBB21_1670:
	s_andn2_b64 vcc, exec, s[4:5]
	s_cbranch_vccnz .LBB21_1678
; %bb.1671:
	global_load_ubyte v10, v[7:8], off
	s_movk_i32 s4, 0x7f
	s_waitcnt vmcnt(0)
	v_cmp_lt_i16_e32 vcc, s4, v10
	s_mov_b64 s[4:5], 0
	s_and_saveexec_b64 s[10:11], vcc
	s_xor_b64 s[10:11], exec, s[10:11]
	s_cbranch_execz .LBB21_1692
; %bb.1672:
	s_movk_i32 s4, 0x80
	v_cmp_eq_u16_e32 vcc, s4, v10
	s_mov_b64 s[4:5], -1
	s_and_saveexec_b64 s[14:15], vcc
; %bb.1673:
	s_xor_b64 s[4:5], exec, -1
; %bb.1674:
	s_or_b64 exec, exec, s[14:15]
	s_and_b64 s[4:5], s[4:5], exec
	s_or_saveexec_b64 s[10:11], s[10:11]
	v_mov_b32_e32 v9, 0x7f800001
	s_xor_b64 exec, exec, s[10:11]
	s_cbranch_execnz .LBB21_1693
.LBB21_1675:
	s_or_b64 exec, exec, s[10:11]
	s_and_saveexec_b64 s[10:11], s[4:5]
	s_cbranch_execz .LBB21_1677
.LBB21_1676:
	v_lshlrev_b32_e32 v9, 24, v10
	v_and_b32_e32 v10, 0xffff, v10
	v_and_b32_e32 v11, 7, v10
	v_ffbh_u32_e32 v13, v11
	v_min_u32_e32 v13, 32, v13
	v_subrev_u32_e32 v14, 28, v13
	v_bfe_u32 v12, v10, 3, 4
	v_lshlrev_b32_e32 v10, v14, v10
	v_sub_u32_e32 v13, 29, v13
	v_and_b32_e32 v10, 7, v10
	v_cmp_eq_u32_e32 vcc, 0, v12
	v_cndmask_b32_e32 v12, v12, v13, vcc
	v_cndmask_b32_e32 v10, v11, v10, vcc
	v_mov_b32_e32 v11, 0x3b800000
	v_lshlrev_b32_e32 v10, 20, v10
	v_and_b32_e32 v9, 0x80000000, v9
	v_lshl_add_u32 v11, v12, 23, v11
	v_or3_b32 v9, v9, v11, v10
.LBB21_1677:
	s_or_b64 exec, exec, s[10:11]
.LBB21_1678:
	s_mov_b64 s[4:5], -1
.LBB21_1679:
	s_mov_b64 s[10:11], 0
.LBB21_1680:
	s_and_b64 vcc, exec, s[10:11]
	s_cbranch_vccz .LBB21_1713
; %bb.1681:
	s_cmp_gt_i32 s16, 22
	s_cbranch_scc0 .LBB21_1691
; %bb.1682:
	s_cmp_lt_i32 s16, 24
	s_cbranch_scc1 .LBB21_1694
; %bb.1683:
	s_cmp_gt_i32 s16, 24
	s_cbranch_scc0 .LBB21_1695
; %bb.1684:
	global_load_ubyte v10, v[7:8], off
	s_movk_i32 s2, 0x7f
	s_waitcnt vmcnt(0)
	v_cmp_lt_i16_e32 vcc, s2, v10
	s_mov_b64 s[2:3], 0
	s_and_saveexec_b64 s[4:5], vcc
	s_xor_b64 s[4:5], exec, s[4:5]
	s_cbranch_execz .LBB21_1707
; %bb.1685:
	s_movk_i32 s2, 0x80
	v_cmp_eq_u16_e32 vcc, s2, v10
	s_mov_b64 s[2:3], -1
	s_and_saveexec_b64 s[10:11], vcc
; %bb.1686:
	s_xor_b64 s[2:3], exec, -1
; %bb.1687:
	s_or_b64 exec, exec, s[10:11]
	s_and_b64 s[2:3], s[2:3], exec
	s_or_saveexec_b64 s[4:5], s[4:5]
	v_mov_b32_e32 v9, 0x7f800001
	s_xor_b64 exec, exec, s[4:5]
	s_cbranch_execnz .LBB21_1708
.LBB21_1688:
	s_or_b64 exec, exec, s[4:5]
	s_and_saveexec_b64 s[4:5], s[2:3]
	s_cbranch_execz .LBB21_1690
.LBB21_1689:
	v_lshlrev_b32_e32 v9, 24, v10
	v_and_b32_e32 v10, 0xffff, v10
	v_and_b32_e32 v11, 3, v10
	v_ffbh_u32_e32 v13, v11
	v_min_u32_e32 v13, 32, v13
	v_subrev_u32_e32 v14, 29, v13
	v_bfe_u32 v12, v10, 2, 5
	v_lshlrev_b32_e32 v10, v14, v10
	v_sub_u32_e32 v13, 30, v13
	v_and_b32_e32 v10, 3, v10
	v_cmp_eq_u32_e32 vcc, 0, v12
	v_cndmask_b32_e32 v12, v12, v13, vcc
	v_cndmask_b32_e32 v10, v11, v10, vcc
	v_mov_b32_e32 v11, 0x37800000
	v_lshlrev_b32_e32 v10, 21, v10
	v_and_b32_e32 v9, 0x80000000, v9
	v_lshl_add_u32 v11, v12, 23, v11
	v_or3_b32 v9, v9, v11, v10
.LBB21_1690:
	s_or_b64 exec, exec, s[4:5]
	s_mov_b64 s[2:3], 0
	s_branch .LBB21_1696
.LBB21_1691:
	s_mov_b64 s[2:3], -1
                                        ; implicit-def: $vgpr9
	s_branch .LBB21_1702
.LBB21_1692:
	s_or_saveexec_b64 s[10:11], s[10:11]
	v_mov_b32_e32 v9, 0x7f800001
	s_xor_b64 exec, exec, s[10:11]
	s_cbranch_execz .LBB21_1675
.LBB21_1693:
	v_cmp_ne_u16_e32 vcc, 0, v10
	s_andn2_b64 s[4:5], s[4:5], exec
	s_and_b64 s[14:15], vcc, exec
	v_mov_b32_e32 v9, 0
	s_or_b64 s[4:5], s[4:5], s[14:15]
	s_or_b64 exec, exec, s[10:11]
	s_and_saveexec_b64 s[10:11], s[4:5]
	s_cbranch_execnz .LBB21_1676
	s_branch .LBB21_1677
.LBB21_1694:
	s_mov_b64 s[2:3], -1
                                        ; implicit-def: $vgpr9
	s_branch .LBB21_1699
.LBB21_1695:
	s_mov_b64 s[2:3], -1
                                        ; implicit-def: $vgpr9
.LBB21_1696:
	s_and_b64 vcc, exec, s[2:3]
	s_cbranch_vccz .LBB21_1698
; %bb.1697:
	global_load_ubyte v9, v[7:8], off
	s_mov_b32 s2, 0x7f800000
	s_waitcnt vmcnt(0)
	v_lshlrev_b32_e32 v9, 24, v9
	v_and_b32_e32 v10, 0x7f000000, v9
	v_ffbh_u32_e32 v11, v10
	v_min_u32_e32 v11, 32, v11
	v_sub_u32_e64 v11, v11, 4 clamp
	v_lshlrev_b32_e32 v13, v11, v10
	v_lshlrev_b32_e32 v11, 23, v11
	v_lshrrev_b32_e32 v13, 4, v13
	v_add_u32_e32 v12, 0x1000000, v10
	v_sub_u32_e32 v11, v13, v11
	v_ashrrev_i32_e32 v12, 8, v12
	v_add_u32_e32 v11, 0x3c000000, v11
	v_and_or_b32 v11, v12, s2, v11
	v_cmp_ne_u32_e32 vcc, 0, v10
	v_cndmask_b32_e32 v10, 0, v11, vcc
	s_brev_b32 s2, 1
	v_and_or_b32 v9, v9, s2, v10
.LBB21_1698:
	s_mov_b64 s[2:3], 0
.LBB21_1699:
	s_andn2_b64 vcc, exec, s[2:3]
	s_cbranch_vccnz .LBB21_1701
; %bb.1700:
	global_load_ubyte v9, v[7:8], off
	s_movk_i32 s2, 0x7f00
	s_brev_b32 s3, 16
	s_waitcnt vmcnt(0)
	v_lshlrev_b16_e32 v10, 8, v9
	v_lshlrev_b32_e32 v9, 25, v9
	v_lshrrev_b32_e32 v11, 4, v9
	v_and_or_b32 v12, v10, s2, 0.5
	v_or_b32_e32 v11, 0x70000000, v11
	v_add_f32_e32 v12, -0.5, v12
	v_mul_f32_e32 v11, 0x7800000, v11
	v_cmp_gt_u32_e32 vcc, s3, v9
	v_bfe_i32 v10, v10, 0, 16
	v_cndmask_b32_e32 v9, v11, v12, vcc
	s_brev_b32 s2, 1
	v_and_or_b32 v9, v10, s2, v9
.LBB21_1701:
	s_mov_b64 s[2:3], 0
	s_mov_b64 s[4:5], -1
.LBB21_1702:
	s_andn2_b64 vcc, exec, s[2:3]
	s_mov_b64 s[2:3], 0
	s_cbranch_vccnz .LBB21_1713
; %bb.1703:
	s_cmp_gt_i32 s16, 14
	s_cbranch_scc0 .LBB21_1706
; %bb.1704:
	s_cmp_eq_u32 s16, 15
	s_cbranch_scc0 .LBB21_1709
; %bb.1705:
	global_load_ushort v9, v[7:8], off
	s_mov_b64 s[0:1], 0
	s_mov_b64 s[4:5], -1
	s_waitcnt vmcnt(0)
	v_lshlrev_b32_e32 v9, 16, v9
	s_branch .LBB21_1710
.LBB21_1706:
	s_mov_b64 s[10:11], -1
                                        ; implicit-def: $vgpr9
	s_branch .LBB21_1711
.LBB21_1707:
	s_or_saveexec_b64 s[4:5], s[4:5]
	v_mov_b32_e32 v9, 0x7f800001
	s_xor_b64 exec, exec, s[4:5]
	s_cbranch_execz .LBB21_1688
.LBB21_1708:
	v_cmp_ne_u16_e32 vcc, 0, v10
	s_andn2_b64 s[2:3], s[2:3], exec
	s_and_b64 s[10:11], vcc, exec
	v_mov_b32_e32 v9, 0
	s_or_b64 s[2:3], s[2:3], s[10:11]
	s_or_b64 exec, exec, s[4:5]
	s_and_saveexec_b64 s[4:5], s[2:3]
	s_cbranch_execnz .LBB21_1689
	s_branch .LBB21_1690
.LBB21_1709:
	s_mov_b64 s[0:1], -1
                                        ; implicit-def: $vgpr9
.LBB21_1710:
	s_mov_b64 s[10:11], 0
.LBB21_1711:
	s_and_b64 vcc, exec, s[10:11]
	s_cbranch_vccz .LBB21_1713
; %bb.1712:
	s_cmp_lg_u32 s16, 11
	s_mov_b64 s[2:3], -1
	s_cselect_b64 s[0:1], -1, 0
.LBB21_1713:
	s_and_b64 vcc, exec, s[0:1]
	s_cbranch_vccnz .LBB21_2264
; %bb.1714:
	s_andn2_b64 vcc, exec, s[2:3]
	s_cbranch_vccnz .LBB21_1716
.LBB21_1715:
	global_load_ubyte v9, v[7:8], off
	s_mov_b64 s[4:5], -1
	s_waitcnt vmcnt(0)
	v_cmp_ne_u16_e32 vcc, 0, v9
	v_cndmask_b32_e64 v9, 0, 1.0, vcc
.LBB21_1716:
	s_mov_b64 s[0:1], 0
.LBB21_1717:
	s_and_b64 vcc, exec, s[0:1]
	s_cbranch_vccz .LBB21_1766
; %bb.1718:
	s_and_b32 s2, 0xffff, s21
	s_cmp_lt_i32 s2, 5
	s_cbranch_scc1 .LBB21_1723
; %bb.1719:
	s_cmp_lt_i32 s2, 8
	s_cbranch_scc1 .LBB21_1724
; %bb.1720:
	;; [unrolled: 3-line block ×3, first 2 shown]
	s_cmp_gt_i32 s2, 9
	s_cbranch_scc0 .LBB21_1726
; %bb.1722:
	global_load_dwordx2 v[9:10], v[7:8], off
	s_mov_b64 s[0:1], 0
	s_waitcnt vmcnt(0)
	v_cvt_f32_f64_e32 v9, v[9:10]
	s_branch .LBB21_1727
.LBB21_1723:
	s_mov_b64 s[0:1], -1
                                        ; implicit-def: $vgpr9
	s_branch .LBB21_1745
.LBB21_1724:
	s_mov_b64 s[0:1], -1
                                        ; implicit-def: $vgpr9
	s_branch .LBB21_1733
.LBB21_1725:
	s_mov_b64 s[0:1], -1
                                        ; implicit-def: $vgpr9
	s_branch .LBB21_1730
.LBB21_1726:
	s_mov_b64 s[0:1], -1
                                        ; implicit-def: $vgpr9
.LBB21_1727:
	s_andn2_b64 vcc, exec, s[0:1]
	s_cbranch_vccnz .LBB21_1729
; %bb.1728:
	global_load_dword v9, v[7:8], off
.LBB21_1729:
	s_mov_b64 s[0:1], 0
.LBB21_1730:
	s_andn2_b64 vcc, exec, s[0:1]
	s_cbranch_vccnz .LBB21_1732
; %bb.1731:
	global_load_dword v9, v[7:8], off
	s_waitcnt vmcnt(0)
	v_cvt_f32_f16_e32 v9, v9
.LBB21_1732:
	s_mov_b64 s[0:1], 0
.LBB21_1733:
	s_andn2_b64 vcc, exec, s[0:1]
	s_cbranch_vccnz .LBB21_1744
; %bb.1734:
	s_cmp_lt_i32 s2, 6
	s_cbranch_scc1 .LBB21_1737
; %bb.1735:
	s_cmp_gt_i32 s2, 6
	s_cbranch_scc0 .LBB21_1738
; %bb.1736:
	global_load_dwordx2 v[9:10], v[7:8], off
	s_mov_b64 s[0:1], 0
	s_waitcnt vmcnt(0)
	v_cvt_f32_f64_e32 v9, v[9:10]
	s_branch .LBB21_1739
.LBB21_1737:
	s_mov_b64 s[0:1], -1
                                        ; implicit-def: $vgpr9
	s_branch .LBB21_1742
.LBB21_1738:
	s_mov_b64 s[0:1], -1
                                        ; implicit-def: $vgpr9
.LBB21_1739:
	s_andn2_b64 vcc, exec, s[0:1]
	s_cbranch_vccnz .LBB21_1741
; %bb.1740:
	global_load_dword v9, v[7:8], off
.LBB21_1741:
	s_mov_b64 s[0:1], 0
.LBB21_1742:
	s_andn2_b64 vcc, exec, s[0:1]
	s_cbranch_vccnz .LBB21_1744
; %bb.1743:
	global_load_ushort v9, v[7:8], off
	s_waitcnt vmcnt(0)
	v_cvt_f32_f16_e32 v9, v9
.LBB21_1744:
	s_mov_b64 s[0:1], 0
.LBB21_1745:
	s_andn2_b64 vcc, exec, s[0:1]
	s_cbranch_vccnz .LBB21_1765
; %bb.1746:
	s_cmp_lt_i32 s2, 2
	s_cbranch_scc1 .LBB21_1750
; %bb.1747:
	s_cmp_lt_i32 s2, 3
	s_cbranch_scc1 .LBB21_1751
; %bb.1748:
	s_cmp_gt_i32 s2, 3
	s_cbranch_scc0 .LBB21_1752
; %bb.1749:
	global_load_dwordx2 v[9:10], v[7:8], off
	s_mov_b64 s[0:1], 0
	s_waitcnt vmcnt(0)
	v_xor_b32_e32 v12, v9, v10
	v_ffbh_i32_e32 v11, v10
	v_ashrrev_i32_e32 v12, 31, v12
	v_add_u32_e32 v11, -1, v11
	v_add_u32_e32 v12, 32, v12
	v_min_u32_e32 v11, v11, v12
	v_lshlrev_b64 v[9:10], v11, v[9:10]
	v_min_u32_e32 v9, 1, v9
	v_or_b32_e32 v9, v10, v9
	v_cvt_f32_i32_e32 v9, v9
	v_sub_u32_e32 v10, 32, v11
	v_ldexp_f32 v9, v9, v10
	s_branch .LBB21_1753
.LBB21_1750:
	s_mov_b64 s[0:1], -1
                                        ; implicit-def: $vgpr9
	s_branch .LBB21_1759
.LBB21_1751:
	s_mov_b64 s[0:1], -1
                                        ; implicit-def: $vgpr9
	s_branch .LBB21_1756
.LBB21_1752:
	s_mov_b64 s[0:1], -1
                                        ; implicit-def: $vgpr9
.LBB21_1753:
	s_andn2_b64 vcc, exec, s[0:1]
	s_cbranch_vccnz .LBB21_1755
; %bb.1754:
	global_load_dword v9, v[7:8], off
	s_waitcnt vmcnt(0)
	v_cvt_f32_i32_e32 v9, v9
.LBB21_1755:
	s_mov_b64 s[0:1], 0
.LBB21_1756:
	s_andn2_b64 vcc, exec, s[0:1]
	s_cbranch_vccnz .LBB21_1758
; %bb.1757:
	global_load_sshort v9, v[7:8], off
	s_waitcnt vmcnt(0)
	v_cvt_f32_i32_e32 v9, v9
.LBB21_1758:
	s_mov_b64 s[0:1], 0
.LBB21_1759:
	s_andn2_b64 vcc, exec, s[0:1]
	s_cbranch_vccnz .LBB21_1765
; %bb.1760:
	s_cmp_gt_i32 s2, 0
	s_cbranch_scc0 .LBB21_1762
; %bb.1761:
	global_load_sbyte v9, v[7:8], off
	s_mov_b64 s[0:1], 0
	s_waitcnt vmcnt(0)
	v_cvt_f32_i32_e32 v9, v9
	s_branch .LBB21_1763
.LBB21_1762:
	s_mov_b64 s[0:1], -1
                                        ; implicit-def: $vgpr9
.LBB21_1763:
	s_andn2_b64 vcc, exec, s[0:1]
	s_cbranch_vccnz .LBB21_1765
; %bb.1764:
	global_load_ubyte v7, v[7:8], off
	s_waitcnt vmcnt(0)
	v_cvt_f32_ubyte0_e32 v9, v7
.LBB21_1765:
	s_mov_b64 s[4:5], -1
.LBB21_1766:
	s_andn2_b64 vcc, exec, s[4:5]
	s_cbranch_vccnz .LBB21_1776
; %bb.1767:
	s_waitcnt vmcnt(0)
	v_cmp_gt_f32_e32 vcc, 0, v9
	v_cndmask_b32_e64 v8, v9, -v9, vcc
	s_mov_b32 s0, 0x40a00000
	v_cmp_ge_f32_e32 vcc, s0, v8
                                        ; implicit-def: $vgpr7
	s_and_saveexec_b64 s[0:1], vcc
	s_xor_b64 s[0:1], exec, s[0:1]
	s_cbranch_execz .LBB21_1773
; %bb.1768:
	s_mov_b32 s2, 0x3727c5ac
	v_cmp_ngt_f32_e32 vcc, s2, v8
	v_mul_f32_e32 v8, v8, v8
                                        ; implicit-def: $vgpr7
	s_and_saveexec_b64 s[2:3], vcc
	s_xor_b64 s[2:3], exec, s[2:3]
	s_cbranch_execz .LBB21_1770
; %bb.1769:
	v_mov_b32_e32 v7, 0xcf8ee29d
	v_fmac_f32_e32 v7, 0, v8
	v_mov_b32_e32 v9, 0x53e3ba8e
	v_fmac_f32_e32 v9, v8, v7
	;; [unrolled: 2-line block ×12, first 2 shown]
	v_add_f32_e32 v7, 0xc0b90fdc, v8
	v_add_f32_e32 v8, 0xc1f3c525, v8
	v_mul_f32_e32 v7, v7, v8
	v_mul_f32_e32 v7, v7, v9
	v_div_scale_f32 v8, s[4:5], v10, v10, v7
	v_div_scale_f32 v9, vcc, v7, v10, v7
	v_rcp_f32_e32 v11, v8
	v_fma_f32 v12, -v8, v11, 1.0
	v_fmac_f32_e32 v11, v12, v11
	v_mul_f32_e32 v12, v9, v11
	v_fma_f32 v13, -v8, v12, v9
	v_fmac_f32_e32 v12, v13, v11
	v_fma_f32 v8, -v8, v12, v9
	v_div_fmas_f32 v8, v8, v11, v12
	v_div_fixup_f32 v7, v8, v10, v7
                                        ; implicit-def: $vgpr8
.LBB21_1770:
	s_andn2_saveexec_b64 s[2:3], s[2:3]
; %bb.1771:
	s_mov_b32 s4, 0xbe800000
	v_fma_f32 v7, v8, s4, 1.0
; %bb.1772:
	s_or_b64 exec, exec, s[2:3]
                                        ; implicit-def: $vgpr8
.LBB21_1773:
	s_andn2_saveexec_b64 s[10:11], s[0:1]
	s_cbranch_execz .LBB21_1829
; %bb.1774:
	v_add_f32_e32 v7, 0xbf490fdb, v8
	s_brev_b32 s0, 18
	v_and_b32_e32 v9, 0x7fffffff, v7
	v_cmp_nlt_f32_e64 s[14:15], |v7|, s0
                                        ; implicit-def: $vgpr10
                                        ; implicit-def: $vgpr11
	s_and_saveexec_b64 s[0:1], s[14:15]
	s_xor_b64 s[16:17], exec, s[0:1]
	s_cbranch_execz .LBB21_1822
; %bb.1775:
	v_and_b32_e32 v10, 0x7fffff, v9
	v_or_b32_e32 v19, 0x800000, v10
	s_mov_b32 s0, 0xfe5163ab
	v_mad_u64_u32 v[10:11], s[0:1], v19, s0, 0
	v_mov_b32_e32 v12, 0
	s_mov_b32 s0, 0x3c439041
	v_mad_u64_u32 v[13:14], s[0:1], v19, s0, v[11:12]
	s_mov_b32 s0, 0xdb629599
	v_not_b32_e32 v18, 63
	v_mov_b32_e32 v11, v14
	v_mad_u64_u32 v[14:15], s[0:1], v19, s0, v[11:12]
	s_mov_b32 s0, 0xf534ddc0
	v_not_b32_e32 v21, 31
	v_mov_b32_e32 v11, v15
	v_mad_u64_u32 v[15:16], s[0:1], v19, s0, v[11:12]
	v_lshrrev_b32_e32 v11, 23, v9
	v_add_u32_e32 v20, 0xffffff88, v11
	v_mov_b32_e32 v11, v16
	s_mov_b32 s0, 0xfc2757d1
	v_mad_u64_u32 v[16:17], s[0:1], v19, s0, v[11:12]
	v_cmp_lt_u32_e32 vcc, 63, v20
	v_cndmask_b32_e32 v11, 0, v18, vcc
	v_add_u32_e32 v20, v11, v20
	v_mov_b32_e32 v11, v17
	s_mov_b32 s0, 0x4e441529
	v_mad_u64_u32 v[17:18], s[0:1], v19, s0, v[11:12]
	v_cmp_lt_u32_e64 s[0:1], 31, v20
	v_cndmask_b32_e64 v11, 0, v21, s[0:1]
	v_add_u32_e32 v20, v11, v20
	v_mov_b32_e32 v11, v18
	s_mov_b32 s2, 0xa2f9836e
	v_mad_u64_u32 v[11:12], s[2:3], v19, s2, v[11:12]
	v_cmp_lt_u32_e64 s[2:3], 31, v20
	v_cndmask_b32_e64 v18, 0, v21, s[2:3]
	v_cndmask_b32_e32 v19, v17, v15, vcc
	v_cndmask_b32_e32 v11, v11, v16, vcc
	;; [unrolled: 1-line block ×3, first 2 shown]
	v_add_u32_e32 v18, v18, v20
	v_cndmask_b32_e64 v20, v11, v19, s[0:1]
	v_cndmask_b32_e64 v11, v12, v11, s[0:1]
	v_cndmask_b32_e32 v12, v16, v14, vcc
	v_cndmask_b32_e64 v16, v19, v12, s[0:1]
	v_cndmask_b32_e64 v11, v11, v20, s[2:3]
	;; [unrolled: 1-line block ×3, first 2 shown]
	v_sub_u32_e32 v19, 32, v18
	v_alignbit_b32 v20, v11, v17, v19
	v_cmp_eq_u32_e64 s[4:5], 0, v18
	v_cndmask_b32_e64 v18, v20, v11, s[4:5]
	v_cndmask_b32_e32 v11, v15, v13, vcc
	v_cndmask_b32_e64 v12, v12, v11, s[0:1]
	v_cndmask_b32_e64 v13, v16, v12, s[2:3]
	v_alignbit_b32 v15, v17, v13, v19
	v_cndmask_b32_e32 v10, v14, v10, vcc
	v_cndmask_b32_e64 v15, v15, v17, s[4:5]
	v_bfe_u32 v20, v18, 29, 1
	v_cndmask_b32_e64 v10, v11, v10, s[0:1]
	v_alignbit_b32 v16, v18, v15, 30
	v_sub_u32_e32 v21, 0, v20
	v_cndmask_b32_e64 v10, v12, v10, s[2:3]
	v_xor_b32_e32 v16, v16, v21
	v_alignbit_b32 v11, v13, v10, v19
	v_cndmask_b32_e64 v11, v11, v13, s[4:5]
	v_ffbh_u32_e32 v13, v16
	v_alignbit_b32 v12, v15, v11, 30
	v_min_u32_e32 v13, 32, v13
	v_alignbit_b32 v10, v11, v10, 30
	v_xor_b32_e32 v12, v12, v21
	v_sub_u32_e32 v14, 31, v13
	v_xor_b32_e32 v10, v10, v21
	v_alignbit_b32 v15, v16, v12, v14
	v_alignbit_b32 v10, v12, v10, v14
	;; [unrolled: 1-line block ×3, first 2 shown]
	v_ffbh_u32_e32 v12, v11
	v_min_u32_e32 v12, 32, v12
	v_lshrrev_b32_e32 v17, 29, v18
	v_not_b32_e32 v14, v12
	v_alignbit_b32 v10, v11, v10, v14
	v_lshlrev_b32_e32 v11, 31, v17
	v_or_b32_e32 v14, 0x33000000, v11
	v_add_lshl_u32 v12, v12, v13, 23
	v_lshrrev_b32_e32 v10, 9, v10
	v_sub_u32_e32 v12, v14, v12
	v_or_b32_e32 v11, 0.5, v11
	v_lshlrev_b32_e32 v13, 23, v13
	v_or_b32_e32 v10, v12, v10
	v_lshrrev_b32_e32 v12, 9, v15
	v_sub_u32_e32 v11, v11, v13
	v_or_b32_e32 v11, v12, v11
	s_mov_b32 s0, 0x3fc90fda
	v_mul_f32_e32 v12, 0x3fc90fda, v11
	v_fma_f32 v13, v11, s0, -v12
	v_fmac_f32_e32 v13, 0x33a22168, v11
	v_fmac_f32_e32 v13, 0x3fc90fda, v10
	v_lshrrev_b32_e32 v10, 30, v18
	v_add_f32_e32 v11, v12, v13
	v_add_u32_e32 v10, v20, v10
	s_andn2_saveexec_b64 s[0:1], s[16:17]
	s_cbranch_execz .LBB21_1824
	s_branch .LBB21_1823
.LBB21_1776:
	s_mov_b64 s[0:1], 0
                                        ; implicit-def: $vgpr0_vgpr1
                                        ; implicit-def: $sgpr16
                                        ; implicit-def: $vgpr7
.LBB21_1777:
	s_mov_b64 s[2:3], 0
.LBB21_1778:
	s_and_b64 s[40:41], s[2:3], exec
	s_andn2_b64 s[2:3], s[6:7], exec
	s_and_b64 s[4:5], s[12:13], exec
	s_and_b64 s[0:1], s[0:1], exec
	s_or_b64 s[6:7], s[2:3], s[4:5]
.LBB21_1779:
	s_or_b64 exec, exec, s[28:29]
	s_and_saveexec_b64 s[2:3], s[6:7]
	s_cbranch_execz .LBB21_1782
; %bb.1780:
	; divergent unreachable
	s_or_b64 exec, exec, s[2:3]
	s_and_saveexec_b64 s[2:3], s[40:41]
	s_xor_b64 s[2:3], exec, s[2:3]
	s_cbranch_execnz .LBB21_1783
.LBB21_1781:
	s_or_b64 exec, exec, s[2:3]
	s_and_saveexec_b64 s[2:3], s[0:1]
	s_cbranch_execnz .LBB21_1784
	s_branch .LBB21_1821
.LBB21_1782:
	s_or_b64 exec, exec, s[2:3]
	s_and_saveexec_b64 s[2:3], s[40:41]
	s_xor_b64 s[2:3], exec, s[2:3]
	s_cbranch_execz .LBB21_1781
.LBB21_1783:
	v_cmp_neq_f32_e32 vcc, 0, v7
	v_cndmask_b32_e64 v2, 0, 1, vcc
	s_waitcnt vmcnt(0)
	global_store_byte v[0:1], v2, off
	s_or_b64 exec, exec, s[2:3]
	s_and_saveexec_b64 s[2:3], s[0:1]
	s_cbranch_execz .LBB21_1821
.LBB21_1784:
	s_sext_i32_i16 s2, s16
	s_cmp_lt_i32 s2, 5
	s_mov_b64 s[0:1], -1
	s_cbranch_scc1 .LBB21_1805
; %bb.1785:
	s_cmp_lt_i32 s2, 8
	s_cbranch_scc1 .LBB21_1795
; %bb.1786:
	s_cmp_lt_i32 s2, 9
	s_cbranch_scc1 .LBB21_1792
; %bb.1787:
	s_cmp_gt_i32 s2, 9
	s_cbranch_scc0 .LBB21_1789
; %bb.1788:
	s_waitcnt vmcnt(0)
	v_cvt_f64_f32_e32 v[2:3], v7
	v_mov_b32_e32 v4, 0
	v_mov_b32_e32 v5, v4
	s_mov_b64 s[0:1], 0
	global_store_dwordx4 v[0:1], v[2:5], off
.LBB21_1789:
	s_andn2_b64 vcc, exec, s[0:1]
	s_cbranch_vccnz .LBB21_1791
; %bb.1790:
	v_mov_b32_e32 v8, 0
	s_waitcnt vmcnt(0)
	global_store_dwordx2 v[0:1], v[7:8], off
.LBB21_1791:
	s_mov_b64 s[0:1], 0
.LBB21_1792:
	s_andn2_b64 vcc, exec, s[0:1]
	s_cbranch_vccnz .LBB21_1794
; %bb.1793:
	v_cvt_f16_f32_e32 v2, v7
	s_waitcnt vmcnt(0)
	global_store_dword v[0:1], v2, off
.LBB21_1794:
	s_mov_b64 s[0:1], 0
.LBB21_1795:
	s_andn2_b64 vcc, exec, s[0:1]
	s_cbranch_vccnz .LBB21_1804
; %bb.1796:
	s_sext_i32_i16 s2, s16
	s_cmp_lt_i32 s2, 6
	s_mov_b64 s[0:1], -1
	s_cbranch_scc1 .LBB21_1802
; %bb.1797:
	s_cmp_gt_i32 s2, 6
	s_cbranch_scc0 .LBB21_1799
; %bb.1798:
	s_waitcnt vmcnt(0)
	v_cvt_f64_f32_e32 v[2:3], v7
	s_mov_b64 s[0:1], 0
	global_store_dwordx2 v[0:1], v[2:3], off
.LBB21_1799:
	s_andn2_b64 vcc, exec, s[0:1]
	s_cbranch_vccnz .LBB21_1801
; %bb.1800:
	s_waitcnt vmcnt(0)
	global_store_dword v[0:1], v7, off
.LBB21_1801:
	s_mov_b64 s[0:1], 0
.LBB21_1802:
	s_andn2_b64 vcc, exec, s[0:1]
	s_cbranch_vccnz .LBB21_1804
; %bb.1803:
	v_cvt_f16_f32_e32 v2, v7
	s_waitcnt vmcnt(0)
	global_store_short v[0:1], v2, off
.LBB21_1804:
	s_mov_b64 s[0:1], 0
.LBB21_1805:
	s_andn2_b64 vcc, exec, s[0:1]
	s_cbranch_vccnz .LBB21_1821
; %bb.1806:
	s_sext_i32_i16 s2, s16
	s_cmp_lt_i32 s2, 2
	s_mov_b64 s[0:1], -1
	s_cbranch_scc1 .LBB21_1816
; %bb.1807:
	s_cmp_lt_i32 s2, 3
	s_cbranch_scc1 .LBB21_1813
; %bb.1808:
	s_cmp_gt_i32 s2, 3
	s_cbranch_scc0 .LBB21_1810
; %bb.1809:
	v_trunc_f32_e32 v2, v7
	s_mov_b32 s0, 0x2f800000
	s_waitcnt vmcnt(0)
	v_mul_f32_e64 v3, |v2|, s0
	v_floor_f32_e32 v3, v3
	s_mov_b32 s0, 0xcf800000
	v_cvt_u32_f32_e32 v4, v3
	v_fma_f32 v3, v3, s0, |v2|
	v_cvt_u32_f32_e32 v3, v3
	v_ashrrev_i32_e32 v5, 31, v2
	v_xor_b32_e32 v4, v4, v5
	s_mov_b64 s[0:1], 0
	v_xor_b32_e32 v2, v3, v5
	v_sub_co_u32_e32 v2, vcc, v2, v5
	v_subb_co_u32_e32 v3, vcc, v4, v5, vcc
	global_store_dwordx2 v[0:1], v[2:3], off
.LBB21_1810:
	s_andn2_b64 vcc, exec, s[0:1]
	s_cbranch_vccnz .LBB21_1812
; %bb.1811:
	v_cvt_i32_f32_e32 v2, v7
	s_waitcnt vmcnt(0)
	global_store_dword v[0:1], v2, off
.LBB21_1812:
	s_mov_b64 s[0:1], 0
.LBB21_1813:
	s_andn2_b64 vcc, exec, s[0:1]
	s_cbranch_vccnz .LBB21_1815
; %bb.1814:
	v_cvt_i32_f32_e32 v2, v7
	s_waitcnt vmcnt(0)
	global_store_short v[0:1], v2, off
.LBB21_1815:
	s_mov_b64 s[0:1], 0
.LBB21_1816:
	s_andn2_b64 vcc, exec, s[0:1]
	s_cbranch_vccnz .LBB21_1821
; %bb.1817:
	s_sext_i32_i16 s0, s16
	s_cmp_gt_i32 s0, 0
	s_mov_b64 s[0:1], -1
	s_cbranch_scc0 .LBB21_1819
; %bb.1818:
	v_cvt_i32_f32_e32 v2, v7
	s_mov_b64 s[0:1], 0
	s_waitcnt vmcnt(0)
	global_store_byte v[0:1], v2, off
.LBB21_1819:
	s_andn2_b64 vcc, exec, s[0:1]
	s_cbranch_vccnz .LBB21_1821
; %bb.1820:
	v_trunc_f32_e32 v2, v7
	s_mov_b32 s0, 0x2f800000
	s_waitcnt vmcnt(0)
	v_mul_f32_e64 v3, |v2|, s0
	v_floor_f32_e32 v3, v3
	s_mov_b32 s0, 0xcf800000
	v_fma_f32 v3, v3, s0, |v2|
	v_cvt_u32_f32_e32 v3, v3
	v_ashrrev_i32_e32 v2, 31, v2
	v_xor_b32_e32 v3, v3, v2
	v_sub_u32_e32 v2, v3, v2
	global_store_byte v[0:1], v2, off
	s_endpgm
.LBB21_1821:
	s_endpgm
.LBB21_1822:
	s_andn2_saveexec_b64 s[0:1], s[16:17]
	s_cbranch_execz .LBB21_1824
.LBB21_1823:
	s_mov_b32 s2, 0x3f22f983
	v_mul_f32_e64 v10, |v7|, s2
	v_rndne_f32_e32 v12, v10
	s_mov_b32 s2, 0xbfc90fda
	v_cvt_i32_f32_e32 v10, v12
	v_fma_f32 v11, v12, s2, |v7|
	v_fmac_f32_e32 v11, 0xb3a22168, v12
	v_fmac_f32_e32 v11, 0xa7c234c4, v12
.LBB21_1824:
	s_or_b64 exec, exec, s[0:1]
                                        ; implicit-def: $vgpr12
                                        ; implicit-def: $vgpr13
	s_and_saveexec_b64 s[0:1], s[14:15]
	s_xor_b64 s[14:15], exec, s[0:1]
	s_cbranch_execz .LBB21_1826
; %bb.1825:
	v_and_b32_e32 v12, 0x7fffff, v9
	v_or_b32_e32 v21, 0x800000, v12
	s_mov_b32 s0, 0xfe5163ab
	v_mad_u64_u32 v[12:13], s[0:1], v21, s0, 0
	v_mov_b32_e32 v14, 0
	s_mov_b32 s0, 0x3c439041
	v_mad_u64_u32 v[15:16], s[0:1], v21, s0, v[13:14]
	s_mov_b32 s0, 0xdb629599
	v_not_b32_e32 v20, 63
	v_mov_b32_e32 v13, v16
	v_mad_u64_u32 v[16:17], s[0:1], v21, s0, v[13:14]
	s_mov_b32 s0, 0xf534ddc0
	v_not_b32_e32 v23, 31
	v_mov_b32_e32 v13, v17
	v_mad_u64_u32 v[17:18], s[0:1], v21, s0, v[13:14]
	v_lshrrev_b32_e32 v13, 23, v9
	v_add_u32_e32 v22, 0xffffff88, v13
	v_mov_b32_e32 v13, v18
	s_mov_b32 s0, 0xfc2757d1
	v_mad_u64_u32 v[18:19], s[0:1], v21, s0, v[13:14]
	v_cmp_lt_u32_e32 vcc, 63, v22
	v_cndmask_b32_e32 v13, 0, v20, vcc
	v_add_u32_e32 v22, v13, v22
	v_mov_b32_e32 v13, v19
	s_mov_b32 s0, 0x4e441529
	v_mad_u64_u32 v[19:20], s[0:1], v21, s0, v[13:14]
	v_cmp_lt_u32_e64 s[0:1], 31, v22
	v_cndmask_b32_e64 v13, 0, v23, s[0:1]
	v_add_u32_e32 v22, v13, v22
	v_mov_b32_e32 v13, v20
	s_mov_b32 s2, 0xa2f9836e
	v_mad_u64_u32 v[13:14], s[2:3], v21, s2, v[13:14]
	v_cmp_lt_u32_e64 s[2:3], 31, v22
	v_cndmask_b32_e64 v20, 0, v23, s[2:3]
	v_cndmask_b32_e32 v21, v19, v17, vcc
	v_cndmask_b32_e32 v13, v13, v18, vcc
	;; [unrolled: 1-line block ×3, first 2 shown]
	v_add_u32_e32 v20, v20, v22
	v_cndmask_b32_e64 v22, v13, v21, s[0:1]
	v_cndmask_b32_e64 v13, v14, v13, s[0:1]
	v_cndmask_b32_e32 v14, v18, v16, vcc
	v_cndmask_b32_e64 v18, v21, v14, s[0:1]
	v_cndmask_b32_e64 v13, v13, v22, s[2:3]
	;; [unrolled: 1-line block ×3, first 2 shown]
	v_sub_u32_e32 v21, 32, v20
	v_alignbit_b32 v22, v13, v19, v21
	v_cmp_eq_u32_e64 s[4:5], 0, v20
	v_cndmask_b32_e64 v20, v22, v13, s[4:5]
	v_cndmask_b32_e32 v13, v17, v15, vcc
	v_cndmask_b32_e64 v14, v14, v13, s[0:1]
	v_cndmask_b32_e64 v15, v18, v14, s[2:3]
	v_alignbit_b32 v17, v19, v15, v21
	v_cndmask_b32_e32 v12, v16, v12, vcc
	v_cndmask_b32_e64 v17, v17, v19, s[4:5]
	v_bfe_u32 v22, v20, 29, 1
	v_cndmask_b32_e64 v12, v13, v12, s[0:1]
	v_alignbit_b32 v18, v20, v17, 30
	v_sub_u32_e32 v23, 0, v22
	v_cndmask_b32_e64 v12, v14, v12, s[2:3]
	v_xor_b32_e32 v18, v18, v23
	v_alignbit_b32 v13, v15, v12, v21
	v_cndmask_b32_e64 v13, v13, v15, s[4:5]
	v_ffbh_u32_e32 v15, v18
	v_alignbit_b32 v14, v17, v13, 30
	v_min_u32_e32 v15, 32, v15
	v_alignbit_b32 v12, v13, v12, 30
	v_xor_b32_e32 v14, v14, v23
	v_sub_u32_e32 v16, 31, v15
	v_xor_b32_e32 v12, v12, v23
	v_alignbit_b32 v17, v18, v14, v16
	v_alignbit_b32 v12, v14, v12, v16
	;; [unrolled: 1-line block ×3, first 2 shown]
	v_ffbh_u32_e32 v14, v13
	v_min_u32_e32 v14, 32, v14
	v_lshrrev_b32_e32 v19, 29, v20
	v_not_b32_e32 v16, v14
	v_alignbit_b32 v12, v13, v12, v16
	v_lshlrev_b32_e32 v13, 31, v19
	v_or_b32_e32 v16, 0x33000000, v13
	v_add_lshl_u32 v14, v14, v15, 23
	v_lshrrev_b32_e32 v12, 9, v12
	v_sub_u32_e32 v14, v16, v14
	v_or_b32_e32 v13, 0.5, v13
	v_lshlrev_b32_e32 v15, 23, v15
	v_or_b32_e32 v12, v14, v12
	v_lshrrev_b32_e32 v14, 9, v17
	v_sub_u32_e32 v13, v13, v15
	v_or_b32_e32 v13, v14, v13
	s_mov_b32 s0, 0x3fc90fda
	v_mul_f32_e32 v14, 0x3fc90fda, v13
	v_fma_f32 v15, v13, s0, -v14
	v_fmac_f32_e32 v15, 0x33a22168, v13
	v_fmac_f32_e32 v15, 0x3fc90fda, v12
	v_lshrrev_b32_e32 v12, 30, v20
	v_add_f32_e32 v13, v14, v15
	v_add_u32_e32 v12, v22, v12
	s_andn2_saveexec_b64 s[0:1], s[14:15]
	s_cbranch_execnz .LBB21_1827
	s_branch .LBB21_1828
.LBB21_1826:
	s_andn2_saveexec_b64 s[0:1], s[14:15]
	s_cbranch_execz .LBB21_1828
.LBB21_1827:
	s_mov_b32 s2, 0x3f22f983
	v_mul_f32_e64 v12, |v7|, s2
	v_rndne_f32_e32 v14, v12
	s_mov_b32 s2, 0xbfc90fda
	v_cvt_i32_f32_e32 v12, v14
	v_fma_f32 v13, v14, s2, |v7|
	v_fmac_f32_e32 v13, 0xb3a22168, v14
	v_fmac_f32_e32 v13, 0xa7c234c4, v14
.LBB21_1828:
	s_or_b64 exec, exec, s[0:1]
	v_mul_f32_e32 v14, v8, v8
	s_mov_b32 s2, 0x41c80000
	v_div_scale_f32 v15, s[0:1], v14, v14, s2
	v_div_scale_f32 v16, vcc, s2, v14, s2
	v_mov_b32_e32 v18, 0x3a50e985
	v_mov_b32_e32 v19, 0x3da9a586
	v_mov_b32_e32 v23, 0x3daf5e2d
	v_mov_b32_e32 v20, 0x3f9ea90a
	v_mov_b32_e32 v24, 0x3fa07396
	v_mov_b32_e32 v25, 0x40af123f
	v_mov_b32_e32 v26, 0x410c30c7
	v_mov_b32_e32 v27, 0x40a9cb2f
	v_mov_b32_e32 v28, 0xbc3a3a12
	v_mov_b32_e32 v29, 0xbfa429da
	v_mov_b32_e32 v30, 0xc19c6e80
	v_mov_b32_e32 v31, 0xc2ba697b
	v_rcp_f32_e32 v17, v15
	v_mov_b32_e32 v32, 0xc331ae61
	v_mov_b32_e32 v33, 0xc31313d7
	v_mul_f32_e32 v34, v11, v11
	v_fma_f32 v21, -v15, v17, 1.0
	v_fmac_f32_e32 v17, v21, v17
	v_mul_f32_e32 v21, v16, v17
	v_fma_f32 v22, -v15, v21, v16
	v_fmac_f32_e32 v21, v22, v17
	v_fma_f32 v15, -v15, v21, v16
	v_div_fmas_f32 v15, v15, v17, v21
	v_mov_b32_e32 v22, 0x3a725406
	v_mov_b32_e32 v16, 0x40ae4fdf
	;; [unrolled: 1-line block ×5, first 2 shown]
	v_fmac_f32_e32 v36, 0xb94c1982, v34
	v_mov_b32_e32 v35, 0x3c0881c4
	v_div_fixup_f32 v15, v15, v14, s2
	v_fmac_f32_e32 v18, 0, v15
	v_fmac_f32_e32 v22, 0, v15
	;; [unrolled: 1-line block ×12, first 2 shown]
	v_fma_f32 v16, v15, v27, 1.0
	v_fma_f32 v17, v15, v21, 1.0
	v_div_scale_f32 v18, s[0:1], v16, v16, v17
	v_div_scale_f32 v22, vcc, v17, v16, v17
	v_mov_b32_e32 v20, 0x4280a2ba
	s_mov_b32 s2, 0xc0a00000
	v_fmac_f32_e32 v28, 0, v15
	v_mov_b32_e32 v21, 0x44561b86
	v_div_scale_f32 v38, s[0:1], v8, v8, s2
	v_fmac_f32_e32 v20, 0, v15
	v_fmac_f32_e32 v29, v15, v28
	v_mov_b32_e32 v23, 0x4572a66e
	v_fmac_f32_e32 v21, v15, v20
	v_fmac_f32_e32 v30, v15, v29
	v_mov_b32_e32 v24, 0x45e243be
	v_rcp_f32_e32 v37, v18
	v_fmac_f32_e32 v23, v15, v21
	v_fmac_f32_e32 v31, v15, v30
	v_mov_b32_e32 v25, 0x45b955d1
	v_fma_f32 v39, -v18, v37, 1.0
	v_fmac_f32_e32 v37, v39, v37
	v_mul_f32_e32 v39, v22, v37
	v_fma_f32 v40, -v18, v39, v22
	v_fmac_f32_e32 v39, v40, v37
	v_fma_f32 v18, -v18, v39, v22
	v_div_fmas_f32 v18, v18, v37, v39
	v_fmac_f32_e32 v24, v15, v23
	v_fmac_f32_e32 v32, v15, v31
	v_mov_b32_e32 v19, 0xc24da463
	v_mov_b32_e32 v26, 0x4500e17e
	v_fmac_f32_e32 v25, v15, v24
	v_fmac_f32_e32 v33, v15, v32
	v_mov_b32_e32 v14, 0xc0c19ac7
	v_mov_b32_e32 v27, 0x43720178
	v_fmac_f32_e32 v26, v15, v25
	v_fmac_f32_e32 v19, v15, v33
	;; [unrolled: 1-line block ×4, first 2 shown]
	v_rcp_f32_e32 v21, v38
	v_mov_b32_e32 v22, 0xbab64f3b
	v_fmac_f32_e32 v22, 0x37d75334, v34
	v_div_fixup_f32 v15, v18, v16, v17
	v_div_scale_f32 v16, vcc, s2, v8, s2
	v_div_scale_f32 v18, s[0:1], v27, v27, v14
	v_div_scale_f32 v20, s[0:1], v14, v27, v14
	v_fma_f32 v24, -v38, v21, 1.0
	v_fmac_f32_e32 v21, v24, v21
	v_mov_b32_e32 v17, 0xbe2aaa9d
	v_fma_f32 v19, v34, v36, v17
	v_mul_f32_e32 v19, v34, v19
	v_fmac_f32_e32 v11, v11, v19
	v_mov_b32_e32 v19, 0xbab64f3b
	v_mov_b32_e32 v23, 0x3d2aabf7
	v_mul_f32_e32 v24, v16, v21
	v_fma_f32 v25, -v38, v24, v16
	v_fmac_f32_e32 v24, v25, v21
	v_rcp_f32_e32 v25, v18
	v_fma_f32 v16, -v38, v24, v16
	v_div_fmas_f32 v16, v16, v21, v24
	s_mov_b64 vcc, s[0:1]
	v_fma_f32 v21, -v18, v25, 1.0
	v_fmac_f32_e32 v25, v21, v25
	v_mul_f32_e32 v21, v20, v25
	v_fma_f32 v24, -v18, v21, v20
	v_fmac_f32_e32 v21, v24, v25
	v_fma_f32 v18, -v18, v21, v20
	v_div_fmas_f32 v18, v18, v25, v21
	v_fma_f32 v20, v34, v22, v23
	v_mov_b32_e32 v21, 0xbf000004
	v_fma_f32 v20, v34, v20, v21
	v_and_b32_e32 v22, 1, v10
	v_fma_f32 v20, v34, v20, 1.0
	v_cmp_eq_u32_e32 vcc, 0, v22
	s_movk_i32 s0, 0x1f8
	v_div_fixup_f32 v16, v16, v8, s2
	v_cndmask_b32_e64 v11, -v11, v20, vcc
	v_lshlrev_b32_e32 v10, 30, v10
	v_cmp_class_f32_e64 vcc, v7, s0
	v_xor_b32_e32 v7, v9, v7
	v_and_b32_e32 v10, 0x80000000, v10
	v_xor_b32_e32 v10, v10, v11
	v_mov_b32_e32 v11, 0x7fc00000
	v_div_fixup_f32 v14, v18, v27, v14
	v_mul_f32_e32 v14, v16, v14
	v_mul_f32_e32 v16, v13, v13
	v_fmac_f32_e32 v35, 0xb94c1982, v16
	v_fmac_f32_e32 v17, v16, v35
	v_fmac_f32_e32 v19, 0x37d75334, v16
	v_mul_f32_e32 v17, v16, v17
	v_fmac_f32_e32 v23, v16, v19
	v_fmac_f32_e32 v13, v13, v17
	;; [unrolled: 1-line block ×3, first 2 shown]
	v_and_b32_e32 v17, 1, v12
	v_lshlrev_b32_e32 v12, 30, v12
	v_fma_f32 v16, v16, v21, 1.0
	v_cmp_eq_u32_e64 s[0:1], 0, v17
	v_and_b32_e32 v12, 0x80000000, v12
	v_cndmask_b32_e64 v13, v16, v13, s[0:1]
	v_xor_b32_e32 v7, v7, v12
	v_xor_b32_e32 v7, v7, v13
	s_mov_b32 s0, 0xf800000
	v_cndmask_b32_e32 v10, v11, v10, vcc
	v_cndmask_b32_e32 v7, v11, v7, vcc
	v_mul_f32_e32 v9, 0x4f800000, v8
	v_cmp_gt_f32_e32 vcc, s0, v8
	v_cndmask_b32_e32 v8, v8, v9, vcc
	v_sqrt_f32_e32 v9, v8
	v_mul_f32_e32 v7, v14, v7
	v_fmac_f32_e32 v7, v15, v10
	v_mul_f32_e32 v7, 0x3f4c422a, v7
	v_add_u32_e32 v10, -1, v9
	v_fma_f32 v11, -v10, v9, v8
	v_cmp_ge_f32_e64 s[0:1], 0, v11
	v_add_u32_e32 v11, 1, v9
	v_cndmask_b32_e64 v10, v9, v10, s[0:1]
	v_fma_f32 v9, -v11, v9, v8
	v_cmp_lt_f32_e64 s[0:1], 0, v9
	v_cndmask_b32_e64 v9, v10, v11, s[0:1]
	v_mul_f32_e32 v10, 0x37800000, v9
	v_cndmask_b32_e32 v9, v9, v10, vcc
	v_mov_b32_e32 v10, 0x260
	v_cmp_class_f32_e32 vcc, v8, v10
	v_cndmask_b32_e32 v8, v9, v8, vcc
	v_div_scale_f32 v9, s[0:1], v8, v8, v7
	v_div_scale_f32 v10, vcc, v7, v8, v7
	v_rcp_f32_e32 v11, v9
	v_fma_f32 v12, -v9, v11, 1.0
	v_fmac_f32_e32 v11, v12, v11
	v_mul_f32_e32 v12, v10, v11
	v_fma_f32 v13, -v9, v12, v10
	v_fmac_f32_e32 v12, v13, v11
	v_fma_f32 v9, -v9, v12, v10
	v_div_fmas_f32 v9, v9, v11, v12
	v_div_fixup_f32 v7, v9, v8, v7
.LBB21_1829:
	s_or_b64 exec, exec, s[10:11]
	s_bfe_u32 s16, s20, 0x80008
	v_mov_b32_e32 v9, s9
	v_add_co_u32_e32 v8, vcc, s8, v6
	s_cmp_lt_i32 s16, 11
	v_addc_co_u32_e32 v9, vcc, 0, v9, vcc
	s_cbranch_scc1 .LBB21_1907
; %bb.1830:
	s_and_b32 s17, 0xffff, s16
	s_mov_b64 s[10:11], -1
	s_mov_b64 s[2:3], 0
	s_cmp_gt_i32 s17, 25
	s_mov_b64 s[4:5], 0
	s_mov_b64 s[0:1], 0
	s_cbranch_scc0 .LBB21_1863
; %bb.1831:
	s_cmp_gt_i32 s17, 28
	s_cbranch_scc0 .LBB21_1846
; %bb.1832:
	s_cmp_gt_i32 s17, 43
	;; [unrolled: 3-line block ×3, first 2 shown]
	s_cbranch_scc0 .LBB21_1836
; %bb.1834:
	s_mov_b64 s[0:1], -1
	s_mov_b64 s[10:11], 0
	s_cmp_eq_u32 s17, 46
	s_cbranch_scc0 .LBB21_1836
; %bb.1835:
	v_bfe_u32 v6, v5, 16, 1
	s_movk_i32 s0, 0x7fff
	v_add3_u32 v6, v5, v6, s0
	v_cmp_o_f32_e32 vcc, v5, v5
	v_mov_b32_e32 v10, 0x7fc0
	v_cndmask_b32_sdwa v6, v10, v6, vcc dst_sel:DWORD dst_unused:UNUSED_PAD src0_sel:DWORD src1_sel:WORD_1
	global_store_dword v[8:9], v6, off
	s_mov_b64 s[0:1], 0
	s_mov_b64 s[4:5], -1
.LBB21_1836:
	s_and_b64 vcc, exec, s[10:11]
	s_cbranch_vccz .LBB21_1841
; %bb.1837:
	s_cmp_eq_u32 s17, 44
	s_mov_b64 s[0:1], -1
	s_cbranch_scc0 .LBB21_1841
; %bb.1838:
	v_bfe_u32 v6, v5, 23, 8
	s_movk_i32 s0, 0xff
	v_cmp_ne_u32_e32 vcc, s0, v6
	v_mov_b32_e32 v10, 0xff
	s_and_saveexec_b64 s[4:5], vcc
; %bb.1839:
	s_mov_b32 s0, 0x3fffff
	v_and_b32_e32 v11, 0x400000, v5
	v_and_or_b32 v6, v5, s0, v6
	v_cmp_ne_u32_e32 vcc, 0, v11
	v_cmp_ne_u32_e64 s[0:1], 0, v6
	s_and_b64 s[0:1], vcc, s[0:1]
	v_lshrrev_b32_e32 v10, 23, v5
	v_cndmask_b32_e64 v6, 0, 1, s[0:1]
	v_add_u32_e32 v10, v10, v6
; %bb.1840:
	s_or_b64 exec, exec, s[4:5]
	s_mov_b64 s[0:1], 0
	s_mov_b64 s[4:5], -1
	global_store_byte v[8:9], v10, off
.LBB21_1841:
	s_mov_b64 s[10:11], 0
.LBB21_1842:
	s_and_b64 vcc, exec, s[10:11]
	s_cbranch_vccz .LBB21_1845
; %bb.1843:
	s_cmp_eq_u32 s17, 29
	s_mov_b64 s[0:1], -1
	s_cbranch_scc0 .LBB21_1845
; %bb.1844:
	v_trunc_f32_e32 v6, v5
	v_mul_f32_e32 v10, 0x2f800000, v6
	v_floor_f32_e32 v10, v10
	v_fmac_f32_e32 v6, 0xcf800000, v10
	v_cvt_u32_f32_e32 v11, v10
	v_cvt_u32_f32_e32 v10, v6
	s_mov_b64 s[0:1], 0
	s_mov_b64 s[4:5], -1
	global_store_dwordx2 v[8:9], v[10:11], off
.LBB21_1845:
	s_mov_b64 s[10:11], 0
.LBB21_1846:
	s_and_b64 vcc, exec, s[10:11]
	s_cbranch_vccz .LBB21_1862
; %bb.1847:
	s_cmp_lt_i32 s17, 27
	s_mov_b64 s[4:5], -1
	s_cbranch_scc1 .LBB21_1853
; %bb.1848:
	v_cvt_u32_f32_e32 v6, v5
	s_cmp_gt_i32 s17, 27
	s_cbranch_scc0 .LBB21_1850
; %bb.1849:
	s_mov_b64 s[4:5], 0
	global_store_dword v[8:9], v6, off
.LBB21_1850:
	s_andn2_b64 vcc, exec, s[4:5]
	s_cbranch_vccnz .LBB21_1852
; %bb.1851:
	global_store_short v[8:9], v6, off
.LBB21_1852:
	s_mov_b64 s[4:5], 0
.LBB21_1853:
	s_andn2_b64 vcc, exec, s[4:5]
	s_cbranch_vccnz .LBB21_1861
; %bb.1854:
	v_and_b32_e32 v6, 0x7fffffff, v5
	s_mov_b32 s4, 0x43800000
	v_cmp_gt_u32_e32 vcc, s4, v6
	v_mov_b32_e32 v10, 0x80
	s_and_saveexec_b64 s[4:5], vcc
	s_cbranch_execz .LBB21_1860
; %bb.1855:
	s_mov_b32 s10, 0x3bffffff
	v_cmp_lt_u32_e32 vcc, s10, v6
	s_mov_b64 s[10:11], 0
                                        ; implicit-def: $vgpr6
	s_and_saveexec_b64 s[14:15], vcc
	s_xor_b64 s[14:15], exec, s[14:15]
	s_cbranch_execz .LBB21_2265
; %bb.1856:
	v_bfe_u32 v6, v5, 20, 1
	s_mov_b32 s18, 0x487ffff
	v_add3_u32 v6, v5, v6, s18
	s_mov_b64 s[10:11], exec
	v_lshrrev_b32_e32 v6, 20, v6
	s_andn2_saveexec_b64 s[14:15], s[14:15]
	s_cbranch_execnz .LBB21_2266
.LBB21_1857:
	s_or_b64 exec, exec, s[14:15]
	v_mov_b32_e32 v10, 0
	s_and_saveexec_b64 s[14:15], s[10:11]
.LBB21_1858:
	v_lshrrev_b32_e32 v10, 24, v5
	s_movk_i32 s10, 0x80
	v_and_or_b32 v10, v10, s10, v6
.LBB21_1859:
	s_or_b64 exec, exec, s[14:15]
.LBB21_1860:
	s_or_b64 exec, exec, s[4:5]
	global_store_byte v[8:9], v10, off
.LBB21_1861:
	s_mov_b64 s[4:5], -1
.LBB21_1862:
	s_mov_b64 s[10:11], 0
.LBB21_1863:
	s_and_b64 vcc, exec, s[10:11]
	s_cbranch_vccz .LBB21_1903
; %bb.1864:
	s_cmp_gt_i32 s17, 22
	s_mov_b64 s[2:3], -1
	s_cbranch_scc0 .LBB21_1896
; %bb.1865:
	s_cmp_lt_i32 s17, 24
	s_cbranch_scc1 .LBB21_1885
; %bb.1866:
	s_cmp_gt_i32 s17, 24
	s_cbranch_scc0 .LBB21_1874
; %bb.1867:
	v_and_b32_e32 v6, 0x7fffffff, v5
	s_mov_b32 s2, 0x47800000
	v_cmp_gt_u32_e32 vcc, s2, v6
	v_mov_b32_e32 v10, 0x80
	s_and_saveexec_b64 s[2:3], vcc
	s_cbranch_execz .LBB21_1873
; %bb.1868:
	s_mov_b32 s4, 0x37ffffff
	v_cmp_lt_u32_e32 vcc, s4, v6
	s_mov_b64 s[4:5], 0
                                        ; implicit-def: $vgpr6
	s_and_saveexec_b64 s[10:11], vcc
	s_xor_b64 s[10:11], exec, s[10:11]
	s_cbranch_execz .LBB21_2268
; %bb.1869:
	v_bfe_u32 v6, v5, 21, 1
	s_mov_b32 s14, 0x88fffff
	v_add3_u32 v6, v5, v6, s14
	s_mov_b64 s[4:5], exec
	v_lshrrev_b32_e32 v6, 21, v6
	s_andn2_saveexec_b64 s[10:11], s[10:11]
	s_cbranch_execnz .LBB21_2269
.LBB21_1870:
	s_or_b64 exec, exec, s[10:11]
	v_mov_b32_e32 v10, 0
	s_and_saveexec_b64 s[10:11], s[4:5]
.LBB21_1871:
	v_lshrrev_b32_e32 v10, 24, v5
	s_movk_i32 s4, 0x80
	v_and_or_b32 v10, v10, s4, v6
.LBB21_1872:
	s_or_b64 exec, exec, s[10:11]
.LBB21_1873:
	s_or_b64 exec, exec, s[2:3]
	s_mov_b64 s[2:3], 0
	global_store_byte v[8:9], v10, off
.LBB21_1874:
	s_and_b64 vcc, exec, s[2:3]
	s_cbranch_vccz .LBB21_1884
; %bb.1875:
	v_and_b32_e32 v10, 0x7fffffff, v5
	s_mov_b32 s2, 0x43f00000
	v_cmp_gt_u32_e32 vcc, s2, v10
                                        ; implicit-def: $vgpr6
	s_and_saveexec_b64 s[2:3], vcc
	s_xor_b64 s[2:3], exec, s[2:3]
	s_cbranch_execz .LBB21_1881
; %bb.1876:
	s_mov_b32 s4, 0x3c7fffff
	v_cmp_lt_u32_e32 vcc, s4, v10
                                        ; implicit-def: $vgpr6
	s_and_saveexec_b64 s[4:5], vcc
	s_xor_b64 s[4:5], exec, s[4:5]
; %bb.1877:
	v_bfe_u32 v6, v5, 20, 1
	s_mov_b32 s10, 0x407ffff
	v_add3_u32 v6, v5, v6, s10
	v_lshrrev_b32_e32 v10, 20, v6
	v_and_b32_e32 v6, 0xff00000, v6
	s_mov_b32 s10, 0x7f00000
	v_mov_b32_e32 v11, 0x7e
	v_cmp_ne_u32_e32 vcc, s10, v6
	v_cndmask_b32_e32 v6, v11, v10, vcc
; %bb.1878:
	s_andn2_saveexec_b64 s[4:5], s[4:5]
; %bb.1879:
	s_mov_b32 s10, 0x46800000
	v_add_f32_e64 v6, |v5|, s10
; %bb.1880:
	s_or_b64 exec, exec, s[4:5]
                                        ; implicit-def: $vgpr10
.LBB21_1881:
	s_andn2_saveexec_b64 s[2:3], s[2:3]
; %bb.1882:
	s_mov_b32 s4, 0x7f800000
	v_mov_b32_e32 v6, 0x7e
	v_mov_b32_e32 v11, 0x7f
	v_cmp_lt_u32_e32 vcc, s4, v10
	v_cndmask_b32_e32 v6, v6, v11, vcc
; %bb.1883:
	s_or_b64 exec, exec, s[2:3]
	v_lshrrev_b32_e32 v10, 24, v5
	s_movk_i32 s2, 0x80
	v_and_or_b32 v6, v10, s2, v6
	global_store_byte v[8:9], v6, off
.LBB21_1884:
	s_mov_b64 s[2:3], 0
.LBB21_1885:
	s_andn2_b64 vcc, exec, s[2:3]
	s_cbranch_vccnz .LBB21_1895
; %bb.1886:
	v_and_b32_e32 v10, 0x7fffffff, v5
	s_mov_b32 s2, 0x47800000
	v_cmp_gt_u32_e32 vcc, s2, v10
                                        ; implicit-def: $vgpr6
	s_and_saveexec_b64 s[2:3], vcc
	s_xor_b64 s[2:3], exec, s[2:3]
	s_cbranch_execz .LBB21_1892
; %bb.1887:
	s_mov_b32 s4, 0x387fffff
	v_cmp_lt_u32_e32 vcc, s4, v10
                                        ; implicit-def: $vgpr6
	s_and_saveexec_b64 s[4:5], vcc
	s_xor_b64 s[4:5], exec, s[4:5]
; %bb.1888:
	v_bfe_u32 v6, v5, 21, 1
	s_mov_b32 s10, 0x80fffff
	v_add3_u32 v6, v5, v6, s10
	v_lshrrev_b32_e32 v6, 21, v6
; %bb.1889:
	s_andn2_saveexec_b64 s[4:5], s[4:5]
; %bb.1890:
	s_mov_b32 s10, 0x43000000
	v_add_f32_e64 v6, |v5|, s10
; %bb.1891:
	s_or_b64 exec, exec, s[4:5]
                                        ; implicit-def: $vgpr10
.LBB21_1892:
	s_andn2_saveexec_b64 s[2:3], s[2:3]
; %bb.1893:
	s_mov_b32 s4, 0x7f800000
	v_mov_b32_e32 v6, 0x7c
	v_mov_b32_e32 v11, 0x7f
	v_cmp_lt_u32_e32 vcc, s4, v10
	v_cndmask_b32_e32 v6, v6, v11, vcc
; %bb.1894:
	s_or_b64 exec, exec, s[2:3]
	v_lshrrev_b32_e32 v10, 24, v5
	s_movk_i32 s2, 0x80
	v_and_or_b32 v6, v10, s2, v6
	global_store_byte v[8:9], v6, off
.LBB21_1895:
	s_mov_b64 s[2:3], 0
	s_mov_b64 s[4:5], -1
.LBB21_1896:
	s_andn2_b64 vcc, exec, s[2:3]
	s_mov_b64 s[2:3], 0
	s_cbranch_vccnz .LBB21_1903
; %bb.1897:
	s_cmp_gt_i32 s17, 14
	s_mov_b64 s[10:11], -1
	s_cbranch_scc0 .LBB21_1901
; %bb.1898:
	s_cmp_eq_u32 s17, 15
	s_mov_b64 s[0:1], -1
	s_cbranch_scc0 .LBB21_1900
; %bb.1899:
	v_bfe_u32 v6, v5, 16, 1
	s_movk_i32 s0, 0x7fff
	v_add3_u32 v6, v5, v6, s0
	v_cmp_o_f32_e32 vcc, v5, v5
	v_mov_b32_e32 v10, 0x7fc0
	v_cndmask_b32_sdwa v6, v10, v6, vcc dst_sel:DWORD dst_unused:UNUSED_PAD src0_sel:DWORD src1_sel:WORD_1
	global_store_short v[8:9], v6, off
	s_mov_b64 s[0:1], 0
	s_mov_b64 s[4:5], -1
.LBB21_1900:
	s_mov_b64 s[10:11], 0
.LBB21_1901:
	s_and_b64 vcc, exec, s[10:11]
	s_cbranch_vccz .LBB21_1903
; %bb.1902:
	s_cmp_lg_u32 s17, 11
	s_mov_b64 s[2:3], -1
	s_cselect_b64 s[0:1], -1, 0
.LBB21_1903:
	s_and_b64 vcc, exec, s[0:1]
	s_cbranch_vccnz .LBB21_2267
; %bb.1904:
	s_andn2_b64 vcc, exec, s[2:3]
	s_cbranch_vccnz .LBB21_1906
.LBB21_1905:
	v_cmp_neq_f32_e32 vcc, 0, v5
	v_cndmask_b32_e64 v6, 0, 1, vcc
	s_mov_b64 s[4:5], -1
	global_store_byte v[8:9], v6, off
.LBB21_1906:
	s_mov_b64 s[0:1], 0
	s_branch .LBB21_1908
.LBB21_1907:
	s_mov_b64 s[0:1], -1
	s_mov_b64 s[4:5], 0
.LBB21_1908:
	s_and_b64 vcc, exec, s[0:1]
	s_cbranch_vccz .LBB21_1947
; %bb.1909:
	s_and_b32 s2, 0xffff, s16
	s_cmp_lt_i32 s2, 5
	s_mov_b64 s[0:1], -1
	s_cbranch_scc1 .LBB21_1930
; %bb.1910:
	s_cmp_lt_i32 s2, 8
	s_cbranch_scc1 .LBB21_1920
; %bb.1911:
	s_cmp_lt_i32 s2, 9
	s_cbranch_scc1 .LBB21_1917
; %bb.1912:
	s_cmp_gt_i32 s2, 9
	s_cbranch_scc0 .LBB21_1914
; %bb.1913:
	v_cvt_f64_f32_e32 v[10:11], v5
	v_mov_b32_e32 v12, 0
	v_mov_b32_e32 v13, v12
	s_mov_b64 s[0:1], 0
	global_store_dwordx4 v[8:9], v[10:13], off
.LBB21_1914:
	s_andn2_b64 vcc, exec, s[0:1]
	s_cbranch_vccnz .LBB21_1916
; %bb.1915:
	v_mov_b32_e32 v6, 0
	global_store_dwordx2 v[8:9], v[5:6], off
.LBB21_1916:
	s_mov_b64 s[0:1], 0
.LBB21_1917:
	s_andn2_b64 vcc, exec, s[0:1]
	s_cbranch_vccnz .LBB21_1919
; %bb.1918:
	v_cvt_f16_f32_e32 v6, v5
	global_store_dword v[8:9], v6, off
.LBB21_1919:
	s_mov_b64 s[0:1], 0
.LBB21_1920:
	s_andn2_b64 vcc, exec, s[0:1]
	s_cbranch_vccnz .LBB21_1929
; %bb.1921:
	s_cmp_lt_i32 s2, 6
	s_mov_b64 s[0:1], -1
	s_cbranch_scc1 .LBB21_1927
; %bb.1922:
	s_cmp_gt_i32 s2, 6
	s_cbranch_scc0 .LBB21_1924
; %bb.1923:
	v_cvt_f64_f32_e32 v[10:11], v5
	s_mov_b64 s[0:1], 0
	global_store_dwordx2 v[8:9], v[10:11], off
.LBB21_1924:
	s_andn2_b64 vcc, exec, s[0:1]
	s_cbranch_vccnz .LBB21_1926
; %bb.1925:
	global_store_dword v[8:9], v5, off
.LBB21_1926:
	s_mov_b64 s[0:1], 0
.LBB21_1927:
	s_andn2_b64 vcc, exec, s[0:1]
	s_cbranch_vccnz .LBB21_1929
; %bb.1928:
	v_cvt_f16_f32_e32 v6, v5
	global_store_short v[8:9], v6, off
.LBB21_1929:
	s_mov_b64 s[0:1], 0
.LBB21_1930:
	s_andn2_b64 vcc, exec, s[0:1]
	s_cbranch_vccnz .LBB21_1946
; %bb.1931:
	s_cmp_lt_i32 s2, 2
	s_mov_b64 s[0:1], -1
	s_cbranch_scc1 .LBB21_1941
; %bb.1932:
	s_cmp_lt_i32 s2, 3
	s_cbranch_scc1 .LBB21_1938
; %bb.1933:
	s_cmp_gt_i32 s2, 3
	s_cbranch_scc0 .LBB21_1935
; %bb.1934:
	v_trunc_f32_e32 v6, v5
	s_mov_b32 s0, 0x2f800000
	v_mul_f32_e64 v10, |v6|, s0
	v_floor_f32_e32 v10, v10
	s_mov_b32 s0, 0xcf800000
	v_cvt_u32_f32_e32 v11, v10
	v_fma_f32 v10, v10, s0, |v6|
	v_cvt_u32_f32_e32 v10, v10
	v_ashrrev_i32_e32 v6, 31, v6
	v_xor_b32_e32 v11, v11, v6
	s_mov_b64 s[0:1], 0
	v_xor_b32_e32 v10, v10, v6
	v_sub_co_u32_e32 v10, vcc, v10, v6
	v_subb_co_u32_e32 v11, vcc, v11, v6, vcc
	global_store_dwordx2 v[8:9], v[10:11], off
.LBB21_1935:
	s_andn2_b64 vcc, exec, s[0:1]
	s_cbranch_vccnz .LBB21_1937
; %bb.1936:
	v_cvt_i32_f32_e32 v6, v5
	global_store_dword v[8:9], v6, off
.LBB21_1937:
	s_mov_b64 s[0:1], 0
.LBB21_1938:
	s_andn2_b64 vcc, exec, s[0:1]
	s_cbranch_vccnz .LBB21_1940
; %bb.1939:
	v_cvt_i32_f32_e32 v6, v5
	global_store_short v[8:9], v6, off
.LBB21_1940:
	s_mov_b64 s[0:1], 0
.LBB21_1941:
	s_andn2_b64 vcc, exec, s[0:1]
	s_cbranch_vccnz .LBB21_1946
; %bb.1942:
	s_cmp_gt_i32 s2, 0
	s_mov_b64 s[0:1], -1
	s_cbranch_scc0 .LBB21_1944
; %bb.1943:
	v_cvt_i32_f32_e32 v6, v5
	s_mov_b64 s[0:1], 0
	global_store_byte v[8:9], v6, off
.LBB21_1944:
	s_andn2_b64 vcc, exec, s[0:1]
	s_cbranch_vccnz .LBB21_1946
; %bb.1945:
	v_trunc_f32_e32 v5, v5
	s_mov_b32 s0, 0x2f800000
	v_mul_f32_e64 v6, |v5|, s0
	v_floor_f32_e32 v6, v6
	s_mov_b32 s0, 0xcf800000
	v_fma_f32 v6, v6, s0, |v5|
	v_cvt_u32_f32_e32 v6, v6
	v_ashrrev_i32_e32 v5, 31, v5
	v_xor_b32_e32 v6, v6, v5
	v_sub_u32_e32 v5, v6, v5
	global_store_byte v[8:9], v5, off
.LBB21_1946:
	s_mov_b64 s[4:5], -1
.LBB21_1947:
	s_andn2_b64 vcc, exec, s[4:5]
	s_cbranch_vccnz .LBB21_2262
; %bb.1948:
	s_lshr_b32 s0, s20, 8
	s_and_b32 s16, s0, 0xff
	v_mov_b32_e32 v6, s9
	v_add_co_u32_e32 v5, vcc, s8, v4
	s_cmp_lt_i32 s16, 11
	v_addc_co_u32_e32 v6, vcc, 0, v6, vcc
	s_cbranch_scc1 .LBB21_2026
; %bb.1949:
	s_and_b32 s17, 0xffff, s16
	s_mov_b64 s[10:11], -1
	s_mov_b64 s[2:3], 0
	s_cmp_gt_i32 s17, 25
	s_mov_b64 s[4:5], 0
	s_mov_b64 s[0:1], 0
	s_cbranch_scc0 .LBB21_1982
; %bb.1950:
	s_cmp_gt_i32 s17, 28
	s_cbranch_scc0 .LBB21_1965
; %bb.1951:
	s_cmp_gt_i32 s17, 43
	;; [unrolled: 3-line block ×3, first 2 shown]
	s_cbranch_scc0 .LBB21_1955
; %bb.1953:
	s_mov_b64 s[0:1], -1
	s_mov_b64 s[10:11], 0
	s_cmp_eq_u32 s17, 46
	s_cbranch_scc0 .LBB21_1955
; %bb.1954:
	v_bfe_u32 v4, v3, 16, 1
	s_movk_i32 s0, 0x7fff
	v_add3_u32 v4, v3, v4, s0
	v_cmp_o_f32_e32 vcc, v3, v3
	v_mov_b32_e32 v8, 0x7fc0
	v_cndmask_b32_sdwa v4, v8, v4, vcc dst_sel:DWORD dst_unused:UNUSED_PAD src0_sel:DWORD src1_sel:WORD_1
	global_store_dword v[5:6], v4, off
	s_mov_b64 s[0:1], 0
	s_mov_b64 s[4:5], -1
.LBB21_1955:
	s_and_b64 vcc, exec, s[10:11]
	s_cbranch_vccz .LBB21_1960
; %bb.1956:
	s_cmp_eq_u32 s17, 44
	s_mov_b64 s[0:1], -1
	s_cbranch_scc0 .LBB21_1960
; %bb.1957:
	v_bfe_u32 v4, v3, 23, 8
	s_movk_i32 s0, 0xff
	v_cmp_ne_u32_e32 vcc, s0, v4
	v_mov_b32_e32 v8, 0xff
	s_and_saveexec_b64 s[4:5], vcc
; %bb.1958:
	s_mov_b32 s0, 0x3fffff
	v_and_b32_e32 v9, 0x400000, v3
	v_and_or_b32 v4, v3, s0, v4
	v_cmp_ne_u32_e32 vcc, 0, v9
	v_cmp_ne_u32_e64 s[0:1], 0, v4
	s_and_b64 s[0:1], vcc, s[0:1]
	v_lshrrev_b32_e32 v8, 23, v3
	v_cndmask_b32_e64 v4, 0, 1, s[0:1]
	v_add_u32_e32 v8, v8, v4
; %bb.1959:
	s_or_b64 exec, exec, s[4:5]
	s_mov_b64 s[0:1], 0
	s_mov_b64 s[4:5], -1
	global_store_byte v[5:6], v8, off
.LBB21_1960:
	s_mov_b64 s[10:11], 0
.LBB21_1961:
	s_and_b64 vcc, exec, s[10:11]
	s_cbranch_vccz .LBB21_1964
; %bb.1962:
	s_cmp_eq_u32 s17, 29
	s_mov_b64 s[0:1], -1
	s_cbranch_scc0 .LBB21_1964
; %bb.1963:
	v_trunc_f32_e32 v4, v3
	v_mul_f32_e32 v8, 0x2f800000, v4
	v_floor_f32_e32 v8, v8
	v_fmac_f32_e32 v4, 0xcf800000, v8
	v_cvt_u32_f32_e32 v9, v8
	v_cvt_u32_f32_e32 v8, v4
	s_mov_b64 s[0:1], 0
	s_mov_b64 s[4:5], -1
	global_store_dwordx2 v[5:6], v[8:9], off
.LBB21_1964:
	s_mov_b64 s[10:11], 0
.LBB21_1965:
	s_and_b64 vcc, exec, s[10:11]
	s_cbranch_vccz .LBB21_1981
; %bb.1966:
	s_cmp_lt_i32 s17, 27
	s_mov_b64 s[4:5], -1
	s_cbranch_scc1 .LBB21_1972
; %bb.1967:
	s_cmp_gt_i32 s17, 27
	s_cbranch_scc0 .LBB21_1969
; %bb.1968:
	v_cvt_u32_f32_e32 v4, v3
	s_mov_b64 s[4:5], 0
	global_store_dword v[5:6], v4, off
.LBB21_1969:
	s_andn2_b64 vcc, exec, s[4:5]
	s_cbranch_vccnz .LBB21_1971
; %bb.1970:
	v_cvt_u32_f32_e32 v4, v3
	global_store_short v[5:6], v4, off
.LBB21_1971:
	s_mov_b64 s[4:5], 0
.LBB21_1972:
	s_andn2_b64 vcc, exec, s[4:5]
	s_cbranch_vccnz .LBB21_1980
; %bb.1973:
	v_and_b32_e32 v4, 0x7fffffff, v3
	s_mov_b32 s4, 0x43800000
	v_cmp_gt_u32_e32 vcc, s4, v4
	v_mov_b32_e32 v8, 0x80
	s_and_saveexec_b64 s[4:5], vcc
	s_cbranch_execz .LBB21_1979
; %bb.1974:
	s_mov_b32 s10, 0x3bffffff
	v_cmp_lt_u32_e32 vcc, s10, v4
	s_mov_b64 s[10:11], 0
                                        ; implicit-def: $vgpr4
	s_and_saveexec_b64 s[14:15], vcc
	s_xor_b64 s[14:15], exec, s[14:15]
	s_cbranch_execz .LBB21_2270
; %bb.1975:
	v_bfe_u32 v4, v3, 20, 1
	s_mov_b32 s18, 0x487ffff
	v_add3_u32 v4, v3, v4, s18
	s_mov_b64 s[10:11], exec
	v_lshrrev_b32_e32 v4, 20, v4
	s_andn2_saveexec_b64 s[14:15], s[14:15]
	s_cbranch_execnz .LBB21_2271
.LBB21_1976:
	s_or_b64 exec, exec, s[14:15]
	v_mov_b32_e32 v8, 0
	s_and_saveexec_b64 s[14:15], s[10:11]
.LBB21_1977:
	v_lshrrev_b32_e32 v8, 24, v3
	s_movk_i32 s10, 0x80
	v_and_or_b32 v8, v8, s10, v4
.LBB21_1978:
	s_or_b64 exec, exec, s[14:15]
.LBB21_1979:
	s_or_b64 exec, exec, s[4:5]
	global_store_byte v[5:6], v8, off
.LBB21_1980:
	s_mov_b64 s[4:5], -1
.LBB21_1981:
	s_mov_b64 s[10:11], 0
.LBB21_1982:
	s_and_b64 vcc, exec, s[10:11]
	s_cbranch_vccz .LBB21_2022
; %bb.1983:
	s_cmp_gt_i32 s17, 22
	s_mov_b64 s[2:3], -1
	s_cbranch_scc0 .LBB21_2015
; %bb.1984:
	s_cmp_lt_i32 s17, 24
	s_cbranch_scc1 .LBB21_2004
; %bb.1985:
	s_cmp_gt_i32 s17, 24
	s_cbranch_scc0 .LBB21_1993
; %bb.1986:
	v_and_b32_e32 v4, 0x7fffffff, v3
	s_mov_b32 s2, 0x47800000
	v_cmp_gt_u32_e32 vcc, s2, v4
	v_mov_b32_e32 v8, 0x80
	s_and_saveexec_b64 s[2:3], vcc
	s_cbranch_execz .LBB21_1992
; %bb.1987:
	s_mov_b32 s4, 0x37ffffff
	v_cmp_lt_u32_e32 vcc, s4, v4
	s_mov_b64 s[4:5], 0
                                        ; implicit-def: $vgpr4
	s_and_saveexec_b64 s[10:11], vcc
	s_xor_b64 s[10:11], exec, s[10:11]
	s_cbranch_execz .LBB21_2273
; %bb.1988:
	v_bfe_u32 v4, v3, 21, 1
	s_mov_b32 s14, 0x88fffff
	v_add3_u32 v4, v3, v4, s14
	s_mov_b64 s[4:5], exec
	v_lshrrev_b32_e32 v4, 21, v4
	s_andn2_saveexec_b64 s[10:11], s[10:11]
	s_cbranch_execnz .LBB21_2274
.LBB21_1989:
	s_or_b64 exec, exec, s[10:11]
	v_mov_b32_e32 v8, 0
	s_and_saveexec_b64 s[10:11], s[4:5]
.LBB21_1990:
	v_lshrrev_b32_e32 v8, 24, v3
	s_movk_i32 s4, 0x80
	v_and_or_b32 v8, v8, s4, v4
.LBB21_1991:
	s_or_b64 exec, exec, s[10:11]
.LBB21_1992:
	s_or_b64 exec, exec, s[2:3]
	s_mov_b64 s[2:3], 0
	global_store_byte v[5:6], v8, off
.LBB21_1993:
	s_and_b64 vcc, exec, s[2:3]
	s_cbranch_vccz .LBB21_2003
; %bb.1994:
	v_and_b32_e32 v8, 0x7fffffff, v3
	s_mov_b32 s2, 0x43f00000
	v_cmp_gt_u32_e32 vcc, s2, v8
                                        ; implicit-def: $vgpr4
	s_and_saveexec_b64 s[2:3], vcc
	s_xor_b64 s[2:3], exec, s[2:3]
	s_cbranch_execz .LBB21_2000
; %bb.1995:
	s_mov_b32 s4, 0x3c7fffff
	v_cmp_lt_u32_e32 vcc, s4, v8
                                        ; implicit-def: $vgpr4
	s_and_saveexec_b64 s[4:5], vcc
	s_xor_b64 s[4:5], exec, s[4:5]
; %bb.1996:
	v_bfe_u32 v4, v3, 20, 1
	s_mov_b32 s10, 0x407ffff
	v_add3_u32 v4, v3, v4, s10
	v_lshrrev_b32_e32 v8, 20, v4
	v_and_b32_e32 v4, 0xff00000, v4
	s_mov_b32 s10, 0x7f00000
	v_mov_b32_e32 v9, 0x7e
	v_cmp_ne_u32_e32 vcc, s10, v4
	v_cndmask_b32_e32 v4, v9, v8, vcc
; %bb.1997:
	s_andn2_saveexec_b64 s[4:5], s[4:5]
; %bb.1998:
	s_mov_b32 s10, 0x46800000
	v_add_f32_e64 v4, |v3|, s10
; %bb.1999:
	s_or_b64 exec, exec, s[4:5]
                                        ; implicit-def: $vgpr8
.LBB21_2000:
	s_andn2_saveexec_b64 s[2:3], s[2:3]
; %bb.2001:
	s_mov_b32 s4, 0x7f800000
	v_mov_b32_e32 v4, 0x7e
	v_mov_b32_e32 v9, 0x7f
	v_cmp_lt_u32_e32 vcc, s4, v8
	v_cndmask_b32_e32 v4, v4, v9, vcc
; %bb.2002:
	s_or_b64 exec, exec, s[2:3]
	v_lshrrev_b32_e32 v8, 24, v3
	s_movk_i32 s2, 0x80
	v_and_or_b32 v4, v8, s2, v4
	global_store_byte v[5:6], v4, off
.LBB21_2003:
	s_mov_b64 s[2:3], 0
.LBB21_2004:
	s_andn2_b64 vcc, exec, s[2:3]
	s_cbranch_vccnz .LBB21_2014
; %bb.2005:
	v_and_b32_e32 v8, 0x7fffffff, v3
	s_mov_b32 s2, 0x47800000
	v_cmp_gt_u32_e32 vcc, s2, v8
                                        ; implicit-def: $vgpr4
	s_and_saveexec_b64 s[2:3], vcc
	s_xor_b64 s[2:3], exec, s[2:3]
	s_cbranch_execz .LBB21_2011
; %bb.2006:
	s_mov_b32 s4, 0x387fffff
	v_cmp_lt_u32_e32 vcc, s4, v8
                                        ; implicit-def: $vgpr4
	s_and_saveexec_b64 s[4:5], vcc
	s_xor_b64 s[4:5], exec, s[4:5]
; %bb.2007:
	v_bfe_u32 v4, v3, 21, 1
	s_mov_b32 s10, 0x80fffff
	v_add3_u32 v4, v3, v4, s10
	v_lshrrev_b32_e32 v4, 21, v4
; %bb.2008:
	s_andn2_saveexec_b64 s[4:5], s[4:5]
; %bb.2009:
	s_mov_b32 s10, 0x43000000
	v_add_f32_e64 v4, |v3|, s10
; %bb.2010:
	s_or_b64 exec, exec, s[4:5]
                                        ; implicit-def: $vgpr8
.LBB21_2011:
	s_andn2_saveexec_b64 s[2:3], s[2:3]
; %bb.2012:
	s_mov_b32 s4, 0x7f800000
	v_mov_b32_e32 v4, 0x7c
	v_mov_b32_e32 v9, 0x7f
	v_cmp_lt_u32_e32 vcc, s4, v8
	v_cndmask_b32_e32 v4, v4, v9, vcc
; %bb.2013:
	s_or_b64 exec, exec, s[2:3]
	v_lshrrev_b32_e32 v8, 24, v3
	s_movk_i32 s2, 0x80
	v_and_or_b32 v4, v8, s2, v4
	global_store_byte v[5:6], v4, off
.LBB21_2014:
	s_mov_b64 s[2:3], 0
	s_mov_b64 s[4:5], -1
.LBB21_2015:
	s_andn2_b64 vcc, exec, s[2:3]
	s_mov_b64 s[2:3], 0
	s_cbranch_vccnz .LBB21_2022
; %bb.2016:
	s_cmp_gt_i32 s17, 14
	s_mov_b64 s[10:11], -1
	s_cbranch_scc0 .LBB21_2020
; %bb.2017:
	s_cmp_eq_u32 s17, 15
	s_mov_b64 s[0:1], -1
	s_cbranch_scc0 .LBB21_2019
; %bb.2018:
	v_bfe_u32 v4, v3, 16, 1
	s_movk_i32 s0, 0x7fff
	v_add3_u32 v4, v3, v4, s0
	v_cmp_o_f32_e32 vcc, v3, v3
	v_mov_b32_e32 v8, 0x7fc0
	v_cndmask_b32_sdwa v4, v8, v4, vcc dst_sel:DWORD dst_unused:UNUSED_PAD src0_sel:DWORD src1_sel:WORD_1
	global_store_short v[5:6], v4, off
	s_mov_b64 s[0:1], 0
	s_mov_b64 s[4:5], -1
.LBB21_2019:
	s_mov_b64 s[10:11], 0
.LBB21_2020:
	s_and_b64 vcc, exec, s[10:11]
	s_cbranch_vccz .LBB21_2022
; %bb.2021:
	s_cmp_lg_u32 s17, 11
	s_mov_b64 s[2:3], -1
	s_cselect_b64 s[0:1], -1, 0
.LBB21_2022:
	s_and_b64 vcc, exec, s[0:1]
	s_cbranch_vccnz .LBB21_2272
; %bb.2023:
	s_andn2_b64 vcc, exec, s[2:3]
	s_cbranch_vccnz .LBB21_2025
.LBB21_2024:
	v_cmp_neq_f32_e32 vcc, 0, v3
	v_cndmask_b32_e64 v4, 0, 1, vcc
	s_mov_b64 s[4:5], -1
	global_store_byte v[5:6], v4, off
.LBB21_2025:
	s_mov_b64 s[0:1], 0
	s_branch .LBB21_2027
.LBB21_2026:
	s_mov_b64 s[0:1], -1
	s_mov_b64 s[4:5], 0
.LBB21_2027:
	s_and_b64 vcc, exec, s[0:1]
	s_cbranch_vccz .LBB21_2066
; %bb.2028:
	s_and_b32 s2, 0xffff, s16
	s_cmp_lt_i32 s2, 5
	s_mov_b64 s[0:1], -1
	s_cbranch_scc1 .LBB21_2049
; %bb.2029:
	s_cmp_lt_i32 s2, 8
	s_cbranch_scc1 .LBB21_2039
; %bb.2030:
	s_cmp_lt_i32 s2, 9
	s_cbranch_scc1 .LBB21_2036
; %bb.2031:
	s_cmp_gt_i32 s2, 9
	s_cbranch_scc0 .LBB21_2033
; %bb.2032:
	v_cvt_f64_f32_e32 v[8:9], v3
	v_mov_b32_e32 v10, 0
	v_mov_b32_e32 v11, v10
	s_mov_b64 s[0:1], 0
	global_store_dwordx4 v[5:6], v[8:11], off
.LBB21_2033:
	s_andn2_b64 vcc, exec, s[0:1]
	s_cbranch_vccnz .LBB21_2035
; %bb.2034:
	v_mov_b32_e32 v4, 0
	global_store_dwordx2 v[5:6], v[3:4], off
.LBB21_2035:
	s_mov_b64 s[0:1], 0
.LBB21_2036:
	s_andn2_b64 vcc, exec, s[0:1]
	s_cbranch_vccnz .LBB21_2038
; %bb.2037:
	v_cvt_f16_f32_e32 v4, v3
	global_store_dword v[5:6], v4, off
.LBB21_2038:
	s_mov_b64 s[0:1], 0
.LBB21_2039:
	s_andn2_b64 vcc, exec, s[0:1]
	s_cbranch_vccnz .LBB21_2048
; %bb.2040:
	s_cmp_lt_i32 s2, 6
	s_mov_b64 s[0:1], -1
	s_cbranch_scc1 .LBB21_2046
; %bb.2041:
	s_cmp_gt_i32 s2, 6
	s_cbranch_scc0 .LBB21_2043
; %bb.2042:
	v_cvt_f64_f32_e32 v[8:9], v3
	s_mov_b64 s[0:1], 0
	global_store_dwordx2 v[5:6], v[8:9], off
.LBB21_2043:
	s_andn2_b64 vcc, exec, s[0:1]
	s_cbranch_vccnz .LBB21_2045
; %bb.2044:
	global_store_dword v[5:6], v3, off
.LBB21_2045:
	s_mov_b64 s[0:1], 0
.LBB21_2046:
	s_andn2_b64 vcc, exec, s[0:1]
	s_cbranch_vccnz .LBB21_2048
; %bb.2047:
	v_cvt_f16_f32_e32 v4, v3
	global_store_short v[5:6], v4, off
.LBB21_2048:
	s_mov_b64 s[0:1], 0
.LBB21_2049:
	s_andn2_b64 vcc, exec, s[0:1]
	s_cbranch_vccnz .LBB21_2065
; %bb.2050:
	s_cmp_lt_i32 s2, 2
	s_mov_b64 s[0:1], -1
	s_cbranch_scc1 .LBB21_2060
; %bb.2051:
	s_cmp_lt_i32 s2, 3
	s_cbranch_scc1 .LBB21_2057
; %bb.2052:
	s_cmp_gt_i32 s2, 3
	s_cbranch_scc0 .LBB21_2054
; %bb.2053:
	v_trunc_f32_e32 v4, v3
	s_mov_b32 s0, 0x2f800000
	v_mul_f32_e64 v8, |v4|, s0
	v_floor_f32_e32 v8, v8
	s_mov_b32 s0, 0xcf800000
	v_cvt_u32_f32_e32 v9, v8
	v_fma_f32 v8, v8, s0, |v4|
	v_cvt_u32_f32_e32 v8, v8
	v_ashrrev_i32_e32 v4, 31, v4
	v_xor_b32_e32 v9, v9, v4
	s_mov_b64 s[0:1], 0
	v_xor_b32_e32 v8, v8, v4
	v_sub_co_u32_e32 v8, vcc, v8, v4
	v_subb_co_u32_e32 v9, vcc, v9, v4, vcc
	global_store_dwordx2 v[5:6], v[8:9], off
.LBB21_2054:
	s_andn2_b64 vcc, exec, s[0:1]
	s_cbranch_vccnz .LBB21_2056
; %bb.2055:
	v_cvt_i32_f32_e32 v4, v3
	global_store_dword v[5:6], v4, off
.LBB21_2056:
	s_mov_b64 s[0:1], 0
.LBB21_2057:
	s_andn2_b64 vcc, exec, s[0:1]
	s_cbranch_vccnz .LBB21_2059
; %bb.2058:
	v_cvt_i32_f32_e32 v4, v3
	global_store_short v[5:6], v4, off
.LBB21_2059:
	s_mov_b64 s[0:1], 0
.LBB21_2060:
	s_andn2_b64 vcc, exec, s[0:1]
	s_cbranch_vccnz .LBB21_2065
; %bb.2061:
	s_cmp_gt_i32 s2, 0
	s_mov_b64 s[0:1], -1
	s_cbranch_scc0 .LBB21_2063
; %bb.2062:
	v_cvt_i32_f32_e32 v4, v3
	s_mov_b64 s[0:1], 0
	global_store_byte v[5:6], v4, off
.LBB21_2063:
	s_andn2_b64 vcc, exec, s[0:1]
	s_cbranch_vccnz .LBB21_2065
; %bb.2064:
	v_trunc_f32_e32 v3, v3
	s_mov_b32 s0, 0x2f800000
	v_mul_f32_e64 v4, |v3|, s0
	v_floor_f32_e32 v4, v4
	s_mov_b32 s0, 0xcf800000
	v_fma_f32 v4, v4, s0, |v3|
	v_cvt_u32_f32_e32 v4, v4
	v_ashrrev_i32_e32 v3, 31, v3
	v_xor_b32_e32 v4, v4, v3
	v_sub_u32_e32 v3, v4, v3
	global_store_byte v[5:6], v3, off
.LBB21_2065:
	s_mov_b64 s[4:5], -1
.LBB21_2066:
	s_andn2_b64 vcc, exec, s[4:5]
	s_cbranch_vccnz .LBB21_2262
; %bb.2067:
	v_mov_b32_e32 v4, s9
	v_add_co_u32_e32 v3, vcc, s8, v2
	s_cmp_lt_i32 s16, 11
	v_addc_co_u32_e32 v4, vcc, 0, v4, vcc
	s_cbranch_scc1 .LBB21_2145
; %bb.2068:
	s_and_b32 s17, 0xffff, s16
	s_mov_b64 s[10:11], -1
	s_mov_b64 s[2:3], 0
	s_cmp_gt_i32 s17, 25
	s_mov_b64 s[4:5], 0
	s_mov_b64 s[0:1], 0
	s_cbranch_scc0 .LBB21_2101
; %bb.2069:
	s_cmp_gt_i32 s17, 28
	s_cbranch_scc0 .LBB21_2084
; %bb.2070:
	s_cmp_gt_i32 s17, 43
	;; [unrolled: 3-line block ×3, first 2 shown]
	s_cbranch_scc0 .LBB21_2074
; %bb.2072:
	s_mov_b64 s[0:1], -1
	s_mov_b64 s[10:11], 0
	s_cmp_eq_u32 s17, 46
	s_cbranch_scc0 .LBB21_2074
; %bb.2073:
	v_bfe_u32 v2, v1, 16, 1
	s_movk_i32 s0, 0x7fff
	v_add3_u32 v2, v1, v2, s0
	v_cmp_o_f32_e32 vcc, v1, v1
	v_mov_b32_e32 v5, 0x7fc0
	v_cndmask_b32_sdwa v2, v5, v2, vcc dst_sel:DWORD dst_unused:UNUSED_PAD src0_sel:DWORD src1_sel:WORD_1
	global_store_dword v[3:4], v2, off
	s_mov_b64 s[0:1], 0
	s_mov_b64 s[4:5], -1
.LBB21_2074:
	s_and_b64 vcc, exec, s[10:11]
	s_cbranch_vccz .LBB21_2079
; %bb.2075:
	s_cmp_eq_u32 s17, 44
	s_mov_b64 s[0:1], -1
	s_cbranch_scc0 .LBB21_2079
; %bb.2076:
	v_bfe_u32 v2, v1, 23, 8
	s_movk_i32 s0, 0xff
	v_cmp_ne_u32_e32 vcc, s0, v2
	v_mov_b32_e32 v5, 0xff
	s_and_saveexec_b64 s[4:5], vcc
; %bb.2077:
	s_mov_b32 s0, 0x3fffff
	v_and_b32_e32 v6, 0x400000, v1
	v_and_or_b32 v2, v1, s0, v2
	v_cmp_ne_u32_e32 vcc, 0, v6
	v_cmp_ne_u32_e64 s[0:1], 0, v2
	s_and_b64 s[0:1], vcc, s[0:1]
	v_lshrrev_b32_e32 v5, 23, v1
	v_cndmask_b32_e64 v2, 0, 1, s[0:1]
	v_add_u32_e32 v5, v5, v2
; %bb.2078:
	s_or_b64 exec, exec, s[4:5]
	s_mov_b64 s[0:1], 0
	s_mov_b64 s[4:5], -1
	global_store_byte v[3:4], v5, off
.LBB21_2079:
	s_mov_b64 s[10:11], 0
.LBB21_2080:
	s_and_b64 vcc, exec, s[10:11]
	s_cbranch_vccz .LBB21_2083
; %bb.2081:
	s_cmp_eq_u32 s17, 29
	s_mov_b64 s[0:1], -1
	s_cbranch_scc0 .LBB21_2083
; %bb.2082:
	v_trunc_f32_e32 v2, v1
	v_mul_f32_e32 v5, 0x2f800000, v2
	v_floor_f32_e32 v5, v5
	v_fmac_f32_e32 v2, 0xcf800000, v5
	v_cvt_u32_f32_e32 v6, v5
	v_cvt_u32_f32_e32 v5, v2
	s_mov_b64 s[0:1], 0
	s_mov_b64 s[4:5], -1
	global_store_dwordx2 v[3:4], v[5:6], off
.LBB21_2083:
	s_mov_b64 s[10:11], 0
.LBB21_2084:
	s_and_b64 vcc, exec, s[10:11]
	s_cbranch_vccz .LBB21_2100
; %bb.2085:
	s_cmp_lt_i32 s17, 27
	s_mov_b64 s[4:5], -1
	s_cbranch_scc1 .LBB21_2091
; %bb.2086:
	v_cvt_u32_f32_e32 v2, v1
	s_cmp_gt_i32 s17, 27
	s_cbranch_scc0 .LBB21_2088
; %bb.2087:
	s_mov_b64 s[4:5], 0
	global_store_dword v[3:4], v2, off
.LBB21_2088:
	s_andn2_b64 vcc, exec, s[4:5]
	s_cbranch_vccnz .LBB21_2090
; %bb.2089:
	global_store_short v[3:4], v2, off
.LBB21_2090:
	s_mov_b64 s[4:5], 0
.LBB21_2091:
	s_andn2_b64 vcc, exec, s[4:5]
	s_cbranch_vccnz .LBB21_2099
; %bb.2092:
	v_and_b32_e32 v2, 0x7fffffff, v1
	s_mov_b32 s4, 0x43800000
	v_cmp_gt_u32_e32 vcc, s4, v2
	v_mov_b32_e32 v5, 0x80
	s_and_saveexec_b64 s[4:5], vcc
	s_cbranch_execz .LBB21_2098
; %bb.2093:
	s_mov_b32 s10, 0x3bffffff
	v_cmp_lt_u32_e32 vcc, s10, v2
	s_mov_b64 s[10:11], 0
                                        ; implicit-def: $vgpr2
	s_and_saveexec_b64 s[14:15], vcc
	s_xor_b64 s[14:15], exec, s[14:15]
	s_cbranch_execz .LBB21_2275
; %bb.2094:
	v_bfe_u32 v2, v1, 20, 1
	s_mov_b32 s18, 0x487ffff
	v_add3_u32 v2, v1, v2, s18
	s_mov_b64 s[10:11], exec
	v_lshrrev_b32_e32 v2, 20, v2
	s_andn2_saveexec_b64 s[14:15], s[14:15]
	s_cbranch_execnz .LBB21_2276
.LBB21_2095:
	s_or_b64 exec, exec, s[14:15]
	v_mov_b32_e32 v5, 0
	s_and_saveexec_b64 s[14:15], s[10:11]
.LBB21_2096:
	v_lshrrev_b32_e32 v5, 24, v1
	s_movk_i32 s10, 0x80
	v_and_or_b32 v5, v5, s10, v2
.LBB21_2097:
	s_or_b64 exec, exec, s[14:15]
.LBB21_2098:
	s_or_b64 exec, exec, s[4:5]
	global_store_byte v[3:4], v5, off
.LBB21_2099:
	s_mov_b64 s[4:5], -1
.LBB21_2100:
	s_mov_b64 s[10:11], 0
.LBB21_2101:
	s_and_b64 vcc, exec, s[10:11]
	s_cbranch_vccz .LBB21_2141
; %bb.2102:
	s_cmp_gt_i32 s17, 22
	s_mov_b64 s[2:3], -1
	s_cbranch_scc0 .LBB21_2134
; %bb.2103:
	s_cmp_lt_i32 s17, 24
	s_cbranch_scc1 .LBB21_2123
; %bb.2104:
	s_cmp_gt_i32 s17, 24
	s_cbranch_scc0 .LBB21_2112
; %bb.2105:
	v_and_b32_e32 v2, 0x7fffffff, v1
	s_mov_b32 s2, 0x47800000
	v_cmp_gt_u32_e32 vcc, s2, v2
	v_mov_b32_e32 v5, 0x80
	s_and_saveexec_b64 s[2:3], vcc
	s_cbranch_execz .LBB21_2111
; %bb.2106:
	s_mov_b32 s4, 0x37ffffff
	v_cmp_lt_u32_e32 vcc, s4, v2
	s_mov_b64 s[4:5], 0
                                        ; implicit-def: $vgpr2
	s_and_saveexec_b64 s[10:11], vcc
	s_xor_b64 s[10:11], exec, s[10:11]
	s_cbranch_execz .LBB21_2278
; %bb.2107:
	v_bfe_u32 v2, v1, 21, 1
	s_mov_b32 s14, 0x88fffff
	v_add3_u32 v2, v1, v2, s14
	s_mov_b64 s[4:5], exec
	v_lshrrev_b32_e32 v2, 21, v2
	s_andn2_saveexec_b64 s[10:11], s[10:11]
	s_cbranch_execnz .LBB21_2279
.LBB21_2108:
	s_or_b64 exec, exec, s[10:11]
	v_mov_b32_e32 v5, 0
	s_and_saveexec_b64 s[10:11], s[4:5]
.LBB21_2109:
	v_lshrrev_b32_e32 v5, 24, v1
	s_movk_i32 s4, 0x80
	v_and_or_b32 v5, v5, s4, v2
.LBB21_2110:
	s_or_b64 exec, exec, s[10:11]
.LBB21_2111:
	s_or_b64 exec, exec, s[2:3]
	s_mov_b64 s[2:3], 0
	global_store_byte v[3:4], v5, off
.LBB21_2112:
	s_and_b64 vcc, exec, s[2:3]
	s_cbranch_vccz .LBB21_2122
; %bb.2113:
	v_and_b32_e32 v5, 0x7fffffff, v1
	s_mov_b32 s2, 0x43f00000
	v_cmp_gt_u32_e32 vcc, s2, v5
                                        ; implicit-def: $vgpr2
	s_and_saveexec_b64 s[2:3], vcc
	s_xor_b64 s[2:3], exec, s[2:3]
	s_cbranch_execz .LBB21_2119
; %bb.2114:
	s_mov_b32 s4, 0x3c7fffff
	v_cmp_lt_u32_e32 vcc, s4, v5
                                        ; implicit-def: $vgpr2
	s_and_saveexec_b64 s[4:5], vcc
	s_xor_b64 s[4:5], exec, s[4:5]
; %bb.2115:
	v_bfe_u32 v2, v1, 20, 1
	s_mov_b32 s10, 0x407ffff
	v_add3_u32 v2, v1, v2, s10
	v_lshrrev_b32_e32 v5, 20, v2
	v_and_b32_e32 v2, 0xff00000, v2
	s_mov_b32 s10, 0x7f00000
	v_mov_b32_e32 v6, 0x7e
	v_cmp_ne_u32_e32 vcc, s10, v2
	v_cndmask_b32_e32 v2, v6, v5, vcc
; %bb.2116:
	s_andn2_saveexec_b64 s[4:5], s[4:5]
; %bb.2117:
	s_mov_b32 s10, 0x46800000
	v_add_f32_e64 v2, |v1|, s10
; %bb.2118:
	s_or_b64 exec, exec, s[4:5]
                                        ; implicit-def: $vgpr5
.LBB21_2119:
	s_andn2_saveexec_b64 s[2:3], s[2:3]
; %bb.2120:
	s_mov_b32 s4, 0x7f800000
	v_mov_b32_e32 v2, 0x7e
	v_mov_b32_e32 v6, 0x7f
	v_cmp_lt_u32_e32 vcc, s4, v5
	v_cndmask_b32_e32 v2, v2, v6, vcc
; %bb.2121:
	s_or_b64 exec, exec, s[2:3]
	v_lshrrev_b32_e32 v5, 24, v1
	s_movk_i32 s2, 0x80
	v_and_or_b32 v2, v5, s2, v2
	global_store_byte v[3:4], v2, off
.LBB21_2122:
	s_mov_b64 s[2:3], 0
.LBB21_2123:
	s_andn2_b64 vcc, exec, s[2:3]
	s_cbranch_vccnz .LBB21_2133
; %bb.2124:
	v_and_b32_e32 v5, 0x7fffffff, v1
	s_mov_b32 s2, 0x47800000
	v_cmp_gt_u32_e32 vcc, s2, v5
                                        ; implicit-def: $vgpr2
	s_and_saveexec_b64 s[2:3], vcc
	s_xor_b64 s[2:3], exec, s[2:3]
	s_cbranch_execz .LBB21_2130
; %bb.2125:
	s_mov_b32 s4, 0x387fffff
	v_cmp_lt_u32_e32 vcc, s4, v5
                                        ; implicit-def: $vgpr2
	s_and_saveexec_b64 s[4:5], vcc
	s_xor_b64 s[4:5], exec, s[4:5]
; %bb.2126:
	v_bfe_u32 v2, v1, 21, 1
	s_mov_b32 s10, 0x80fffff
	v_add3_u32 v2, v1, v2, s10
	v_lshrrev_b32_e32 v2, 21, v2
; %bb.2127:
	s_andn2_saveexec_b64 s[4:5], s[4:5]
; %bb.2128:
	s_mov_b32 s10, 0x43000000
	v_add_f32_e64 v2, |v1|, s10
; %bb.2129:
	s_or_b64 exec, exec, s[4:5]
                                        ; implicit-def: $vgpr5
.LBB21_2130:
	s_andn2_saveexec_b64 s[2:3], s[2:3]
; %bb.2131:
	s_mov_b32 s4, 0x7f800000
	v_mov_b32_e32 v2, 0x7c
	v_mov_b32_e32 v6, 0x7f
	v_cmp_lt_u32_e32 vcc, s4, v5
	v_cndmask_b32_e32 v2, v2, v6, vcc
; %bb.2132:
	s_or_b64 exec, exec, s[2:3]
	v_lshrrev_b32_e32 v5, 24, v1
	s_movk_i32 s2, 0x80
	v_and_or_b32 v2, v5, s2, v2
	global_store_byte v[3:4], v2, off
.LBB21_2133:
	s_mov_b64 s[2:3], 0
	s_mov_b64 s[4:5], -1
.LBB21_2134:
	s_andn2_b64 vcc, exec, s[2:3]
	s_mov_b64 s[2:3], 0
	s_cbranch_vccnz .LBB21_2141
; %bb.2135:
	s_cmp_gt_i32 s17, 14
	s_mov_b64 s[10:11], -1
	s_cbranch_scc0 .LBB21_2139
; %bb.2136:
	s_cmp_eq_u32 s17, 15
	s_mov_b64 s[0:1], -1
	s_cbranch_scc0 .LBB21_2138
; %bb.2137:
	v_bfe_u32 v2, v1, 16, 1
	s_movk_i32 s0, 0x7fff
	v_add3_u32 v2, v1, v2, s0
	v_cmp_o_f32_e32 vcc, v1, v1
	v_mov_b32_e32 v5, 0x7fc0
	v_cndmask_b32_sdwa v2, v5, v2, vcc dst_sel:DWORD dst_unused:UNUSED_PAD src0_sel:DWORD src1_sel:WORD_1
	global_store_short v[3:4], v2, off
	s_mov_b64 s[0:1], 0
	s_mov_b64 s[4:5], -1
.LBB21_2138:
	s_mov_b64 s[10:11], 0
.LBB21_2139:
	s_and_b64 vcc, exec, s[10:11]
	s_cbranch_vccz .LBB21_2141
; %bb.2140:
	s_cmp_lg_u32 s17, 11
	s_mov_b64 s[2:3], -1
	s_cselect_b64 s[0:1], -1, 0
.LBB21_2141:
	s_and_b64 vcc, exec, s[0:1]
	s_cbranch_vccnz .LBB21_2277
; %bb.2142:
	s_andn2_b64 vcc, exec, s[2:3]
	s_cbranch_vccnz .LBB21_2144
.LBB21_2143:
	v_cmp_neq_f32_e32 vcc, 0, v1
	v_cndmask_b32_e64 v2, 0, 1, vcc
	s_mov_b64 s[4:5], -1
	global_store_byte v[3:4], v2, off
.LBB21_2144:
	s_mov_b64 s[0:1], 0
	s_branch .LBB21_2146
.LBB21_2145:
	s_mov_b64 s[0:1], -1
	s_mov_b64 s[4:5], 0
.LBB21_2146:
	s_and_b64 vcc, exec, s[0:1]
	s_cbranch_vccz .LBB21_2185
; %bb.2147:
	s_and_b32 s2, 0xffff, s16
	s_cmp_lt_i32 s2, 5
	s_mov_b64 s[0:1], -1
	s_cbranch_scc1 .LBB21_2168
; %bb.2148:
	s_cmp_lt_i32 s2, 8
	s_cbranch_scc1 .LBB21_2158
; %bb.2149:
	s_cmp_lt_i32 s2, 9
	s_cbranch_scc1 .LBB21_2155
; %bb.2150:
	s_cmp_gt_i32 s2, 9
	s_cbranch_scc0 .LBB21_2152
; %bb.2151:
	v_cvt_f64_f32_e32 v[8:9], v1
	v_mov_b32_e32 v10, 0
	v_mov_b32_e32 v11, v10
	s_mov_b64 s[0:1], 0
	global_store_dwordx4 v[3:4], v[8:11], off
.LBB21_2152:
	s_andn2_b64 vcc, exec, s[0:1]
	s_cbranch_vccnz .LBB21_2154
; %bb.2153:
	v_mov_b32_e32 v2, 0
	global_store_dwordx2 v[3:4], v[1:2], off
.LBB21_2154:
	s_mov_b64 s[0:1], 0
.LBB21_2155:
	s_andn2_b64 vcc, exec, s[0:1]
	s_cbranch_vccnz .LBB21_2157
; %bb.2156:
	v_cvt_f16_f32_e32 v2, v1
	global_store_dword v[3:4], v2, off
.LBB21_2157:
	s_mov_b64 s[0:1], 0
.LBB21_2158:
	s_andn2_b64 vcc, exec, s[0:1]
	s_cbranch_vccnz .LBB21_2167
; %bb.2159:
	s_cmp_lt_i32 s2, 6
	s_mov_b64 s[0:1], -1
	s_cbranch_scc1 .LBB21_2165
; %bb.2160:
	s_cmp_gt_i32 s2, 6
	s_cbranch_scc0 .LBB21_2162
; %bb.2161:
	v_cvt_f64_f32_e32 v[5:6], v1
	s_mov_b64 s[0:1], 0
	global_store_dwordx2 v[3:4], v[5:6], off
.LBB21_2162:
	s_andn2_b64 vcc, exec, s[0:1]
	s_cbranch_vccnz .LBB21_2164
; %bb.2163:
	global_store_dword v[3:4], v1, off
.LBB21_2164:
	s_mov_b64 s[0:1], 0
.LBB21_2165:
	s_andn2_b64 vcc, exec, s[0:1]
	s_cbranch_vccnz .LBB21_2167
; %bb.2166:
	v_cvt_f16_f32_e32 v2, v1
	global_store_short v[3:4], v2, off
.LBB21_2167:
	s_mov_b64 s[0:1], 0
.LBB21_2168:
	s_andn2_b64 vcc, exec, s[0:1]
	s_cbranch_vccnz .LBB21_2184
; %bb.2169:
	s_cmp_lt_i32 s2, 2
	s_mov_b64 s[0:1], -1
	s_cbranch_scc1 .LBB21_2179
; %bb.2170:
	s_cmp_lt_i32 s2, 3
	s_cbranch_scc1 .LBB21_2176
; %bb.2171:
	s_cmp_gt_i32 s2, 3
	s_cbranch_scc0 .LBB21_2173
; %bb.2172:
	v_trunc_f32_e32 v2, v1
	s_mov_b32 s0, 0x2f800000
	v_mul_f32_e64 v5, |v2|, s0
	v_floor_f32_e32 v5, v5
	s_mov_b32 s0, 0xcf800000
	v_cvt_u32_f32_e32 v6, v5
	v_fma_f32 v5, v5, s0, |v2|
	v_cvt_u32_f32_e32 v5, v5
	v_ashrrev_i32_e32 v2, 31, v2
	v_xor_b32_e32 v6, v6, v2
	s_mov_b64 s[0:1], 0
	v_xor_b32_e32 v5, v5, v2
	v_sub_co_u32_e32 v5, vcc, v5, v2
	v_subb_co_u32_e32 v6, vcc, v6, v2, vcc
	global_store_dwordx2 v[3:4], v[5:6], off
.LBB21_2173:
	s_andn2_b64 vcc, exec, s[0:1]
	s_cbranch_vccnz .LBB21_2175
; %bb.2174:
	v_cvt_i32_f32_e32 v2, v1
	global_store_dword v[3:4], v2, off
.LBB21_2175:
	s_mov_b64 s[0:1], 0
.LBB21_2176:
	s_andn2_b64 vcc, exec, s[0:1]
	s_cbranch_vccnz .LBB21_2178
; %bb.2177:
	v_cvt_i32_f32_e32 v2, v1
	global_store_short v[3:4], v2, off
.LBB21_2178:
	s_mov_b64 s[0:1], 0
.LBB21_2179:
	s_andn2_b64 vcc, exec, s[0:1]
	s_cbranch_vccnz .LBB21_2184
; %bb.2180:
	s_cmp_gt_i32 s2, 0
	s_mov_b64 s[0:1], -1
	s_cbranch_scc0 .LBB21_2182
; %bb.2181:
	v_cvt_i32_f32_e32 v2, v1
	s_mov_b64 s[0:1], 0
	global_store_byte v[3:4], v2, off
.LBB21_2182:
	s_andn2_b64 vcc, exec, s[0:1]
	s_cbranch_vccnz .LBB21_2184
; %bb.2183:
	v_trunc_f32_e32 v1, v1
	s_mov_b32 s0, 0x2f800000
	v_mul_f32_e64 v2, |v1|, s0
	v_floor_f32_e32 v2, v2
	s_mov_b32 s0, 0xcf800000
	v_fma_f32 v2, v2, s0, |v1|
	v_cvt_u32_f32_e32 v2, v2
	v_ashrrev_i32_e32 v1, 31, v1
	v_xor_b32_e32 v2, v2, v1
	v_sub_u32_e32 v1, v2, v1
	global_store_byte v[3:4], v1, off
.LBB21_2184:
	s_mov_b64 s[4:5], -1
.LBB21_2185:
	s_andn2_b64 vcc, exec, s[4:5]
	s_cbranch_vccnz .LBB21_2262
; %bb.2186:
	v_mov_b32_e32 v1, s9
	v_add_co_u32_e32 v0, vcc, s8, v0
	s_cmp_lt_i32 s16, 11
	v_addc_co_u32_e32 v1, vcc, 0, v1, vcc
	s_cbranch_scc1 .LBB21_2263
; %bb.2187:
	s_and_b32 s14, 0xffff, s16
	s_mov_b64 s[4:5], -1
	s_mov_b64 s[2:3], 0
	s_cmp_gt_i32 s14, 25
	s_mov_b64 s[0:1], 0
	s_cbranch_scc0 .LBB21_2220
; %bb.2188:
	s_cmp_gt_i32 s14, 28
	s_cbranch_scc0 .LBB21_2204
; %bb.2189:
	s_cmp_gt_i32 s14, 43
	;; [unrolled: 3-line block ×3, first 2 shown]
	s_cbranch_scc0 .LBB21_2194
; %bb.2191:
	s_cmp_eq_u32 s14, 46
	s_mov_b64 s[0:1], -1
	s_cbranch_scc0 .LBB21_2193
; %bb.2192:
	v_bfe_u32 v2, v7, 16, 1
	s_movk_i32 s0, 0x7fff
	v_add3_u32 v2, v7, v2, s0
	v_cmp_o_f32_e32 vcc, v7, v7
	v_mov_b32_e32 v3, 0x7fc0
	v_cndmask_b32_sdwa v2, v3, v2, vcc dst_sel:DWORD dst_unused:UNUSED_PAD src0_sel:DWORD src1_sel:WORD_1
	global_store_dword v[0:1], v2, off
	s_mov_b64 s[0:1], 0
.LBB21_2193:
	s_mov_b64 s[4:5], 0
.LBB21_2194:
	s_and_b64 vcc, exec, s[4:5]
	s_cbranch_vccz .LBB21_2199
; %bb.2195:
	s_cmp_eq_u32 s14, 44
	s_mov_b64 s[0:1], -1
	s_cbranch_scc0 .LBB21_2199
; %bb.2196:
	v_bfe_u32 v2, v7, 23, 8
	s_movk_i32 s0, 0xff
	v_cmp_ne_u32_e32 vcc, s0, v2
	v_mov_b32_e32 v3, 0xff
	s_and_saveexec_b64 s[4:5], vcc
; %bb.2197:
	s_mov_b32 s0, 0x3fffff
	v_and_b32_e32 v4, 0x400000, v7
	v_and_or_b32 v2, v7, s0, v2
	v_cmp_ne_u32_e32 vcc, 0, v4
	v_cmp_ne_u32_e64 s[0:1], 0, v2
	s_and_b64 s[0:1], vcc, s[0:1]
	v_lshrrev_b32_e32 v3, 23, v7
	v_cndmask_b32_e64 v2, 0, 1, s[0:1]
	v_add_u32_e32 v3, v3, v2
; %bb.2198:
	s_or_b64 exec, exec, s[4:5]
	s_mov_b64 s[0:1], 0
	global_store_byte v[0:1], v3, off
.LBB21_2199:
	s_mov_b64 s[4:5], 0
.LBB21_2200:
	s_and_b64 vcc, exec, s[4:5]
	s_cbranch_vccz .LBB21_2203
; %bb.2201:
	s_cmp_eq_u32 s14, 29
	s_mov_b64 s[0:1], -1
	s_cbranch_scc0 .LBB21_2203
; %bb.2202:
	v_trunc_f32_e32 v2, v7
	v_mul_f32_e32 v3, 0x2f800000, v2
	v_floor_f32_e32 v4, v3
	v_fmac_f32_e32 v2, 0xcf800000, v4
	v_cvt_u32_f32_e32 v3, v4
	v_cvt_u32_f32_e32 v2, v2
	s_mov_b64 s[0:1], 0
	global_store_dwordx2 v[0:1], v[2:3], off
.LBB21_2203:
	s_mov_b64 s[4:5], 0
.LBB21_2204:
	s_and_b64 vcc, exec, s[4:5]
	s_cbranch_vccz .LBB21_2219
; %bb.2205:
	s_cmp_lt_i32 s14, 27
	s_mov_b64 s[4:5], -1
	s_cbranch_scc1 .LBB21_2211
; %bb.2206:
	s_cmp_gt_i32 s14, 27
	s_cbranch_scc0 .LBB21_2208
; %bb.2207:
	v_cvt_u32_f32_e32 v2, v7
	s_mov_b64 s[4:5], 0
	global_store_dword v[0:1], v2, off
.LBB21_2208:
	s_andn2_b64 vcc, exec, s[4:5]
	s_cbranch_vccnz .LBB21_2210
; %bb.2209:
	v_cvt_u32_f32_e32 v2, v7
	global_store_short v[0:1], v2, off
.LBB21_2210:
	s_mov_b64 s[4:5], 0
.LBB21_2211:
	s_andn2_b64 vcc, exec, s[4:5]
	s_cbranch_vccnz .LBB21_2219
; %bb.2212:
	v_and_b32_e32 v2, 0x7fffffff, v7
	s_mov_b32 s4, 0x43800000
	v_cmp_gt_u32_e32 vcc, s4, v2
	v_mov_b32_e32 v3, 0x80
	s_and_saveexec_b64 s[4:5], vcc
	s_cbranch_execz .LBB21_2218
; %bb.2213:
	s_mov_b32 s8, 0x3bffffff
	v_cmp_lt_u32_e32 vcc, s8, v2
	s_mov_b64 s[8:9], 0
                                        ; implicit-def: $vgpr2
	s_and_saveexec_b64 s[10:11], vcc
	s_xor_b64 s[10:11], exec, s[10:11]
	s_cbranch_execz .LBB21_2280
; %bb.2214:
	v_bfe_u32 v2, v7, 20, 1
	s_mov_b32 s15, 0x487ffff
	v_add3_u32 v2, v7, v2, s15
	s_mov_b64 s[8:9], exec
	v_lshrrev_b32_e32 v2, 20, v2
	s_andn2_saveexec_b64 s[10:11], s[10:11]
	s_cbranch_execnz .LBB21_2281
.LBB21_2215:
	s_or_b64 exec, exec, s[10:11]
	v_mov_b32_e32 v3, 0
	s_and_saveexec_b64 s[10:11], s[8:9]
.LBB21_2216:
	v_lshrrev_b32_e32 v3, 24, v7
	s_movk_i32 s8, 0x80
	v_and_or_b32 v3, v3, s8, v2
.LBB21_2217:
	s_or_b64 exec, exec, s[10:11]
.LBB21_2218:
	s_or_b64 exec, exec, s[4:5]
	global_store_byte v[0:1], v3, off
.LBB21_2219:
	s_mov_b64 s[4:5], 0
.LBB21_2220:
	s_and_b64 vcc, exec, s[4:5]
	s_cbranch_vccz .LBB21_2260
; %bb.2221:
	s_cmp_gt_i32 s14, 22
	s_mov_b64 s[2:3], -1
	s_cbranch_scc0 .LBB21_2253
; %bb.2222:
	s_cmp_lt_i32 s14, 24
	s_cbranch_scc1 .LBB21_2242
; %bb.2223:
	s_cmp_gt_i32 s14, 24
	s_cbranch_scc0 .LBB21_2231
; %bb.2224:
	v_and_b32_e32 v2, 0x7fffffff, v7
	s_mov_b32 s2, 0x47800000
	v_cmp_gt_u32_e32 vcc, s2, v2
	v_mov_b32_e32 v3, 0x80
	s_and_saveexec_b64 s[2:3], vcc
	s_cbranch_execz .LBB21_2230
; %bb.2225:
	s_mov_b32 s4, 0x37ffffff
	v_cmp_lt_u32_e32 vcc, s4, v2
	s_mov_b64 s[4:5], 0
                                        ; implicit-def: $vgpr2
	s_and_saveexec_b64 s[8:9], vcc
	s_xor_b64 s[8:9], exec, s[8:9]
	s_cbranch_execz .LBB21_2283
; %bb.2226:
	v_bfe_u32 v2, v7, 21, 1
	s_mov_b32 s10, 0x88fffff
	v_add3_u32 v2, v7, v2, s10
	s_mov_b64 s[4:5], exec
	v_lshrrev_b32_e32 v2, 21, v2
	s_andn2_saveexec_b64 s[8:9], s[8:9]
	s_cbranch_execnz .LBB21_2284
.LBB21_2227:
	s_or_b64 exec, exec, s[8:9]
	v_mov_b32_e32 v3, 0
	s_and_saveexec_b64 s[8:9], s[4:5]
.LBB21_2228:
	v_lshrrev_b32_e32 v3, 24, v7
	s_movk_i32 s4, 0x80
	v_and_or_b32 v3, v3, s4, v2
.LBB21_2229:
	s_or_b64 exec, exec, s[8:9]
.LBB21_2230:
	s_or_b64 exec, exec, s[2:3]
	s_mov_b64 s[2:3], 0
	global_store_byte v[0:1], v3, off
.LBB21_2231:
	s_and_b64 vcc, exec, s[2:3]
	s_cbranch_vccz .LBB21_2241
; %bb.2232:
	v_and_b32_e32 v3, 0x7fffffff, v7
	s_mov_b32 s2, 0x43f00000
	v_cmp_gt_u32_e32 vcc, s2, v3
                                        ; implicit-def: $vgpr2
	s_and_saveexec_b64 s[2:3], vcc
	s_xor_b64 s[2:3], exec, s[2:3]
	s_cbranch_execz .LBB21_2238
; %bb.2233:
	s_mov_b32 s4, 0x3c7fffff
	v_cmp_lt_u32_e32 vcc, s4, v3
                                        ; implicit-def: $vgpr2
	s_and_saveexec_b64 s[4:5], vcc
	s_xor_b64 s[4:5], exec, s[4:5]
; %bb.2234:
	v_bfe_u32 v2, v7, 20, 1
	s_mov_b32 s8, 0x407ffff
	v_add3_u32 v2, v7, v2, s8
	v_lshrrev_b32_e32 v3, 20, v2
	v_and_b32_e32 v2, 0xff00000, v2
	s_mov_b32 s8, 0x7f00000
	v_mov_b32_e32 v4, 0x7e
	v_cmp_ne_u32_e32 vcc, s8, v2
	v_cndmask_b32_e32 v2, v4, v3, vcc
; %bb.2235:
	s_andn2_saveexec_b64 s[4:5], s[4:5]
; %bb.2236:
	s_mov_b32 s8, 0x46800000
	v_add_f32_e64 v2, |v7|, s8
; %bb.2237:
	s_or_b64 exec, exec, s[4:5]
                                        ; implicit-def: $vgpr3
.LBB21_2238:
	s_andn2_saveexec_b64 s[2:3], s[2:3]
; %bb.2239:
	s_mov_b32 s4, 0x7f800000
	v_mov_b32_e32 v2, 0x7e
	v_mov_b32_e32 v4, 0x7f
	v_cmp_lt_u32_e32 vcc, s4, v3
	v_cndmask_b32_e32 v2, v2, v4, vcc
; %bb.2240:
	s_or_b64 exec, exec, s[2:3]
	v_lshrrev_b32_e32 v3, 24, v7
	s_movk_i32 s2, 0x80
	v_and_or_b32 v2, v3, s2, v2
	global_store_byte v[0:1], v2, off
.LBB21_2241:
	s_mov_b64 s[2:3], 0
.LBB21_2242:
	s_andn2_b64 vcc, exec, s[2:3]
	s_cbranch_vccnz .LBB21_2252
; %bb.2243:
	v_and_b32_e32 v3, 0x7fffffff, v7
	s_mov_b32 s2, 0x47800000
	v_cmp_gt_u32_e32 vcc, s2, v3
                                        ; implicit-def: $vgpr2
	s_and_saveexec_b64 s[2:3], vcc
	s_xor_b64 s[2:3], exec, s[2:3]
	s_cbranch_execz .LBB21_2249
; %bb.2244:
	s_mov_b32 s4, 0x387fffff
	v_cmp_lt_u32_e32 vcc, s4, v3
                                        ; implicit-def: $vgpr2
	s_and_saveexec_b64 s[4:5], vcc
	s_xor_b64 s[4:5], exec, s[4:5]
; %bb.2245:
	v_bfe_u32 v2, v7, 21, 1
	s_mov_b32 s8, 0x80fffff
	v_add3_u32 v2, v7, v2, s8
	v_lshrrev_b32_e32 v2, 21, v2
; %bb.2246:
	s_andn2_saveexec_b64 s[4:5], s[4:5]
; %bb.2247:
	s_mov_b32 s8, 0x43000000
	v_add_f32_e64 v2, |v7|, s8
; %bb.2248:
	s_or_b64 exec, exec, s[4:5]
                                        ; implicit-def: $vgpr3
.LBB21_2249:
	s_andn2_saveexec_b64 s[2:3], s[2:3]
; %bb.2250:
	s_mov_b32 s4, 0x7f800000
	v_mov_b32_e32 v2, 0x7c
	v_mov_b32_e32 v4, 0x7f
	v_cmp_lt_u32_e32 vcc, s4, v3
	v_cndmask_b32_e32 v2, v2, v4, vcc
; %bb.2251:
	s_or_b64 exec, exec, s[2:3]
	v_lshrrev_b32_e32 v3, 24, v7
	s_movk_i32 s2, 0x80
	v_and_or_b32 v2, v3, s2, v2
	global_store_byte v[0:1], v2, off
.LBB21_2252:
	s_mov_b64 s[2:3], 0
.LBB21_2253:
	s_andn2_b64 vcc, exec, s[2:3]
	s_mov_b64 s[2:3], 0
	s_cbranch_vccnz .LBB21_2260
; %bb.2254:
	s_cmp_gt_i32 s14, 14
	s_mov_b64 s[4:5], -1
	s_cbranch_scc0 .LBB21_2258
; %bb.2255:
	s_cmp_eq_u32 s14, 15
	s_mov_b64 s[0:1], -1
	s_cbranch_scc0 .LBB21_2257
; %bb.2256:
	v_bfe_u32 v2, v7, 16, 1
	s_movk_i32 s0, 0x7fff
	v_add3_u32 v2, v7, v2, s0
	v_cmp_o_f32_e32 vcc, v7, v7
	v_mov_b32_e32 v3, 0x7fc0
	v_cndmask_b32_sdwa v2, v3, v2, vcc dst_sel:DWORD dst_unused:UNUSED_PAD src0_sel:DWORD src1_sel:WORD_1
	global_store_short v[0:1], v2, off
	s_mov_b64 s[0:1], 0
.LBB21_2257:
	s_mov_b64 s[4:5], 0
.LBB21_2258:
	s_and_b64 vcc, exec, s[4:5]
	s_cbranch_vccz .LBB21_2260
; %bb.2259:
	s_cmp_lg_u32 s14, 11
	s_mov_b64 s[2:3], -1
	s_cselect_b64 s[0:1], -1, 0
.LBB21_2260:
	s_and_b64 vcc, exec, s[0:1]
	s_cbranch_vccnz .LBB21_2282
.LBB21_2261:
	s_mov_b64 s[0:1], 0
	s_branch .LBB21_1778
.LBB21_2262:
	s_mov_b64 s[0:1], 0
                                        ; implicit-def: $vgpr0_vgpr1
                                        ; implicit-def: $sgpr16
	s_branch .LBB21_1777
.LBB21_2263:
	s_mov_b64 s[2:3], 0
	s_mov_b64 s[0:1], -1
	s_branch .LBB21_1778
.LBB21_2264:
	s_trap 2
	s_or_b64 s[12:13], s[12:13], exec
	s_cbranch_execz .LBB21_1715
	s_branch .LBB21_1716
.LBB21_2265:
	s_andn2_saveexec_b64 s[14:15], s[14:15]
	s_cbranch_execz .LBB21_1857
.LBB21_2266:
	s_mov_b32 s18, 0x46000000
	v_add_f32_e64 v6, |v5|, s18
	v_and_b32_e32 v6, 0xff, v6
	v_cmp_ne_u32_e32 vcc, 0, v6
	s_andn2_b64 s[10:11], s[10:11], exec
	s_and_b64 s[18:19], vcc, exec
	s_or_b64 s[10:11], s[10:11], s[18:19]
	s_or_b64 exec, exec, s[14:15]
	v_mov_b32_e32 v10, 0
	s_and_saveexec_b64 s[14:15], s[10:11]
	s_cbranch_execnz .LBB21_1858
	s_branch .LBB21_1859
.LBB21_2267:
	s_trap 2
	s_or_b64 s[12:13], s[12:13], exec
	s_cbranch_execz .LBB21_1905
	s_branch .LBB21_1906
.LBB21_2268:
	s_andn2_saveexec_b64 s[10:11], s[10:11]
	s_cbranch_execz .LBB21_1870
.LBB21_2269:
	s_mov_b32 s14, 0x42800000
	v_add_f32_e64 v6, |v5|, s14
	v_and_b32_e32 v6, 0xff, v6
	v_cmp_ne_u32_e32 vcc, 0, v6
	s_andn2_b64 s[4:5], s[4:5], exec
	s_and_b64 s[14:15], vcc, exec
	s_or_b64 s[4:5], s[4:5], s[14:15]
	s_or_b64 exec, exec, s[10:11]
	v_mov_b32_e32 v10, 0
	s_and_saveexec_b64 s[10:11], s[4:5]
	s_cbranch_execnz .LBB21_1871
	s_branch .LBB21_1872
.LBB21_2270:
	s_andn2_saveexec_b64 s[14:15], s[14:15]
	s_cbranch_execz .LBB21_1976
.LBB21_2271:
	s_mov_b32 s18, 0x46000000
	v_add_f32_e64 v4, |v3|, s18
	v_and_b32_e32 v4, 0xff, v4
	v_cmp_ne_u32_e32 vcc, 0, v4
	s_andn2_b64 s[10:11], s[10:11], exec
	s_and_b64 s[18:19], vcc, exec
	s_or_b64 s[10:11], s[10:11], s[18:19]
	s_or_b64 exec, exec, s[14:15]
	v_mov_b32_e32 v8, 0
	s_and_saveexec_b64 s[14:15], s[10:11]
	s_cbranch_execnz .LBB21_1977
	s_branch .LBB21_1978
.LBB21_2272:
	s_trap 2
	s_or_b64 s[12:13], s[12:13], exec
	s_cbranch_execz .LBB21_2024
	s_branch .LBB21_2025
.LBB21_2273:
	s_andn2_saveexec_b64 s[10:11], s[10:11]
	s_cbranch_execz .LBB21_1989
.LBB21_2274:
	s_mov_b32 s14, 0x42800000
	v_add_f32_e64 v4, |v3|, s14
	v_and_b32_e32 v4, 0xff, v4
	v_cmp_ne_u32_e32 vcc, 0, v4
	s_andn2_b64 s[4:5], s[4:5], exec
	s_and_b64 s[14:15], vcc, exec
	s_or_b64 s[4:5], s[4:5], s[14:15]
	s_or_b64 exec, exec, s[10:11]
	v_mov_b32_e32 v8, 0
	s_and_saveexec_b64 s[10:11], s[4:5]
	s_cbranch_execnz .LBB21_1990
	s_branch .LBB21_1991
.LBB21_2275:
	s_andn2_saveexec_b64 s[14:15], s[14:15]
	s_cbranch_execz .LBB21_2095
.LBB21_2276:
	s_mov_b32 s18, 0x46000000
	v_add_f32_e64 v2, |v1|, s18
	v_and_b32_e32 v2, 0xff, v2
	v_cmp_ne_u32_e32 vcc, 0, v2
	s_andn2_b64 s[10:11], s[10:11], exec
	s_and_b64 s[18:19], vcc, exec
	s_or_b64 s[10:11], s[10:11], s[18:19]
	s_or_b64 exec, exec, s[14:15]
	v_mov_b32_e32 v5, 0
	s_and_saveexec_b64 s[14:15], s[10:11]
	s_cbranch_execnz .LBB21_2096
	s_branch .LBB21_2097
.LBB21_2277:
	s_trap 2
	s_or_b64 s[12:13], s[12:13], exec
	s_cbranch_execz .LBB21_2143
	s_branch .LBB21_2144
.LBB21_2278:
	s_andn2_saveexec_b64 s[10:11], s[10:11]
	s_cbranch_execz .LBB21_2108
.LBB21_2279:
	s_mov_b32 s14, 0x42800000
	v_add_f32_e64 v2, |v1|, s14
	v_and_b32_e32 v2, 0xff, v2
	v_cmp_ne_u32_e32 vcc, 0, v2
	s_andn2_b64 s[4:5], s[4:5], exec
	s_and_b64 s[14:15], vcc, exec
	s_or_b64 s[4:5], s[4:5], s[14:15]
	s_or_b64 exec, exec, s[10:11]
	v_mov_b32_e32 v5, 0
	s_and_saveexec_b64 s[10:11], s[4:5]
	s_cbranch_execnz .LBB21_2109
	s_branch .LBB21_2110
.LBB21_2280:
	s_andn2_saveexec_b64 s[10:11], s[10:11]
	s_cbranch_execz .LBB21_2215
.LBB21_2281:
	s_mov_b32 s15, 0x46000000
	v_add_f32_e64 v2, |v7|, s15
	v_and_b32_e32 v2, 0xff, v2
	v_cmp_ne_u32_e32 vcc, 0, v2
	s_andn2_b64 s[8:9], s[8:9], exec
	s_and_b64 s[18:19], vcc, exec
	s_or_b64 s[8:9], s[8:9], s[18:19]
	s_or_b64 exec, exec, s[10:11]
	v_mov_b32_e32 v3, 0
	s_and_saveexec_b64 s[10:11], s[8:9]
	s_cbranch_execnz .LBB21_2216
	s_branch .LBB21_2217
.LBB21_2282:
	s_mov_b64 s[2:3], 0
	s_or_b64 s[12:13], s[12:13], exec
	s_trap 2
	s_branch .LBB21_2261
.LBB21_2283:
	s_andn2_saveexec_b64 s[8:9], s[8:9]
	s_cbranch_execz .LBB21_2227
.LBB21_2284:
	s_mov_b32 s10, 0x42800000
	v_add_f32_e64 v2, |v7|, s10
	v_and_b32_e32 v2, 0xff, v2
	v_cmp_ne_u32_e32 vcc, 0, v2
	s_andn2_b64 s[4:5], s[4:5], exec
	s_and_b64 s[10:11], vcc, exec
	s_or_b64 s[4:5], s[4:5], s[10:11]
	s_or_b64 exec, exec, s[8:9]
	v_mov_b32_e32 v3, 0
	s_and_saveexec_b64 s[8:9], s[4:5]
	s_cbranch_execnz .LBB21_2228
	s_branch .LBB21_2229
	.section	.rodata,"a",@progbits
	.p2align	6, 0x0
	.amdhsa_kernel _ZN2at6native32elementwise_kernel_manual_unrollILi128ELi4EZNS0_15gpu_kernel_implIZZZNS0_12_GLOBAL__N_121bessel_j0_kernel_cudaERNS_18TensorIteratorBaseEENKUlvE_clEvENKUlvE0_clEvEUlfE_EEvS5_RKT_EUlibE0_EEviT1_
		.amdhsa_group_segment_fixed_size 0
		.amdhsa_private_segment_fixed_size 0
		.amdhsa_kernarg_size 360
		.amdhsa_user_sgpr_count 6
		.amdhsa_user_sgpr_private_segment_buffer 1
		.amdhsa_user_sgpr_dispatch_ptr 0
		.amdhsa_user_sgpr_queue_ptr 0
		.amdhsa_user_sgpr_kernarg_segment_ptr 1
		.amdhsa_user_sgpr_dispatch_id 0
		.amdhsa_user_sgpr_flat_scratch_init 0
		.amdhsa_user_sgpr_private_segment_size 0
		.amdhsa_uses_dynamic_stack 0
		.amdhsa_system_sgpr_private_segment_wavefront_offset 0
		.amdhsa_system_sgpr_workgroup_id_x 1
		.amdhsa_system_sgpr_workgroup_id_y 0
		.amdhsa_system_sgpr_workgroup_id_z 0
		.amdhsa_system_sgpr_workgroup_info 0
		.amdhsa_system_vgpr_workitem_id 0
		.amdhsa_next_free_vgpr 42
		.amdhsa_next_free_sgpr 78
		.amdhsa_reserve_vcc 1
		.amdhsa_reserve_flat_scratch 0
		.amdhsa_float_round_mode_32 0
		.amdhsa_float_round_mode_16_64 0
		.amdhsa_float_denorm_mode_32 3
		.amdhsa_float_denorm_mode_16_64 3
		.amdhsa_dx10_clamp 1
		.amdhsa_ieee_mode 1
		.amdhsa_fp16_overflow 0
		.amdhsa_exception_fp_ieee_invalid_op 0
		.amdhsa_exception_fp_denorm_src 0
		.amdhsa_exception_fp_ieee_div_zero 0
		.amdhsa_exception_fp_ieee_overflow 0
		.amdhsa_exception_fp_ieee_underflow 0
		.amdhsa_exception_fp_ieee_inexact 0
		.amdhsa_exception_int_div_zero 0
	.end_amdhsa_kernel
	.section	.text._ZN2at6native32elementwise_kernel_manual_unrollILi128ELi4EZNS0_15gpu_kernel_implIZZZNS0_12_GLOBAL__N_121bessel_j0_kernel_cudaERNS_18TensorIteratorBaseEENKUlvE_clEvENKUlvE0_clEvEUlfE_EEvS5_RKT_EUlibE0_EEviT1_,"axG",@progbits,_ZN2at6native32elementwise_kernel_manual_unrollILi128ELi4EZNS0_15gpu_kernel_implIZZZNS0_12_GLOBAL__N_121bessel_j0_kernel_cudaERNS_18TensorIteratorBaseEENKUlvE_clEvENKUlvE0_clEvEUlfE_EEvS5_RKT_EUlibE0_EEviT1_,comdat
.Lfunc_end21:
	.size	_ZN2at6native32elementwise_kernel_manual_unrollILi128ELi4EZNS0_15gpu_kernel_implIZZZNS0_12_GLOBAL__N_121bessel_j0_kernel_cudaERNS_18TensorIteratorBaseEENKUlvE_clEvENKUlvE0_clEvEUlfE_EEvS5_RKT_EUlibE0_EEviT1_, .Lfunc_end21-_ZN2at6native32elementwise_kernel_manual_unrollILi128ELi4EZNS0_15gpu_kernel_implIZZZNS0_12_GLOBAL__N_121bessel_j0_kernel_cudaERNS_18TensorIteratorBaseEENKUlvE_clEvENKUlvE0_clEvEUlfE_EEvS5_RKT_EUlibE0_EEviT1_
                                        ; -- End function
	.set _ZN2at6native32elementwise_kernel_manual_unrollILi128ELi4EZNS0_15gpu_kernel_implIZZZNS0_12_GLOBAL__N_121bessel_j0_kernel_cudaERNS_18TensorIteratorBaseEENKUlvE_clEvENKUlvE0_clEvEUlfE_EEvS5_RKT_EUlibE0_EEviT1_.num_vgpr, 42
	.set _ZN2at6native32elementwise_kernel_manual_unrollILi128ELi4EZNS0_15gpu_kernel_implIZZZNS0_12_GLOBAL__N_121bessel_j0_kernel_cudaERNS_18TensorIteratorBaseEENKUlvE_clEvENKUlvE0_clEvEUlfE_EEvS5_RKT_EUlibE0_EEviT1_.num_agpr, 0
	.set _ZN2at6native32elementwise_kernel_manual_unrollILi128ELi4EZNS0_15gpu_kernel_implIZZZNS0_12_GLOBAL__N_121bessel_j0_kernel_cudaERNS_18TensorIteratorBaseEENKUlvE_clEvENKUlvE0_clEvEUlfE_EEvS5_RKT_EUlibE0_EEviT1_.numbered_sgpr, 78
	.set _ZN2at6native32elementwise_kernel_manual_unrollILi128ELi4EZNS0_15gpu_kernel_implIZZZNS0_12_GLOBAL__N_121bessel_j0_kernel_cudaERNS_18TensorIteratorBaseEENKUlvE_clEvENKUlvE0_clEvEUlfE_EEvS5_RKT_EUlibE0_EEviT1_.num_named_barrier, 0
	.set _ZN2at6native32elementwise_kernel_manual_unrollILi128ELi4EZNS0_15gpu_kernel_implIZZZNS0_12_GLOBAL__N_121bessel_j0_kernel_cudaERNS_18TensorIteratorBaseEENKUlvE_clEvENKUlvE0_clEvEUlfE_EEvS5_RKT_EUlibE0_EEviT1_.private_seg_size, 0
	.set _ZN2at6native32elementwise_kernel_manual_unrollILi128ELi4EZNS0_15gpu_kernel_implIZZZNS0_12_GLOBAL__N_121bessel_j0_kernel_cudaERNS_18TensorIteratorBaseEENKUlvE_clEvENKUlvE0_clEvEUlfE_EEvS5_RKT_EUlibE0_EEviT1_.uses_vcc, 1
	.set _ZN2at6native32elementwise_kernel_manual_unrollILi128ELi4EZNS0_15gpu_kernel_implIZZZNS0_12_GLOBAL__N_121bessel_j0_kernel_cudaERNS_18TensorIteratorBaseEENKUlvE_clEvENKUlvE0_clEvEUlfE_EEvS5_RKT_EUlibE0_EEviT1_.uses_flat_scratch, 0
	.set _ZN2at6native32elementwise_kernel_manual_unrollILi128ELi4EZNS0_15gpu_kernel_implIZZZNS0_12_GLOBAL__N_121bessel_j0_kernel_cudaERNS_18TensorIteratorBaseEENKUlvE_clEvENKUlvE0_clEvEUlfE_EEvS5_RKT_EUlibE0_EEviT1_.has_dyn_sized_stack, 0
	.set _ZN2at6native32elementwise_kernel_manual_unrollILi128ELi4EZNS0_15gpu_kernel_implIZZZNS0_12_GLOBAL__N_121bessel_j0_kernel_cudaERNS_18TensorIteratorBaseEENKUlvE_clEvENKUlvE0_clEvEUlfE_EEvS5_RKT_EUlibE0_EEviT1_.has_recursion, 0
	.set _ZN2at6native32elementwise_kernel_manual_unrollILi128ELi4EZNS0_15gpu_kernel_implIZZZNS0_12_GLOBAL__N_121bessel_j0_kernel_cudaERNS_18TensorIteratorBaseEENKUlvE_clEvENKUlvE0_clEvEUlfE_EEvS5_RKT_EUlibE0_EEviT1_.has_indirect_call, 0
	.section	.AMDGPU.csdata,"",@progbits
; Kernel info:
; codeLenInByte = 60456
; TotalNumSgprs: 82
; NumVgprs: 42
; ScratchSize: 0
; MemoryBound: 1
; FloatMode: 240
; IeeeMode: 1
; LDSByteSize: 0 bytes/workgroup (compile time only)
; SGPRBlocks: 10
; VGPRBlocks: 10
; NumSGPRsForWavesPerEU: 82
; NumVGPRsForWavesPerEU: 42
; Occupancy: 5
; WaveLimiterHint : 1
; COMPUTE_PGM_RSRC2:SCRATCH_EN: 0
; COMPUTE_PGM_RSRC2:USER_SGPR: 6
; COMPUTE_PGM_RSRC2:TRAP_HANDLER: 0
; COMPUTE_PGM_RSRC2:TGID_X_EN: 1
; COMPUTE_PGM_RSRC2:TGID_Y_EN: 0
; COMPUTE_PGM_RSRC2:TGID_Z_EN: 0
; COMPUTE_PGM_RSRC2:TIDIG_COMP_CNT: 0
	.section	.AMDGPU.gpr_maximums,"",@progbits
	.set amdgpu.max_num_vgpr, 84
	.set amdgpu.max_num_agpr, 0
	.set amdgpu.max_num_sgpr, 48
	.section	.AMDGPU.csdata,"",@progbits
	.type	__hip_cuid_447979464b70c69c,@object ; @__hip_cuid_447979464b70c69c
	.section	.bss,"aw",@nobits
	.globl	__hip_cuid_447979464b70c69c
__hip_cuid_447979464b70c69c:
	.byte	0                               ; 0x0
	.size	__hip_cuid_447979464b70c69c, 1

	.ident	"AMD clang version 22.0.0git (https://github.com/RadeonOpenCompute/llvm-project roc-7.2.4 26084 f58b06dce1f9c15707c5f808fd002e18c2accf7e)"
	.section	".note.GNU-stack","",@progbits
	.addrsig
	.addrsig_sym __hip_cuid_447979464b70c69c
	.amdgpu_metadata
---
amdhsa.kernels:
  - .args:
      - .offset:         0
        .size:           4
        .value_kind:     by_value
      - .offset:         4
        .size:           1
        .value_kind:     by_value
      - .offset:         8
        .size:           16
        .value_kind:     by_value
    .group_segment_fixed_size: 0
    .kernarg_segment_align: 8
    .kernarg_segment_size: 24
    .language:       OpenCL C
    .language_version:
      - 2
      - 0
    .max_flat_workgroup_size: 256
    .name:           _ZN2at6native29vectorized_elementwise_kernelILi16EZZZNS0_12_GLOBAL__N_121bessel_j0_kernel_cudaERNS_18TensorIteratorBaseEENKUlvE_clEvENKUlvE_clEvEUldE_St5arrayIPcLm2EEEEviT0_T1_
    .private_segment_fixed_size: 0
    .sgpr_count:     52
    .sgpr_spill_count: 0
    .symbol:         _ZN2at6native29vectorized_elementwise_kernelILi16EZZZNS0_12_GLOBAL__N_121bessel_j0_kernel_cudaERNS_18TensorIteratorBaseEENKUlvE_clEvENKUlvE_clEvEUldE_St5arrayIPcLm2EEEEviT0_T1_.kd
    .uniform_work_group_size: 1
    .uses_dynamic_stack: false
    .vgpr_count:     84
    .vgpr_spill_count: 0
    .wavefront_size: 64
  - .args:
      - .offset:         0
        .size:           4
        .value_kind:     by_value
      - .offset:         4
        .size:           1
        .value_kind:     by_value
      - .offset:         8
        .size:           16
        .value_kind:     by_value
    .group_segment_fixed_size: 0
    .kernarg_segment_align: 8
    .kernarg_segment_size: 24
    .language:       OpenCL C
    .language_version:
      - 2
      - 0
    .max_flat_workgroup_size: 256
    .name:           _ZN2at6native29vectorized_elementwise_kernelILi8EZZZNS0_12_GLOBAL__N_121bessel_j0_kernel_cudaERNS_18TensorIteratorBaseEENKUlvE_clEvENKUlvE_clEvEUldE_St5arrayIPcLm2EEEEviT0_T1_
    .private_segment_fixed_size: 0
    .sgpr_count:     52
    .sgpr_spill_count: 0
    .symbol:         _ZN2at6native29vectorized_elementwise_kernelILi8EZZZNS0_12_GLOBAL__N_121bessel_j0_kernel_cudaERNS_18TensorIteratorBaseEENKUlvE_clEvENKUlvE_clEvEUldE_St5arrayIPcLm2EEEEviT0_T1_.kd
    .uniform_work_group_size: 1
    .uses_dynamic_stack: false
    .vgpr_count:     84
    .vgpr_spill_count: 0
    .wavefront_size: 64
  - .args:
      - .offset:         0
        .size:           4
        .value_kind:     by_value
      - .offset:         4
        .size:           1
        .value_kind:     by_value
      - .offset:         8
        .size:           16
        .value_kind:     by_value
    .group_segment_fixed_size: 0
    .kernarg_segment_align: 8
    .kernarg_segment_size: 24
    .language:       OpenCL C
    .language_version:
      - 2
      - 0
    .max_flat_workgroup_size: 256
    .name:           _ZN2at6native29vectorized_elementwise_kernelILi4EZZZNS0_12_GLOBAL__N_121bessel_j0_kernel_cudaERNS_18TensorIteratorBaseEENKUlvE_clEvENKUlvE_clEvEUldE_St5arrayIPcLm2EEEEviT0_T1_
    .private_segment_fixed_size: 0
    .sgpr_count:     52
    .sgpr_spill_count: 0
    .symbol:         _ZN2at6native29vectorized_elementwise_kernelILi4EZZZNS0_12_GLOBAL__N_121bessel_j0_kernel_cudaERNS_18TensorIteratorBaseEENKUlvE_clEvENKUlvE_clEvEUldE_St5arrayIPcLm2EEEEviT0_T1_.kd
    .uniform_work_group_size: 1
    .uses_dynamic_stack: false
    .vgpr_count:     84
    .vgpr_spill_count: 0
    .wavefront_size: 64
  - .args:
      - .offset:         0
        .size:           4
        .value_kind:     by_value
      - .offset:         4
        .size:           1
        .value_kind:     by_value
      - .offset:         8
        .size:           16
        .value_kind:     by_value
    .group_segment_fixed_size: 0
    .kernarg_segment_align: 8
    .kernarg_segment_size: 24
    .language:       OpenCL C
    .language_version:
      - 2
      - 0
    .max_flat_workgroup_size: 256
    .name:           _ZN2at6native29vectorized_elementwise_kernelILi2EZZZNS0_12_GLOBAL__N_121bessel_j0_kernel_cudaERNS_18TensorIteratorBaseEENKUlvE_clEvENKUlvE_clEvEUldE_St5arrayIPcLm2EEEEviT0_T1_
    .private_segment_fixed_size: 0
    .sgpr_count:     52
    .sgpr_spill_count: 0
    .symbol:         _ZN2at6native29vectorized_elementwise_kernelILi2EZZZNS0_12_GLOBAL__N_121bessel_j0_kernel_cudaERNS_18TensorIteratorBaseEENKUlvE_clEvENKUlvE_clEvEUldE_St5arrayIPcLm2EEEEviT0_T1_.kd
    .uniform_work_group_size: 1
    .uses_dynamic_stack: false
    .vgpr_count:     84
    .vgpr_spill_count: 0
    .wavefront_size: 64
  - .args:
      - .offset:         0
        .size:           4
        .value_kind:     by_value
      - .offset:         4
        .size:           1
        .value_kind:     by_value
      - .offset:         8
        .size:           16
        .value_kind:     by_value
      - .offset:         24
        .size:           1
        .value_kind:     by_value
      - .offset:         25
        .size:           1
        .value_kind:     by_value
      - .offset:         26
        .size:           1
        .value_kind:     by_value
      - .offset:         27
        .size:           1
        .value_kind:     by_value
    .group_segment_fixed_size: 0
    .kernarg_segment_align: 8
    .kernarg_segment_size: 28
    .language:       OpenCL C
    .language_version:
      - 2
      - 0
    .max_flat_workgroup_size: 256
    .name:           _ZN2at6native27unrolled_elementwise_kernelIZZZNS0_12_GLOBAL__N_121bessel_j0_kernel_cudaERNS_18TensorIteratorBaseEENKUlvE_clEvENKUlvE_clEvEUldE_St5arrayIPcLm2EELi4E23TrivialOffsetCalculatorILi1EjESC_NS0_6memory15LoadWithoutCastENSD_16StoreWithoutCastEEEviT_T0_T2_T3_T4_T5_
    .private_segment_fixed_size: 0
    .sgpr_count:     52
    .sgpr_spill_count: 0
    .symbol:         _ZN2at6native27unrolled_elementwise_kernelIZZZNS0_12_GLOBAL__N_121bessel_j0_kernel_cudaERNS_18TensorIteratorBaseEENKUlvE_clEvENKUlvE_clEvEUldE_St5arrayIPcLm2EELi4E23TrivialOffsetCalculatorILi1EjESC_NS0_6memory15LoadWithoutCastENSD_16StoreWithoutCastEEEviT_T0_T2_T3_T4_T5_.kd
    .uniform_work_group_size: 1
    .uses_dynamic_stack: false
    .vgpr_count:     84
    .vgpr_spill_count: 0
    .wavefront_size: 64
  - .args:
      - .offset:         0
        .size:           4
        .value_kind:     by_value
      - .offset:         8
        .size:           352
        .value_kind:     by_value
    .group_segment_fixed_size: 0
    .kernarg_segment_align: 8
    .kernarg_segment_size: 360
    .language:       OpenCL C
    .language_version:
      - 2
      - 0
    .max_flat_workgroup_size: 128
    .name:           _ZN2at6native32elementwise_kernel_manual_unrollILi128ELi4EZNS0_22gpu_kernel_impl_nocastIZZZNS0_12_GLOBAL__N_121bessel_j0_kernel_cudaERNS_18TensorIteratorBaseEENKUlvE_clEvENKUlvE_clEvEUldE_EEvS5_RKT_EUlibE_EEviT1_
    .private_segment_fixed_size: 0
    .sgpr_count:     68
    .sgpr_spill_count: 0
    .symbol:         _ZN2at6native32elementwise_kernel_manual_unrollILi128ELi4EZNS0_22gpu_kernel_impl_nocastIZZZNS0_12_GLOBAL__N_121bessel_j0_kernel_cudaERNS_18TensorIteratorBaseEENKUlvE_clEvENKUlvE_clEvEUldE_EEvS5_RKT_EUlibE_EEviT1_.kd
    .uniform_work_group_size: 1
    .uses_dynamic_stack: false
    .vgpr_count:     64
    .vgpr_spill_count: 0
    .wavefront_size: 64
  - .args:
      - .offset:         0
        .size:           4
        .value_kind:     by_value
      - .offset:         8
        .size:           32
        .value_kind:     by_value
    .group_segment_fixed_size: 0
    .kernarg_segment_align: 8
    .kernarg_segment_size: 40
    .language:       OpenCL C
    .language_version:
      - 2
      - 0
    .max_flat_workgroup_size: 128
    .name:           _ZN2at6native32elementwise_kernel_manual_unrollILi128ELi4EZNS0_15gpu_kernel_implIZZZNS0_12_GLOBAL__N_121bessel_j0_kernel_cudaERNS_18TensorIteratorBaseEENKUlvE_clEvENKUlvE_clEvEUldE_EEvS5_RKT_EUlibE_EEviT1_
    .private_segment_fixed_size: 124
    .sgpr_count:     68
    .sgpr_spill_count: 0
    .symbol:         _ZN2at6native32elementwise_kernel_manual_unrollILi128ELi4EZNS0_15gpu_kernel_implIZZZNS0_12_GLOBAL__N_121bessel_j0_kernel_cudaERNS_18TensorIteratorBaseEENKUlvE_clEvENKUlvE_clEvEUldE_EEvS5_RKT_EUlibE_EEviT1_.kd
    .uniform_work_group_size: 1
    .uses_dynamic_stack: false
    .vgpr_count:     62
    .vgpr_spill_count: 20
    .wavefront_size: 64
  - .args:
      - .offset:         0
        .size:           4
        .value_kind:     by_value
      - .offset:         8
        .size:           352
        .value_kind:     by_value
    .group_segment_fixed_size: 0
    .kernarg_segment_align: 8
    .kernarg_segment_size: 360
    .language:       OpenCL C
    .language_version:
      - 2
      - 0
    .max_flat_workgroup_size: 128
    .name:           _ZN2at6native32elementwise_kernel_manual_unrollILi128ELi4EZNS0_15gpu_kernel_implIZZZNS0_12_GLOBAL__N_121bessel_j0_kernel_cudaERNS_18TensorIteratorBaseEENKUlvE_clEvENKUlvE_clEvEUldE_EEvS5_RKT_EUlibE0_EEviT1_
    .private_segment_fixed_size: 156
    .sgpr_count:     91
    .sgpr_spill_count: 0
    .symbol:         _ZN2at6native32elementwise_kernel_manual_unrollILi128ELi4EZNS0_15gpu_kernel_implIZZZNS0_12_GLOBAL__N_121bessel_j0_kernel_cudaERNS_18TensorIteratorBaseEENKUlvE_clEvENKUlvE_clEvEUldE_EEvS5_RKT_EUlibE0_EEviT1_.kd
    .uniform_work_group_size: 1
    .uses_dynamic_stack: false
    .vgpr_count:     64
    .vgpr_spill_count: 32
    .wavefront_size: 64
  - .args:
      - .offset:         0
        .size:           4
        .value_kind:     by_value
      - .offset:         4
        .size:           1
        .value_kind:     by_value
      - .offset:         8
        .size:           16
        .value_kind:     by_value
    .group_segment_fixed_size: 0
    .kernarg_segment_align: 8
    .kernarg_segment_size: 24
    .language:       OpenCL C
    .language_version:
      - 2
      - 0
    .max_flat_workgroup_size: 256
    .name:           _ZN2at6native29vectorized_elementwise_kernelILi16EZZZNS0_12_GLOBAL__N_121bessel_j0_kernel_cudaERNS_18TensorIteratorBaseEENKUlvE_clEvENKUlvE0_clEvEUlfE_St5arrayIPcLm2EEEEviT0_T1_
    .private_segment_fixed_size: 0
    .sgpr_count:     37
    .sgpr_spill_count: 0
    .symbol:         _ZN2at6native29vectorized_elementwise_kernelILi16EZZZNS0_12_GLOBAL__N_121bessel_j0_kernel_cudaERNS_18TensorIteratorBaseEENKUlvE_clEvENKUlvE0_clEvEUlfE_St5arrayIPcLm2EEEEviT0_T1_.kd
    .uniform_work_group_size: 1
    .uses_dynamic_stack: false
    .vgpr_count:     32
    .vgpr_spill_count: 0
    .wavefront_size: 64
  - .args:
      - .offset:         0
        .size:           4
        .value_kind:     by_value
      - .offset:         4
        .size:           1
        .value_kind:     by_value
      - .offset:         8
        .size:           16
        .value_kind:     by_value
    .group_segment_fixed_size: 0
    .kernarg_segment_align: 8
    .kernarg_segment_size: 24
    .language:       OpenCL C
    .language_version:
      - 2
      - 0
    .max_flat_workgroup_size: 256
    .name:           _ZN2at6native29vectorized_elementwise_kernelILi8EZZZNS0_12_GLOBAL__N_121bessel_j0_kernel_cudaERNS_18TensorIteratorBaseEENKUlvE_clEvENKUlvE0_clEvEUlfE_St5arrayIPcLm2EEEEviT0_T1_
    .private_segment_fixed_size: 0
    .sgpr_count:     37
    .sgpr_spill_count: 0
    .symbol:         _ZN2at6native29vectorized_elementwise_kernelILi8EZZZNS0_12_GLOBAL__N_121bessel_j0_kernel_cudaERNS_18TensorIteratorBaseEENKUlvE_clEvENKUlvE0_clEvEUlfE_St5arrayIPcLm2EEEEviT0_T1_.kd
    .uniform_work_group_size: 1
    .uses_dynamic_stack: false
    .vgpr_count:     32
    .vgpr_spill_count: 0
    .wavefront_size: 64
  - .args:
      - .offset:         0
        .size:           4
        .value_kind:     by_value
      - .offset:         4
        .size:           1
        .value_kind:     by_value
      - .offset:         8
        .size:           16
        .value_kind:     by_value
    .group_segment_fixed_size: 0
    .kernarg_segment_align: 8
    .kernarg_segment_size: 24
    .language:       OpenCL C
    .language_version:
      - 2
      - 0
    .max_flat_workgroup_size: 256
    .name:           _ZN2at6native29vectorized_elementwise_kernelILi4EZZZNS0_12_GLOBAL__N_121bessel_j0_kernel_cudaERNS_18TensorIteratorBaseEENKUlvE_clEvENKUlvE0_clEvEUlfE_St5arrayIPcLm2EEEEviT0_T1_
    .private_segment_fixed_size: 0
    .sgpr_count:     37
    .sgpr_spill_count: 0
    .symbol:         _ZN2at6native29vectorized_elementwise_kernelILi4EZZZNS0_12_GLOBAL__N_121bessel_j0_kernel_cudaERNS_18TensorIteratorBaseEENKUlvE_clEvENKUlvE0_clEvEUlfE_St5arrayIPcLm2EEEEviT0_T1_.kd
    .uniform_work_group_size: 1
    .uses_dynamic_stack: false
    .vgpr_count:     32
    .vgpr_spill_count: 0
    .wavefront_size: 64
  - .args:
      - .offset:         0
        .size:           4
        .value_kind:     by_value
      - .offset:         4
        .size:           1
        .value_kind:     by_value
      - .offset:         8
        .size:           16
        .value_kind:     by_value
    .group_segment_fixed_size: 0
    .kernarg_segment_align: 8
    .kernarg_segment_size: 24
    .language:       OpenCL C
    .language_version:
      - 2
      - 0
    .max_flat_workgroup_size: 256
    .name:           _ZN2at6native29vectorized_elementwise_kernelILi2EZZZNS0_12_GLOBAL__N_121bessel_j0_kernel_cudaERNS_18TensorIteratorBaseEENKUlvE_clEvENKUlvE0_clEvEUlfE_St5arrayIPcLm2EEEEviT0_T1_
    .private_segment_fixed_size: 0
    .sgpr_count:     37
    .sgpr_spill_count: 0
    .symbol:         _ZN2at6native29vectorized_elementwise_kernelILi2EZZZNS0_12_GLOBAL__N_121bessel_j0_kernel_cudaERNS_18TensorIteratorBaseEENKUlvE_clEvENKUlvE0_clEvEUlfE_St5arrayIPcLm2EEEEviT0_T1_.kd
    .uniform_work_group_size: 1
    .uses_dynamic_stack: false
    .vgpr_count:     40
    .vgpr_spill_count: 0
    .wavefront_size: 64
  - .args:
      - .offset:         0
        .size:           4
        .value_kind:     by_value
      - .offset:         4
        .size:           1
        .value_kind:     by_value
      - .offset:         8
        .size:           16
        .value_kind:     by_value
      - .offset:         24
        .size:           1
        .value_kind:     by_value
      - .offset:         25
        .size:           1
        .value_kind:     by_value
      - .offset:         26
        .size:           1
        .value_kind:     by_value
      - .offset:         27
        .size:           1
        .value_kind:     by_value
    .group_segment_fixed_size: 0
    .kernarg_segment_align: 8
    .kernarg_segment_size: 28
    .language:       OpenCL C
    .language_version:
      - 2
      - 0
    .max_flat_workgroup_size: 256
    .name:           _ZN2at6native27unrolled_elementwise_kernelIZZZNS0_12_GLOBAL__N_121bessel_j0_kernel_cudaERNS_18TensorIteratorBaseEENKUlvE_clEvENKUlvE0_clEvEUlfE_St5arrayIPcLm2EELi4E23TrivialOffsetCalculatorILi1EjESC_NS0_6memory15LoadWithoutCastENSD_16StoreWithoutCastEEEviT_T0_T2_T3_T4_T5_
    .private_segment_fixed_size: 0
    .sgpr_count:     37
    .sgpr_spill_count: 0
    .symbol:         _ZN2at6native27unrolled_elementwise_kernelIZZZNS0_12_GLOBAL__N_121bessel_j0_kernel_cudaERNS_18TensorIteratorBaseEENKUlvE_clEvENKUlvE0_clEvEUlfE_St5arrayIPcLm2EELi4E23TrivialOffsetCalculatorILi1EjESC_NS0_6memory15LoadWithoutCastENSD_16StoreWithoutCastEEEviT_T0_T2_T3_T4_T5_.kd
    .uniform_work_group_size: 1
    .uses_dynamic_stack: false
    .vgpr_count:     32
    .vgpr_spill_count: 0
    .wavefront_size: 64
  - .args:
      - .offset:         0
        .size:           4
        .value_kind:     by_value
      - .offset:         8
        .size:           352
        .value_kind:     by_value
    .group_segment_fixed_size: 0
    .kernarg_segment_align: 8
    .kernarg_segment_size: 360
    .language:       OpenCL C
    .language_version:
      - 2
      - 0
    .max_flat_workgroup_size: 128
    .name:           _ZN2at6native32elementwise_kernel_manual_unrollILi128ELi4EZNS0_22gpu_kernel_impl_nocastIZZZNS0_12_GLOBAL__N_121bessel_j0_kernel_cudaERNS_18TensorIteratorBaseEENKUlvE_clEvENKUlvE0_clEvEUlfE_EEvS5_RKT_EUlibE_EEviT1_
    .private_segment_fixed_size: 0
    .sgpr_count:     64
    .sgpr_spill_count: 0
    .symbol:         _ZN2at6native32elementwise_kernel_manual_unrollILi128ELi4EZNS0_22gpu_kernel_impl_nocastIZZZNS0_12_GLOBAL__N_121bessel_j0_kernel_cudaERNS_18TensorIteratorBaseEENKUlvE_clEvENKUlvE0_clEvEUlfE_EEvS5_RKT_EUlibE_EEviT1_.kd
    .uniform_work_group_size: 1
    .uses_dynamic_stack: false
    .vgpr_count:     41
    .vgpr_spill_count: 0
    .wavefront_size: 64
  - .args:
      - .offset:         0
        .size:           4
        .value_kind:     by_value
      - .offset:         8
        .size:           32
        .value_kind:     by_value
    .group_segment_fixed_size: 0
    .kernarg_segment_align: 8
    .kernarg_segment_size: 40
    .language:       OpenCL C
    .language_version:
      - 2
      - 0
    .max_flat_workgroup_size: 128
    .name:           _ZN2at6native32elementwise_kernel_manual_unrollILi128ELi4EZNS0_15gpu_kernel_implIZZZNS0_12_GLOBAL__N_121bessel_j0_kernel_cudaERNS_18TensorIteratorBaseEENKUlvE_clEvENKUlvE0_clEvEUlfE_EEvS5_RKT_EUlibE_EEviT1_
    .private_segment_fixed_size: 0
    .sgpr_count:     48
    .sgpr_spill_count: 0
    .symbol:         _ZN2at6native32elementwise_kernel_manual_unrollILi128ELi4EZNS0_15gpu_kernel_implIZZZNS0_12_GLOBAL__N_121bessel_j0_kernel_cudaERNS_18TensorIteratorBaseEENKUlvE_clEvENKUlvE0_clEvEUlfE_EEvS5_RKT_EUlibE_EEviT1_.kd
    .uniform_work_group_size: 1
    .uses_dynamic_stack: false
    .vgpr_count:     33
    .vgpr_spill_count: 0
    .wavefront_size: 64
  - .args:
      - .offset:         0
        .size:           4
        .value_kind:     by_value
      - .offset:         8
        .size:           352
        .value_kind:     by_value
    .group_segment_fixed_size: 0
    .kernarg_segment_align: 8
    .kernarg_segment_size: 360
    .language:       OpenCL C
    .language_version:
      - 2
      - 0
    .max_flat_workgroup_size: 128
    .name:           _ZN2at6native32elementwise_kernel_manual_unrollILi128ELi4EZNS0_15gpu_kernel_implIZZZNS0_12_GLOBAL__N_121bessel_j0_kernel_cudaERNS_18TensorIteratorBaseEENKUlvE_clEvENKUlvE0_clEvEUlfE_EEvS5_RKT_EUlibE0_EEviT1_
    .private_segment_fixed_size: 0
    .sgpr_count:     82
    .sgpr_spill_count: 0
    .symbol:         _ZN2at6native32elementwise_kernel_manual_unrollILi128ELi4EZNS0_15gpu_kernel_implIZZZNS0_12_GLOBAL__N_121bessel_j0_kernel_cudaERNS_18TensorIteratorBaseEENKUlvE_clEvENKUlvE0_clEvEUlfE_EEvS5_RKT_EUlibE0_EEviT1_.kd
    .uniform_work_group_size: 1
    .uses_dynamic_stack: false
    .vgpr_count:     42
    .vgpr_spill_count: 0
    .wavefront_size: 64
amdhsa.target:   amdgcn-amd-amdhsa--gfx906
amdhsa.version:
  - 1
  - 2
...

	.end_amdgpu_metadata
